;; amdgpu-corpus repo=ROCm/rocSPARSE kind=compiled arch=gfx906 opt=O3
	.amdgcn_target "amdgcn-amd-amdhsa--gfx906"
	.amdhsa_code_object_version 6
	.section	.text._ZN9rocsparseL14kernel_freerunILi1024ELi1EfiiEEvT3_S1_T2_PKS2_S4_PKS1_PKT1_21rocsparse_index_base_S4_S4_S6_PS7_SB_SA_S4_S4_S6_SB_SB_SA_SB_SB_,"axG",@progbits,_ZN9rocsparseL14kernel_freerunILi1024ELi1EfiiEEvT3_S1_T2_PKS2_S4_PKS1_PKT1_21rocsparse_index_base_S4_S4_S6_PS7_SB_SA_S4_S4_S6_SB_SB_SA_SB_SB_,comdat
	.globl	_ZN9rocsparseL14kernel_freerunILi1024ELi1EfiiEEvT3_S1_T2_PKS2_S4_PKS1_PKT1_21rocsparse_index_base_S4_S4_S6_PS7_SB_SA_S4_S4_S6_SB_SB_SA_SB_SB_ ; -- Begin function _ZN9rocsparseL14kernel_freerunILi1024ELi1EfiiEEvT3_S1_T2_PKS2_S4_PKS1_PKT1_21rocsparse_index_base_S4_S4_S6_PS7_SB_SA_S4_S4_S6_SB_SB_SA_SB_SB_
	.p2align	8
	.type	_ZN9rocsparseL14kernel_freerunILi1024ELi1EfiiEEvT3_S1_T2_PKS2_S4_PKS1_PKT1_21rocsparse_index_base_S4_S4_S6_PS7_SB_SA_S4_S4_S6_SB_SB_SA_SB_SB_,@function
_ZN9rocsparseL14kernel_freerunILi1024ELi1EfiiEEvT3_S1_T2_PKS2_S4_PKS1_PKT1_21rocsparse_index_base_S4_S4_S6_PS7_SB_SA_S4_S4_S6_SB_SB_SA_SB_SB_: ; @_ZN9rocsparseL14kernel_freerunILi1024ELi1EfiiEEvT3_S1_T2_PKS2_S4_PKS1_PKT1_21rocsparse_index_base_S4_S4_S6_PS7_SB_SA_S4_S4_S6_SB_SB_SA_SB_SB_
; %bb.0:
	s_load_dwordx2 s[34:35], s[4:5], 0x0
	s_lshl_b32 s63, s6, 10
	v_or_b32_e32 v0, s63, v0
	s_mov_b32 s33, 0
	s_waitcnt lgkmcnt(0)
	s_cmp_gt_i32 s34, 0
	v_cmp_gt_i32_e32 vcc, s35, v0
	s_cselect_b64 s[0:1], -1, 0
	s_and_b64 s[0:1], vcc, s[0:1]
	s_and_saveexec_b64 s[2:3], s[0:1]
	s_cbranch_execz .LBB0_51
; %bb.1:
	s_load_dwordx8 s[8:15], s[4:5], 0x38
	s_load_dwordx8 s[16:23], s[4:5], 0x10
	v_ashrrev_i32_e32 v1, 31, v0
	v_lshlrev_b64 v[1:2], 2, v[0:1]
	s_addk_i32 s63, 0x400
	s_waitcnt lgkmcnt(0)
	v_mov_b32_e32 v4, s11
	v_add_co_u32_e32 v3, vcc, s10, v1
	v_addc_co_u32_e32 v4, vcc, v4, v2, vcc
	global_load_dword v5, v[3:4], off
	v_mov_b32_e32 v4, s9
	v_add_co_u32_e32 v3, vcc, s8, v1
	v_addc_co_u32_e32 v4, vcc, v4, v2, vcc
	global_load_dword v6, v[3:4], off
	;; [unrolled: 4-line block ×4, first 2 shown]
	s_load_dwordx4 s[16:19], s[4:5], 0x98
	s_load_dwordx8 s[24:31], s[4:5], 0x68
	s_load_dword s60, s[4:5], 0x30
	s_load_dwordx2 s[36:37], s[4:5], 0x58
	s_load_dword s61, s[4:5], 0x60
	s_load_dwordx2 s[38:39], s[4:5], 0x88
	s_load_dword s62, s[4:5], 0x90
	v_mov_b32_e32 v7, s13
	v_mov_b32_e32 v8, s15
	;; [unrolled: 1-line block ×3, first 2 shown]
	v_cmp_gt_u32_e64 s[0:1], s63, v0
	s_movk_i32 s64, 0x1f8
	s_waitcnt vmcnt(2) lgkmcnt(0)
	v_subrev_u32_e32 v3, s61, v6
	v_sub_u32_e32 v17, v5, v6
	v_cmp_lt_i32_e64 s[4:5], 0, v17
	s_waitcnt vmcnt(1)
	v_subrev_u32_e32 v18, s60, v4
	s_waitcnt vmcnt(0)
	v_cmp_lt_i32_e64 s[2:3], v4, v1
	v_ashrrev_i32_e32 v4, 31, v3
	v_lshlrev_b64 v[4:5], 2, v[3:4]
	v_subrev_u32_e32 v19, s60, v1
	v_add_co_u32_e32 v20, vcc, s12, v4
	v_addc_co_u32_e32 v21, vcc, v7, v5, vcc
	v_add_co_u32_e32 v22, vcc, s14, v4
	v_addc_co_u32_e32 v23, vcc, v8, v5, vcc
	s_branch .LBB0_3
.LBB0_2:                                ;   in Loop: Header=BB0_3 Depth=1
	s_or_b64 exec, exec, s[6:7]
	s_add_i32 s33, s33, 1
	s_cmp_eq_u32 s33, s34
	s_cbranch_scc1 .LBB0_51
.LBB0_3:                                ; =>This Loop Header: Depth=1
                                        ;     Child Loop BB0_6 Depth 2
                                        ;       Child Loop BB0_10 Depth 3
                                        ;       Child Loop BB0_26 Depth 3
	;; [unrolled: 1-line block ×3, first 2 shown]
                                        ;     Child Loop BB0_44 Depth 2
                                        ;       Child Loop BB0_47 Depth 3
                                        ;       Child Loop BB0_50 Depth 3
	s_and_saveexec_b64 s[40:41], s[2:3]
	s_cbranch_execz .LBB0_40
; %bb.4:                                ;   in Loop: Header=BB0_3 Depth=1
	s_mov_b64 s[42:43], 0
	v_mov_b32_e32 v4, v18
	s_branch .LBB0_6
.LBB0_5:                                ;   in Loop: Header=BB0_6 Depth=2
	s_or_b64 exec, exec, s[44:45]
	v_add_u32_e32 v4, 1, v4
	v_cmp_ge_i32_e32 vcc, v4, v19
	s_or_b64 s[42:43], vcc, s[42:43]
	s_andn2_b64 exec, exec, s[42:43]
	s_cbranch_execz .LBB0_40
.LBB0_6:                                ;   Parent Loop BB0_3 Depth=1
                                        ; =>  This Loop Header: Depth=2
                                        ;       Child Loop BB0_10 Depth 3
                                        ;       Child Loop BB0_26 Depth 3
	;; [unrolled: 1-line block ×3, first 2 shown]
	v_ashrrev_i32_e32 v5, 31, v4
	v_lshlrev_b64 v[11:12], 2, v[4:5]
	v_mov_b32_e32 v1, s21
	v_add_co_u32_e32 v5, vcc, s20, v11
	v_addc_co_u32_e32 v6, vcc, v1, v12, vcc
	global_load_dword v1, v[5:6], off
	v_mov_b32_e32 v7, s25
	v_mov_b32_e32 v8, s27
	v_mov_b32_e32 v25, 0
	s_waitcnt vmcnt(0)
	v_subrev_u32_e32 v5, s60, v1
	v_ashrrev_i32_e32 v6, 31, v5
	v_lshlrev_b64 v[9:10], 2, v[5:6]
	v_add_co_u32_e32 v6, vcc, s24, v9
	v_addc_co_u32_e32 v7, vcc, v7, v10, vcc
	v_add_co_u32_e32 v13, vcc, s26, v9
	v_addc_co_u32_e32 v14, vcc, v8, v10, vcc
	global_load_dword v1, v[6:7], off
	global_load_dword v8, v[13:14], off
	v_mov_b32_e32 v7, 0
	s_waitcnt vmcnt(1)
	v_subrev_u32_e32 v6, s62, v1
	s_waitcnt vmcnt(0)
	v_sub_u32_e32 v24, v8, v1
	v_mov_b32_e32 v1, v7
	s_and_saveexec_b64 s[6:7], s[4:5]
	s_cbranch_execz .LBB0_14
; %bb.7:                                ;   in Loop: Header=BB0_6 Depth=2
	v_ashrrev_i32_e32 v7, 31, v6
	v_lshlrev_b64 v[7:8], 2, v[6:7]
	v_mov_b32_e32 v1, s29
	v_add_co_u32_e32 v26, vcc, s28, v7
	v_addc_co_u32_e32 v27, vcc, v1, v8, vcc
	v_mov_b32_e32 v1, s31
	v_add_co_u32_e32 v28, vcc, s30, v7
	v_addc_co_u32_e32 v29, vcc, v1, v8, vcc
	v_mov_b32_e32 v1, 0
	v_mov_b32_e32 v25, 0
	s_mov_b64 s[44:45], 0
	v_mov_b32_e32 v7, v1
                                        ; implicit-def: $sgpr46_sgpr47
	s_branch .LBB0_10
.LBB0_8:                                ;   in Loop: Header=BB0_10 Depth=3
	s_or_b64 exec, exec, s[50:51]
	v_cmp_le_i32_e32 vcc, v8, v30
	v_addc_co_u32_e32 v1, vcc, 0, v1, vcc
	v_cmp_ge_i32_e32 vcc, v8, v30
	v_addc_co_u32_e32 v7, vcc, 0, v7, vcc
	v_cmp_ge_i32_e32 vcc, v1, v17
	s_andn2_b64 s[46:47], s[46:47], exec
	s_and_b64 s[50:51], vcc, exec
	s_or_b64 s[46:47], s[46:47], s[50:51]
.LBB0_9:                                ;   in Loop: Header=BB0_10 Depth=3
	s_or_b64 exec, exec, s[48:49]
	s_and_b64 s[48:49], exec, s[46:47]
	s_or_b64 s[44:45], s[48:49], s[44:45]
	s_andn2_b64 exec, exec, s[44:45]
	s_cbranch_execz .LBB0_13
.LBB0_10:                               ;   Parent Loop BB0_3 Depth=1
                                        ;     Parent Loop BB0_6 Depth=2
                                        ; =>    This Inner Loop Header: Depth=3
	v_cmp_lt_i32_e32 vcc, v7, v24
	s_or_b64 s[46:47], s[46:47], exec
	s_and_saveexec_b64 s[48:49], vcc
	s_cbranch_execz .LBB0_9
; %bb.11:                               ;   in Loop: Header=BB0_10 Depth=3
	v_lshlrev_b64 v[13:14], 2, v[1:2]
	v_mov_b32_e32 v8, v2
	v_add_co_u32_e32 v15, vcc, v20, v13
	v_addc_co_u32_e32 v16, vcc, v21, v14, vcc
	global_load_dword v32, v[15:16], off
	v_lshlrev_b64 v[15:16], 2, v[7:8]
	v_add_co_u32_e32 v30, vcc, v26, v15
	v_addc_co_u32_e32 v31, vcc, v27, v16, vcc
	global_load_dword v30, v[30:31], off
	s_waitcnt vmcnt(1)
	v_subrev_u32_e32 v8, s61, v32
	s_waitcnt vmcnt(0)
	v_subrev_u32_e32 v30, s62, v30
	v_cmp_eq_u32_e32 vcc, v8, v30
	s_and_saveexec_b64 s[50:51], vcc
	s_cbranch_execz .LBB0_8
; %bb.12:                               ;   in Loop: Header=BB0_10 Depth=3
	v_add_co_u32_e32 v13, vcc, v22, v13
	v_addc_co_u32_e32 v14, vcc, v23, v14, vcc
	v_add_co_u32_e32 v15, vcc, v28, v15
	v_addc_co_u32_e32 v16, vcc, v29, v16, vcc
	global_load_dword v13, v[13:14], off
	s_nop 0
	global_load_dword v14, v[15:16], off
	s_waitcnt vmcnt(0)
	v_fmac_f32_e32 v25, v13, v14
	s_branch .LBB0_8
.LBB0_13:                               ;   in Loop: Header=BB0_6 Depth=2
	s_or_b64 exec, exec, s[44:45]
.LBB0_14:                               ;   in Loop: Header=BB0_6 Depth=2
	s_or_b64 exec, exec, s[6:7]
	v_mov_b32_e32 v8, s23
	v_add_co_u32_e32 v11, vcc, s22, v11
	v_addc_co_u32_e32 v12, vcc, v8, v12, vcc
	global_load_dword v8, v[11:12], off
	v_cmp_le_i32_e64 s[6:7], v0, v5
	v_cmp_gt_i32_e32 vcc, v0, v5
	s_waitcnt vmcnt(0)
	v_sub_f32_e32 v11, v8, v25
	s_and_saveexec_b64 s[44:45], vcc
	s_cbranch_execz .LBB0_18
; %bb.15:                               ;   in Loop: Header=BB0_6 Depth=2
	v_mov_b32_e32 v8, s17
	v_add_co_u32_e32 v12, vcc, s16, v9
	v_addc_co_u32_e32 v13, vcc, v8, v10, vcc
	global_load_dword v8, v[12:13], off
	v_mov_b32_e32 v12, 0
	s_waitcnt vmcnt(0)
	v_cmp_lg_f32_e32 vcc, 0, v8
	s_and_saveexec_b64 s[46:47], vcc
	s_cbranch_execz .LBB0_17
; %bb.16:                               ;   in Loop: Header=BB0_6 Depth=2
	v_div_scale_f32 v12, s[48:49], v8, v8, v11
	v_div_scale_f32 v13, vcc, v11, v8, v11
	v_rcp_f32_e32 v14, v12
	v_fma_f32 v15, -v12, v14, 1.0
	v_fmac_f32_e32 v14, v15, v14
	v_mul_f32_e32 v15, v13, v14
	v_fma_f32 v16, -v12, v15, v13
	v_fmac_f32_e32 v15, v16, v14
	v_fma_f32 v12, -v12, v15, v13
	v_div_fmas_f32 v12, v12, v14, v15
	v_div_fixup_f32 v12, v12, v8, v11
.LBB0_17:                               ;   in Loop: Header=BB0_6 Depth=2
	s_or_b64 exec, exec, s[46:47]
	v_mov_b32_e32 v11, v12
.LBB0_18:                               ;   in Loop: Header=BB0_6 Depth=2
	s_or_b64 exec, exec, s[44:45]
	v_cmp_class_f32_e64 s[46:47], v11, s64
	s_and_saveexec_b64 s[44:45], s[46:47]
	s_cbranch_execz .LBB0_5
; %bb.19:                               ;   in Loop: Header=BB0_6 Depth=2
	s_and_saveexec_b64 s[46:47], s[6:7]
	s_xor_b64 s[6:7], exec, s[46:47]
	s_cbranch_execz .LBB0_32
; %bb.20:                               ;   in Loop: Header=BB0_6 Depth=2
	v_cmp_ge_i32_e32 vcc, v0, v5
	s_and_saveexec_b64 s[46:47], vcc
	s_xor_b64 s[46:47], exec, s[46:47]
	s_cbranch_execz .LBB0_22
; %bb.21:                               ;   in Loop: Header=BB0_6 Depth=2
	v_mov_b32_e32 v1, s19
	v_add_co_u32_e32 v5, vcc, s18, v9
	v_addc_co_u32_e32 v6, vcc, v1, v10, vcc
	global_store_dword v[5:6], v11, off
                                        ; implicit-def: $vgpr7
                                        ; implicit-def: $vgpr24
                                        ; implicit-def: $vgpr11
                                        ; implicit-def: $vgpr6
.LBB0_22:                               ;   in Loop: Header=BB0_6 Depth=2
	s_andn2_saveexec_b64 s[46:47], s[46:47]
	s_cbranch_execz .LBB0_31
; %bb.23:                               ;   in Loop: Header=BB0_6 Depth=2
	v_cmp_lt_i32_e32 vcc, v7, v24
	s_and_saveexec_b64 s[48:49], vcc
	s_cbranch_execz .LBB0_30
; %bb.24:                               ;   in Loop: Header=BB0_6 Depth=2
	s_mov_b64 s[50:51], 0
                                        ; implicit-def: $sgpr52_sgpr53
                                        ; implicit-def: $sgpr56_sgpr57
                                        ; implicit-def: $sgpr54_sgpr55
	s_branch .LBB0_26
.LBB0_25:                               ;   in Loop: Header=BB0_26 Depth=3
	s_or_b64 exec, exec, s[58:59]
	s_and_b64 s[58:59], exec, s[56:57]
	s_or_b64 s[50:51], s[58:59], s[50:51]
	s_andn2_b64 s[52:53], s[52:53], exec
	s_and_b64 s[58:59], s[54:55], exec
	s_or_b64 s[52:53], s[52:53], s[58:59]
	s_andn2_b64 exec, exec, s[50:51]
	s_cbranch_execz .LBB0_28
.LBB0_26:                               ;   Parent Loop BB0_3 Depth=1
                                        ;     Parent Loop BB0_6 Depth=2
                                        ; =>    This Inner Loop Header: Depth=3
	v_add_u32_e32 v8, v6, v7
	v_ashrrev_i32_e32 v9, 31, v8
	v_lshlrev_b64 v[8:9], 2, v[8:9]
	v_mov_b32_e32 v1, s29
	v_add_co_u32_e32 v12, vcc, s28, v8
	v_addc_co_u32_e32 v13, vcc, v1, v9, vcc
	global_load_dword v1, v[12:13], off
	s_or_b64 s[54:55], s[54:55], exec
	s_or_b64 s[56:57], s[56:57], exec
	s_waitcnt vmcnt(0)
	v_subrev_u32_e32 v1, s62, v1
	v_cmp_ne_u32_e32 vcc, v1, v0
	s_and_saveexec_b64 s[58:59], vcc
	s_cbranch_execz .LBB0_25
; %bb.27:                               ;   in Loop: Header=BB0_26 Depth=3
	v_add_u32_e32 v7, 1, v7
	v_cmp_ge_i32_e32 vcc, v7, v24
	s_andn2_b64 s[56:57], s[56:57], exec
	s_and_b64 s[66:67], vcc, exec
	s_andn2_b64 s[54:55], s[54:55], exec
	s_or_b64 s[56:57], s[56:57], s[66:67]
	s_branch .LBB0_25
.LBB0_28:                               ;   in Loop: Header=BB0_6 Depth=2
	s_or_b64 exec, exec, s[50:51]
	s_and_saveexec_b64 s[50:51], s[52:53]
	s_xor_b64 s[50:51], exec, s[50:51]
	s_cbranch_execz .LBB0_30
; %bb.29:                               ;   in Loop: Header=BB0_6 Depth=2
	v_mov_b32_e32 v1, s39
	v_add_co_u32_e32 v5, vcc, s38, v8
	v_addc_co_u32_e32 v6, vcc, v1, v9, vcc
	global_store_dword v[5:6], v11, off
.LBB0_30:                               ;   in Loop: Header=BB0_6 Depth=2
	s_or_b64 exec, exec, s[48:49]
.LBB0_31:                               ;   in Loop: Header=BB0_6 Depth=2
	s_or_b64 exec, exec, s[46:47]
                                        ; implicit-def: $vgpr11
                                        ; implicit-def: $vgpr5_vgpr6
.LBB0_32:                               ;   in Loop: Header=BB0_6 Depth=2
	s_andn2_saveexec_b64 s[6:7], s[6:7]
	s_cbranch_execz .LBB0_5
; %bb.33:                               ;   in Loop: Header=BB0_6 Depth=2
	v_cmp_lt_i32_e32 vcc, v1, v17
	s_and_b64 exec, exec, vcc
	s_cbranch_execz .LBB0_5
; %bb.34:                               ;   in Loop: Header=BB0_6 Depth=2
	s_mov_b64 s[6:7], 0
                                        ; implicit-def: $sgpr46_sgpr47
                                        ; implicit-def: $sgpr50_sgpr51
                                        ; implicit-def: $sgpr48_sgpr49
	s_branch .LBB0_36
.LBB0_35:                               ;   in Loop: Header=BB0_36 Depth=3
	s_or_b64 exec, exec, s[52:53]
	s_and_b64 s[52:53], exec, s[50:51]
	s_or_b64 s[6:7], s[52:53], s[6:7]
	s_andn2_b64 s[46:47], s[46:47], exec
	s_and_b64 s[52:53], s[48:49], exec
	s_or_b64 s[46:47], s[46:47], s[52:53]
	s_andn2_b64 exec, exec, s[6:7]
	s_cbranch_execz .LBB0_38
.LBB0_36:                               ;   Parent Loop BB0_3 Depth=1
                                        ;     Parent Loop BB0_6 Depth=2
                                        ; =>    This Inner Loop Header: Depth=3
	v_add_u32_e32 v6, v3, v1
	v_ashrrev_i32_e32 v7, 31, v6
	v_lshlrev_b64 v[6:7], 2, v[6:7]
	v_mov_b32_e32 v9, s13
	v_add_co_u32_e32 v8, vcc, s12, v6
	v_addc_co_u32_e32 v9, vcc, v9, v7, vcc
	global_load_dword v8, v[8:9], off
	s_or_b64 s[48:49], s[48:49], exec
	s_or_b64 s[50:51], s[50:51], exec
	s_waitcnt vmcnt(0)
	v_subrev_u32_e32 v8, s61, v8
	v_cmp_ne_u32_e32 vcc, v8, v5
	s_and_saveexec_b64 s[52:53], vcc
	s_cbranch_execz .LBB0_35
; %bb.37:                               ;   in Loop: Header=BB0_36 Depth=3
	v_add_u32_e32 v1, 1, v1
	v_cmp_ge_i32_e32 vcc, v1, v17
	s_andn2_b64 s[50:51], s[50:51], exec
	s_and_b64 s[54:55], vcc, exec
	s_andn2_b64 s[48:49], s[48:49], exec
	s_or_b64 s[50:51], s[50:51], s[54:55]
	s_branch .LBB0_35
.LBB0_38:                               ;   in Loop: Header=BB0_6 Depth=2
	s_or_b64 exec, exec, s[6:7]
	s_and_saveexec_b64 s[6:7], s[46:47]
	s_xor_b64 s[6:7], exec, s[6:7]
	s_cbranch_execz .LBB0_5
; %bb.39:                               ;   in Loop: Header=BB0_6 Depth=2
	v_mov_b32_e32 v1, s37
	v_add_co_u32_e32 v5, vcc, s36, v6
	v_addc_co_u32_e32 v6, vcc, v1, v7, vcc
	global_store_dword v[5:6], v11, off
	s_branch .LBB0_5
.LBB0_40:                               ;   in Loop: Header=BB0_3 Depth=1
	s_or_b64 exec, exec, s[40:41]
	s_and_saveexec_b64 s[6:7], s[0:1]
	s_cbranch_execz .LBB0_2
; %bb.41:                               ;   in Loop: Header=BB0_3 Depth=1
	s_mov_b64 s[40:41], 0
	v_mov_b32_e32 v4, v0
	s_branch .LBB0_44
.LBB0_42:                               ;   in Loop: Header=BB0_44 Depth=2
	s_or_b64 exec, exec, s[44:45]
	v_mov_b32_e32 v1, s19
	v_add_co_u32_e32 v7, vcc, s18, v5
	v_addc_co_u32_e32 v8, vcc, v1, v6, vcc
	global_load_dword v1, v[7:8], off
	v_mov_b32_e32 v7, s17
	v_add_co_u32_e32 v5, vcc, s16, v5
	v_addc_co_u32_e32 v6, vcc, v7, v6, vcc
	s_waitcnt vmcnt(0)
	global_store_dword v[5:6], v1, off
.LBB0_43:                               ;   in Loop: Header=BB0_44 Depth=2
	s_or_b64 exec, exec, s[42:43]
	v_add_u32_e32 v4, 0x400, v4
	v_cmp_le_u32_e32 vcc, s63, v4
	s_or_b64 s[40:41], vcc, s[40:41]
	s_andn2_b64 exec, exec, s[40:41]
	s_cbranch_execz .LBB0_2
.LBB0_44:                               ;   Parent Loop BB0_3 Depth=1
                                        ; =>  This Loop Header: Depth=2
                                        ;       Child Loop BB0_47 Depth 3
                                        ;       Child Loop BB0_50 Depth 3
	v_cmp_gt_i32_e32 vcc, s35, v4
	s_and_saveexec_b64 s[42:43], vcc
	s_cbranch_execz .LBB0_43
; %bb.45:                               ;   in Loop: Header=BB0_44 Depth=2
	v_ashrrev_i32_e32 v5, 31, v4
	v_lshlrev_b64 v[5:6], 2, v[4:5]
	v_mov_b32_e32 v1, s9
	v_add_co_u32_e32 v7, vcc, s8, v5
	v_addc_co_u32_e32 v8, vcc, v1, v6, vcc
	global_load_dword v7, v[7:8], off
	v_mov_b32_e32 v1, s11
	v_add_co_u32_e32 v8, vcc, s10, v5
	v_addc_co_u32_e32 v9, vcc, v1, v6, vcc
	global_load_dword v1, v[8:9], off
	s_waitcnt vmcnt(0)
	v_cmp_lt_i32_e32 vcc, v7, v1
	s_and_saveexec_b64 s[44:45], vcc
	s_cbranch_execz .LBB0_48
; %bb.46:                               ;   in Loop: Header=BB0_44 Depth=2
	v_subrev_u32_e32 v7, s61, v7
	v_ashrrev_i32_e32 v8, 31, v7
	v_lshlrev_b64 v[10:11], 2, v[7:8]
	v_mov_b32_e32 v9, s37
	v_add_co_u32_e32 v8, vcc, s36, v10
	v_addc_co_u32_e32 v9, vcc, v9, v11, vcc
	v_mov_b32_e32 v12, s15
	v_add_co_u32_e32 v10, vcc, s14, v10
	v_subrev_u32_e32 v1, s61, v1
	v_addc_co_u32_e32 v11, vcc, v12, v11, vcc
	s_mov_b64 s[46:47], 0
.LBB0_47:                               ;   Parent Loop BB0_3 Depth=1
                                        ;     Parent Loop BB0_44 Depth=2
                                        ; =>    This Inner Loop Header: Depth=3
	global_load_dword v12, v[8:9], off
	v_add_co_u32_e32 v8, vcc, 4, v8
	v_add_u32_e32 v7, 1, v7
	v_addc_co_u32_e32 v9, vcc, 0, v9, vcc
	v_cmp_ge_i32_e32 vcc, v7, v1
	s_or_b64 s[46:47], vcc, s[46:47]
	s_waitcnt vmcnt(0)
	global_store_dword v[10:11], v12, off
	v_add_co_u32_e32 v10, vcc, 4, v10
	v_addc_co_u32_e32 v11, vcc, 0, v11, vcc
	s_andn2_b64 exec, exec, s[46:47]
	s_cbranch_execnz .LBB0_47
.LBB0_48:                               ;   in Loop: Header=BB0_44 Depth=2
	s_or_b64 exec, exec, s[44:45]
	v_mov_b32_e32 v1, s25
	v_add_co_u32_e32 v7, vcc, s24, v5
	v_addc_co_u32_e32 v8, vcc, v1, v6, vcc
	global_load_dword v7, v[7:8], off
	v_mov_b32_e32 v1, s27
	v_add_co_u32_e32 v8, vcc, s26, v5
	v_addc_co_u32_e32 v9, vcc, v1, v6, vcc
	global_load_dword v1, v[8:9], off
	s_waitcnt vmcnt(0)
	v_cmp_lt_i32_e32 vcc, v7, v1
	s_and_saveexec_b64 s[44:45], vcc
	s_cbranch_execz .LBB0_42
; %bb.49:                               ;   in Loop: Header=BB0_44 Depth=2
	v_subrev_u32_e32 v7, s62, v7
	v_ashrrev_i32_e32 v8, 31, v7
	v_lshlrev_b64 v[10:11], 2, v[7:8]
	v_mov_b32_e32 v9, s39
	v_add_co_u32_e32 v8, vcc, s38, v10
	v_addc_co_u32_e32 v9, vcc, v9, v11, vcc
	v_mov_b32_e32 v12, s31
	v_add_co_u32_e32 v10, vcc, s30, v10
	v_subrev_u32_e32 v1, s62, v1
	v_addc_co_u32_e32 v11, vcc, v12, v11, vcc
	s_mov_b64 s[46:47], 0
.LBB0_50:                               ;   Parent Loop BB0_3 Depth=1
                                        ;     Parent Loop BB0_44 Depth=2
                                        ; =>    This Inner Loop Header: Depth=3
	global_load_dword v12, v[8:9], off
	v_add_co_u32_e32 v8, vcc, 4, v8
	v_add_u32_e32 v7, 1, v7
	v_addc_co_u32_e32 v9, vcc, 0, v9, vcc
	v_cmp_ge_i32_e32 vcc, v7, v1
	s_or_b64 s[46:47], vcc, s[46:47]
	s_waitcnt vmcnt(0)
	global_store_dword v[10:11], v12, off
	v_add_co_u32_e32 v10, vcc, 4, v10
	v_addc_co_u32_e32 v11, vcc, 0, v11, vcc
	s_andn2_b64 exec, exec, s[46:47]
	s_cbranch_execnz .LBB0_50
	s_branch .LBB0_42
.LBB0_51:
	s_endpgm
	.section	.rodata,"a",@progbits
	.p2align	6, 0x0
	.amdhsa_kernel _ZN9rocsparseL14kernel_freerunILi1024ELi1EfiiEEvT3_S1_T2_PKS2_S4_PKS1_PKT1_21rocsparse_index_base_S4_S4_S6_PS7_SB_SA_S4_S4_S6_SB_SB_SA_SB_SB_
		.amdhsa_group_segment_fixed_size 0
		.amdhsa_private_segment_fixed_size 0
		.amdhsa_kernarg_size 168
		.amdhsa_user_sgpr_count 6
		.amdhsa_user_sgpr_private_segment_buffer 1
		.amdhsa_user_sgpr_dispatch_ptr 0
		.amdhsa_user_sgpr_queue_ptr 0
		.amdhsa_user_sgpr_kernarg_segment_ptr 1
		.amdhsa_user_sgpr_dispatch_id 0
		.amdhsa_user_sgpr_flat_scratch_init 0
		.amdhsa_user_sgpr_private_segment_size 0
		.amdhsa_uses_dynamic_stack 0
		.amdhsa_system_sgpr_private_segment_wavefront_offset 0
		.amdhsa_system_sgpr_workgroup_id_x 1
		.amdhsa_system_sgpr_workgroup_id_y 0
		.amdhsa_system_sgpr_workgroup_id_z 0
		.amdhsa_system_sgpr_workgroup_info 0
		.amdhsa_system_vgpr_workitem_id 0
		.amdhsa_next_free_vgpr 33
		.amdhsa_next_free_sgpr 68
		.amdhsa_reserve_vcc 1
		.amdhsa_reserve_flat_scratch 0
		.amdhsa_float_round_mode_32 0
		.amdhsa_float_round_mode_16_64 0
		.amdhsa_float_denorm_mode_32 3
		.amdhsa_float_denorm_mode_16_64 3
		.amdhsa_dx10_clamp 1
		.amdhsa_ieee_mode 1
		.amdhsa_fp16_overflow 0
		.amdhsa_exception_fp_ieee_invalid_op 0
		.amdhsa_exception_fp_denorm_src 0
		.amdhsa_exception_fp_ieee_div_zero 0
		.amdhsa_exception_fp_ieee_overflow 0
		.amdhsa_exception_fp_ieee_underflow 0
		.amdhsa_exception_fp_ieee_inexact 0
		.amdhsa_exception_int_div_zero 0
	.end_amdhsa_kernel
	.section	.text._ZN9rocsparseL14kernel_freerunILi1024ELi1EfiiEEvT3_S1_T2_PKS2_S4_PKS1_PKT1_21rocsparse_index_base_S4_S4_S6_PS7_SB_SA_S4_S4_S6_SB_SB_SA_SB_SB_,"axG",@progbits,_ZN9rocsparseL14kernel_freerunILi1024ELi1EfiiEEvT3_S1_T2_PKS2_S4_PKS1_PKT1_21rocsparse_index_base_S4_S4_S6_PS7_SB_SA_S4_S4_S6_SB_SB_SA_SB_SB_,comdat
.Lfunc_end0:
	.size	_ZN9rocsparseL14kernel_freerunILi1024ELi1EfiiEEvT3_S1_T2_PKS2_S4_PKS1_PKT1_21rocsparse_index_base_S4_S4_S6_PS7_SB_SA_S4_S4_S6_SB_SB_SA_SB_SB_, .Lfunc_end0-_ZN9rocsparseL14kernel_freerunILi1024ELi1EfiiEEvT3_S1_T2_PKS2_S4_PKS1_PKT1_21rocsparse_index_base_S4_S4_S6_PS7_SB_SA_S4_S4_S6_SB_SB_SA_SB_SB_
                                        ; -- End function
	.set _ZN9rocsparseL14kernel_freerunILi1024ELi1EfiiEEvT3_S1_T2_PKS2_S4_PKS1_PKT1_21rocsparse_index_base_S4_S4_S6_PS7_SB_SA_S4_S4_S6_SB_SB_SA_SB_SB_.num_vgpr, 33
	.set _ZN9rocsparseL14kernel_freerunILi1024ELi1EfiiEEvT3_S1_T2_PKS2_S4_PKS1_PKT1_21rocsparse_index_base_S4_S4_S6_PS7_SB_SA_S4_S4_S6_SB_SB_SA_SB_SB_.num_agpr, 0
	.set _ZN9rocsparseL14kernel_freerunILi1024ELi1EfiiEEvT3_S1_T2_PKS2_S4_PKS1_PKT1_21rocsparse_index_base_S4_S4_S6_PS7_SB_SA_S4_S4_S6_SB_SB_SA_SB_SB_.numbered_sgpr, 68
	.set _ZN9rocsparseL14kernel_freerunILi1024ELi1EfiiEEvT3_S1_T2_PKS2_S4_PKS1_PKT1_21rocsparse_index_base_S4_S4_S6_PS7_SB_SA_S4_S4_S6_SB_SB_SA_SB_SB_.num_named_barrier, 0
	.set _ZN9rocsparseL14kernel_freerunILi1024ELi1EfiiEEvT3_S1_T2_PKS2_S4_PKS1_PKT1_21rocsparse_index_base_S4_S4_S6_PS7_SB_SA_S4_S4_S6_SB_SB_SA_SB_SB_.private_seg_size, 0
	.set _ZN9rocsparseL14kernel_freerunILi1024ELi1EfiiEEvT3_S1_T2_PKS2_S4_PKS1_PKT1_21rocsparse_index_base_S4_S4_S6_PS7_SB_SA_S4_S4_S6_SB_SB_SA_SB_SB_.uses_vcc, 1
	.set _ZN9rocsparseL14kernel_freerunILi1024ELi1EfiiEEvT3_S1_T2_PKS2_S4_PKS1_PKT1_21rocsparse_index_base_S4_S4_S6_PS7_SB_SA_S4_S4_S6_SB_SB_SA_SB_SB_.uses_flat_scratch, 0
	.set _ZN9rocsparseL14kernel_freerunILi1024ELi1EfiiEEvT3_S1_T2_PKS2_S4_PKS1_PKT1_21rocsparse_index_base_S4_S4_S6_PS7_SB_SA_S4_S4_S6_SB_SB_SA_SB_SB_.has_dyn_sized_stack, 0
	.set _ZN9rocsparseL14kernel_freerunILi1024ELi1EfiiEEvT3_S1_T2_PKS2_S4_PKS1_PKT1_21rocsparse_index_base_S4_S4_S6_PS7_SB_SA_S4_S4_S6_SB_SB_SA_SB_SB_.has_recursion, 0
	.set _ZN9rocsparseL14kernel_freerunILi1024ELi1EfiiEEvT3_S1_T2_PKS2_S4_PKS1_PKT1_21rocsparse_index_base_S4_S4_S6_PS7_SB_SA_S4_S4_S6_SB_SB_SA_SB_SB_.has_indirect_call, 0
	.section	.AMDGPU.csdata,"",@progbits
; Kernel info:
; codeLenInByte = 1852
; TotalNumSgprs: 72
; NumVgprs: 33
; ScratchSize: 0
; MemoryBound: 0
; FloatMode: 240
; IeeeMode: 1
; LDSByteSize: 0 bytes/workgroup (compile time only)
; SGPRBlocks: 8
; VGPRBlocks: 8
; NumSGPRsForWavesPerEU: 72
; NumVGPRsForWavesPerEU: 33
; Occupancy: 7
; WaveLimiterHint : 1
; COMPUTE_PGM_RSRC2:SCRATCH_EN: 0
; COMPUTE_PGM_RSRC2:USER_SGPR: 6
; COMPUTE_PGM_RSRC2:TRAP_HANDLER: 0
; COMPUTE_PGM_RSRC2:TGID_X_EN: 1
; COMPUTE_PGM_RSRC2:TGID_Y_EN: 0
; COMPUTE_PGM_RSRC2:TGID_Z_EN: 0
; COMPUTE_PGM_RSRC2:TIDIG_COMP_CNT: 0
	.section	.text._ZN9rocsparseL14kernel_freerunILi1024ELi2EfiiEEvT3_S1_T2_PKS2_S4_PKS1_PKT1_21rocsparse_index_base_S4_S4_S6_PS7_SB_SA_S4_S4_S6_SB_SB_SA_SB_SB_,"axG",@progbits,_ZN9rocsparseL14kernel_freerunILi1024ELi2EfiiEEvT3_S1_T2_PKS2_S4_PKS1_PKT1_21rocsparse_index_base_S4_S4_S6_PS7_SB_SA_S4_S4_S6_SB_SB_SA_SB_SB_,comdat
	.globl	_ZN9rocsparseL14kernel_freerunILi1024ELi2EfiiEEvT3_S1_T2_PKS2_S4_PKS1_PKT1_21rocsparse_index_base_S4_S4_S6_PS7_SB_SA_S4_S4_S6_SB_SB_SA_SB_SB_ ; -- Begin function _ZN9rocsparseL14kernel_freerunILi1024ELi2EfiiEEvT3_S1_T2_PKS2_S4_PKS1_PKT1_21rocsparse_index_base_S4_S4_S6_PS7_SB_SA_S4_S4_S6_SB_SB_SA_SB_SB_
	.p2align	8
	.type	_ZN9rocsparseL14kernel_freerunILi1024ELi2EfiiEEvT3_S1_T2_PKS2_S4_PKS1_PKT1_21rocsparse_index_base_S4_S4_S6_PS7_SB_SA_S4_S4_S6_SB_SB_SA_SB_SB_,@function
_ZN9rocsparseL14kernel_freerunILi1024ELi2EfiiEEvT3_S1_T2_PKS2_S4_PKS1_PKT1_21rocsparse_index_base_S4_S4_S6_PS7_SB_SA_S4_S4_S6_SB_SB_SA_SB_SB_: ; @_ZN9rocsparseL14kernel_freerunILi1024ELi2EfiiEEvT3_S1_T2_PKS2_S4_PKS1_PKT1_21rocsparse_index_base_S4_S4_S6_PS7_SB_SA_S4_S4_S6_SB_SB_SA_SB_SB_
; %bb.0:
	s_load_dwordx2 s[14:15], s[4:5], 0x0
	v_lshrrev_b32_e32 v1, 1, v0
	s_lshl_b32 s69, s6, 10
	v_or_b32_e32 v1, s69, v1
	s_mov_b32 s33, 0
	s_waitcnt lgkmcnt(0)
	s_cmp_gt_i32 s14, 0
	v_cmp_gt_i32_e32 vcc, s15, v1
	s_cselect_b64 s[0:1], -1, 0
	s_and_b64 s[0:1], vcc, s[0:1]
	s_and_saveexec_b64 s[2:3], s[0:1]
	s_cbranch_execz .LBB1_90
; %bb.1:
	s_load_dwordx8 s[16:23], s[4:5], 0x38
	v_ashrrev_i32_e32 v2, 31, v1
	v_lshlrev_b64 v[8:9], 2, v[1:2]
	s_load_dwordx8 s[24:31], s[4:5], 0x10
	s_addk_i32 s69, 0x400
	s_waitcnt lgkmcnt(0)
	v_mov_b32_e32 v3, s17
	v_add_co_u32_e32 v2, vcc, s16, v8
	v_addc_co_u32_e32 v3, vcc, v3, v9, vcc
	v_mov_b32_e32 v5, s19
	v_add_co_u32_e32 v4, vcc, s18, v8
	v_addc_co_u32_e32 v5, vcc, v5, v9, vcc
	global_load_dword v11, v[2:3], off
	v_mov_b32_e32 v7, s25
	v_add_co_u32_e32 v6, vcc, s24, v8
	v_addc_co_u32_e32 v7, vcc, v7, v9, vcc
	v_mov_b32_e32 v10, s27
	v_add_co_u32_e32 v8, vcc, s26, v8
	v_addc_co_u32_e32 v9, vcc, v10, v9, vcc
	global_load_dword v12, v[4:5], off
	global_load_dword v13, v[6:7], off
	global_load_dword v14, v[8:9], off
	s_load_dword s66, s[4:5], 0x60
	s_load_dwordx2 s[34:35], s[4:5], 0x58
	s_load_dwordx4 s[24:27], s[4:5], 0x98
	s_load_dwordx8 s[36:43], s[4:5], 0x68
	s_load_dword s67, s[4:5], 0x30
	s_load_dwordx2 s[44:45], s[4:5], 0x88
	s_load_dword s68, s[4:5], 0x90
	v_and_b32_e32 v10, 1, v0
	v_cmp_eq_u32_e64 s[2:3], 0, v10
	s_waitcnt lgkmcnt(0)
	v_subrev_u32_e32 v28, s67, v10
	v_subrev_u32_e32 v29, s66, v10
	;; [unrolled: 1-line block ×3, first 2 shown]
	v_mov_b32_e32 v15, s21
	v_or_b32_e32 v0, 0x200, v1
	v_mov_b32_e32 v16, s23
	s_movk_i32 s70, 0x1f8
	v_cmp_gt_u32_e64 s[0:1], s69, v1
	v_cmp_gt_i32_e64 s[4:5], s15, v0
	s_waitcnt vmcnt(3)
	v_subrev_u32_e32 v10, s66, v11
	s_waitcnt vmcnt(2)
	v_sub_u32_e32 v31, v12, v11
	v_ashrrev_i32_e32 v11, 31, v10
	v_lshlrev_b64 v[11:12], 2, v[10:11]
	s_waitcnt vmcnt(1)
	v_add_u32_e32 v32, v28, v13
	v_add_co_u32_e32 v34, vcc, s20, v11
	v_addc_co_u32_e32 v35, vcc, v15, v12, vcc
	s_waitcnt vmcnt(0)
	v_subrev_u32_e32 v33, s67, v14
	v_add_co_u32_e32 v36, vcc, s22, v11
	v_cmp_lt_i32_e64 s[6:7], v32, v33
	v_cmp_lt_i32_e64 s[8:9], 0, v31
	v_addc_co_u32_e32 v37, vcc, v16, v12, vcc
	v_mov_b32_e32 v12, 0
	s_branch .LBB1_3
.LBB1_2:                                ;   in Loop: Header=BB1_3 Depth=1
	s_or_b64 exec, exec, s[10:11]
	s_add_i32 s33, s33, 1
	s_cmp_eq_u32 s33, s14
	s_cbranch_scc1 .LBB1_90
.LBB1_3:                                ; =>This Loop Header: Depth=1
                                        ;     Child Loop BB1_6 Depth 2
                                        ;       Child Loop BB1_10 Depth 3
                                        ;       Child Loop BB1_26 Depth 3
	;; [unrolled: 1-line block ×3, first 2 shown]
                                        ;     Child Loop BB1_44 Depth 2
                                        ;       Child Loop BB1_48 Depth 3
                                        ;       Child Loop BB1_64 Depth 3
	;; [unrolled: 1-line block ×3, first 2 shown]
                                        ;     Child Loop BB1_81 Depth 2
                                        ;       Child Loop BB1_84 Depth 3
                                        ;       Child Loop BB1_87 Depth 3
	s_and_saveexec_b64 s[12:13], s[6:7]
	s_cbranch_execz .LBB1_40
; %bb.4:                                ;   in Loop: Header=BB1_3 Depth=1
	s_mov_b64 s[46:47], 0
	v_mov_b32_e32 v13, v32
	s_branch .LBB1_6
.LBB1_5:                                ;   in Loop: Header=BB1_6 Depth=2
	s_or_b64 exec, exec, s[48:49]
	v_add_u32_e32 v13, 2, v13
	v_cmp_ge_i32_e32 vcc, v13, v33
	s_or_b64 s[46:47], vcc, s[46:47]
	s_andn2_b64 exec, exec, s[46:47]
	s_cbranch_execz .LBB1_40
.LBB1_6:                                ;   Parent Loop BB1_3 Depth=1
                                        ; =>  This Loop Header: Depth=2
                                        ;       Child Loop BB1_10 Depth 3
                                        ;       Child Loop BB1_26 Depth 3
	;; [unrolled: 1-line block ×3, first 2 shown]
	v_ashrrev_i32_e32 v14, 31, v13
	v_lshlrev_b64 v[20:21], 2, v[13:14]
	v_mov_b32_e32 v11, s29
	v_add_co_u32_e32 v14, vcc, s28, v20
	v_addc_co_u32_e32 v15, vcc, v11, v21, vcc
	global_load_dword v11, v[14:15], off
	v_mov_b32_e32 v16, s37
	v_mov_b32_e32 v17, s39
	;; [unrolled: 1-line block ×3, first 2 shown]
	s_waitcnt vmcnt(0)
	v_subrev_u32_e32 v14, s67, v11
	v_ashrrev_i32_e32 v15, 31, v14
	v_lshlrev_b64 v[18:19], 2, v[14:15]
	v_add_co_u32_e32 v15, vcc, s36, v18
	v_addc_co_u32_e32 v16, vcc, v16, v19, vcc
	v_add_co_u32_e32 v22, vcc, s38, v18
	v_addc_co_u32_e32 v23, vcc, v17, v19, vcc
	global_load_dword v11, v[15:16], off
	global_load_dword v17, v[22:23], off
	v_mov_b32_e32 v16, 0
	s_waitcnt vmcnt(1)
	v_subrev_u32_e32 v15, s68, v11
	s_waitcnt vmcnt(0)
	v_sub_u32_e32 v26, v17, v11
	v_mov_b32_e32 v11, v16
	s_and_saveexec_b64 s[10:11], s[8:9]
	s_cbranch_execz .LBB1_14
; %bb.7:                                ;   in Loop: Header=BB1_6 Depth=2
	v_ashrrev_i32_e32 v16, 31, v15
	v_lshlrev_b64 v[16:17], 2, v[15:16]
	v_mov_b32_e32 v11, s41
	v_add_co_u32_e32 v38, vcc, s40, v16
	v_addc_co_u32_e32 v39, vcc, v11, v17, vcc
	v_mov_b32_e32 v11, s43
	v_add_co_u32_e32 v40, vcc, s42, v16
	v_addc_co_u32_e32 v41, vcc, v11, v17, vcc
	v_mov_b32_e32 v11, 0
	v_mov_b32_e32 v27, 0
	s_mov_b64 s[48:49], 0
	v_mov_b32_e32 v16, v11
                                        ; implicit-def: $sgpr50_sgpr51
	s_branch .LBB1_10
.LBB1_8:                                ;   in Loop: Header=BB1_10 Depth=3
	s_or_b64 exec, exec, s[54:55]
	v_cmp_le_i32_e32 vcc, v17, v42
	v_addc_co_u32_e32 v11, vcc, 0, v11, vcc
	v_cmp_ge_i32_e32 vcc, v17, v42
	v_addc_co_u32_e32 v16, vcc, 0, v16, vcc
	v_cmp_ge_i32_e32 vcc, v11, v31
	s_andn2_b64 s[50:51], s[50:51], exec
	s_and_b64 s[54:55], vcc, exec
	s_or_b64 s[50:51], s[50:51], s[54:55]
.LBB1_9:                                ;   in Loop: Header=BB1_10 Depth=3
	s_or_b64 exec, exec, s[52:53]
	s_and_b64 s[52:53], exec, s[50:51]
	s_or_b64 s[48:49], s[52:53], s[48:49]
	s_andn2_b64 exec, exec, s[48:49]
	s_cbranch_execz .LBB1_13
.LBB1_10:                               ;   Parent Loop BB1_3 Depth=1
                                        ;     Parent Loop BB1_6 Depth=2
                                        ; =>    This Inner Loop Header: Depth=3
	v_cmp_lt_i32_e32 vcc, v16, v26
	s_or_b64 s[50:51], s[50:51], exec
	s_and_saveexec_b64 s[52:53], vcc
	s_cbranch_execz .LBB1_9
; %bb.11:                               ;   in Loop: Header=BB1_10 Depth=3
	v_lshlrev_b64 v[22:23], 2, v[11:12]
	v_mov_b32_e32 v17, v12
	v_add_co_u32_e32 v24, vcc, v34, v22
	v_addc_co_u32_e32 v25, vcc, v35, v23, vcc
	global_load_dword v44, v[24:25], off
	v_lshlrev_b64 v[24:25], 2, v[16:17]
	v_add_co_u32_e32 v42, vcc, v38, v24
	v_addc_co_u32_e32 v43, vcc, v39, v25, vcc
	global_load_dword v42, v[42:43], off
	s_waitcnt vmcnt(1)
	v_subrev_u32_e32 v17, s66, v44
	s_waitcnt vmcnt(0)
	v_subrev_u32_e32 v42, s68, v42
	v_cmp_eq_u32_e32 vcc, v17, v42
	s_and_saveexec_b64 s[54:55], vcc
	s_cbranch_execz .LBB1_8
; %bb.12:                               ;   in Loop: Header=BB1_10 Depth=3
	v_add_co_u32_e32 v22, vcc, v36, v22
	v_addc_co_u32_e32 v23, vcc, v37, v23, vcc
	v_add_co_u32_e32 v24, vcc, v40, v24
	v_addc_co_u32_e32 v25, vcc, v41, v25, vcc
	global_load_dword v22, v[22:23], off
	s_nop 0
	global_load_dword v23, v[24:25], off
	s_waitcnt vmcnt(0)
	v_fmac_f32_e32 v27, v22, v23
	s_branch .LBB1_8
.LBB1_13:                               ;   in Loop: Header=BB1_6 Depth=2
	s_or_b64 exec, exec, s[48:49]
.LBB1_14:                               ;   in Loop: Header=BB1_6 Depth=2
	s_or_b64 exec, exec, s[10:11]
	v_mov_b32_e32 v17, s31
	v_add_co_u32_e32 v20, vcc, s30, v20
	v_addc_co_u32_e32 v21, vcc, v17, v21, vcc
	global_load_dword v17, v[20:21], off
	v_cmp_le_i32_e64 s[10:11], v1, v14
	v_cmp_gt_i32_e32 vcc, v1, v14
	s_waitcnt vmcnt(0)
	v_sub_f32_e32 v20, v17, v27
	s_and_saveexec_b64 s[48:49], vcc
	s_cbranch_execz .LBB1_18
; %bb.15:                               ;   in Loop: Header=BB1_6 Depth=2
	v_mov_b32_e32 v17, s25
	v_add_co_u32_e32 v21, vcc, s24, v18
	v_addc_co_u32_e32 v22, vcc, v17, v19, vcc
	global_load_dword v17, v[21:22], off
	v_mov_b32_e32 v21, 0
	s_waitcnt vmcnt(0)
	v_cmp_lg_f32_e32 vcc, 0, v17
	s_and_saveexec_b64 s[50:51], vcc
	s_cbranch_execz .LBB1_17
; %bb.16:                               ;   in Loop: Header=BB1_6 Depth=2
	v_div_scale_f32 v21, s[52:53], v17, v17, v20
	v_div_scale_f32 v22, vcc, v20, v17, v20
	v_rcp_f32_e32 v23, v21
	v_fma_f32 v24, -v21, v23, 1.0
	v_fmac_f32_e32 v23, v24, v23
	v_mul_f32_e32 v24, v22, v23
	v_fma_f32 v25, -v21, v24, v22
	v_fmac_f32_e32 v24, v25, v23
	v_fma_f32 v21, -v21, v24, v22
	v_div_fmas_f32 v21, v21, v23, v24
	v_div_fixup_f32 v21, v21, v17, v20
.LBB1_17:                               ;   in Loop: Header=BB1_6 Depth=2
	s_or_b64 exec, exec, s[50:51]
	v_mov_b32_e32 v20, v21
.LBB1_18:                               ;   in Loop: Header=BB1_6 Depth=2
	s_or_b64 exec, exec, s[48:49]
	v_cmp_class_f32_e64 s[50:51], v20, s70
	s_and_saveexec_b64 s[48:49], s[50:51]
	s_cbranch_execz .LBB1_5
; %bb.19:                               ;   in Loop: Header=BB1_6 Depth=2
	s_and_saveexec_b64 s[50:51], s[10:11]
	s_xor_b64 s[10:11], exec, s[50:51]
	s_cbranch_execz .LBB1_32
; %bb.20:                               ;   in Loop: Header=BB1_6 Depth=2
	v_cmp_ge_i32_e32 vcc, v1, v14
	s_and_saveexec_b64 s[50:51], vcc
	s_xor_b64 s[50:51], exec, s[50:51]
	s_cbranch_execz .LBB1_22
; %bb.21:                               ;   in Loop: Header=BB1_6 Depth=2
	v_mov_b32_e32 v11, s27
	v_add_co_u32_e32 v14, vcc, s26, v18
	v_addc_co_u32_e32 v15, vcc, v11, v19, vcc
	global_store_dword v[14:15], v20, off
                                        ; implicit-def: $vgpr16
                                        ; implicit-def: $vgpr26
                                        ; implicit-def: $vgpr20
                                        ; implicit-def: $vgpr15
.LBB1_22:                               ;   in Loop: Header=BB1_6 Depth=2
	s_andn2_saveexec_b64 s[50:51], s[50:51]
	s_cbranch_execz .LBB1_31
; %bb.23:                               ;   in Loop: Header=BB1_6 Depth=2
	v_cmp_lt_i32_e32 vcc, v16, v26
	s_and_saveexec_b64 s[52:53], vcc
	s_cbranch_execz .LBB1_30
; %bb.24:                               ;   in Loop: Header=BB1_6 Depth=2
	s_mov_b64 s[54:55], 0
                                        ; implicit-def: $sgpr56_sgpr57
                                        ; implicit-def: $sgpr60_sgpr61
                                        ; implicit-def: $sgpr58_sgpr59
	s_branch .LBB1_26
.LBB1_25:                               ;   in Loop: Header=BB1_26 Depth=3
	s_or_b64 exec, exec, s[62:63]
	s_and_b64 s[62:63], exec, s[60:61]
	s_or_b64 s[54:55], s[62:63], s[54:55]
	s_andn2_b64 s[56:57], s[56:57], exec
	s_and_b64 s[62:63], s[58:59], exec
	s_or_b64 s[56:57], s[56:57], s[62:63]
	s_andn2_b64 exec, exec, s[54:55]
	s_cbranch_execz .LBB1_28
.LBB1_26:                               ;   Parent Loop BB1_3 Depth=1
                                        ;     Parent Loop BB1_6 Depth=2
                                        ; =>    This Inner Loop Header: Depth=3
	v_add_u32_e32 v17, v15, v16
	v_ashrrev_i32_e32 v18, 31, v17
	v_lshlrev_b64 v[17:18], 2, v[17:18]
	v_mov_b32_e32 v11, s41
	v_add_co_u32_e32 v21, vcc, s40, v17
	v_addc_co_u32_e32 v22, vcc, v11, v18, vcc
	global_load_dword v11, v[21:22], off
	s_or_b64 s[58:59], s[58:59], exec
	s_or_b64 s[60:61], s[60:61], exec
	s_waitcnt vmcnt(0)
	v_subrev_u32_e32 v11, s68, v11
	v_cmp_ne_u32_e32 vcc, v11, v1
	s_and_saveexec_b64 s[62:63], vcc
	s_cbranch_execz .LBB1_25
; %bb.27:                               ;   in Loop: Header=BB1_26 Depth=3
	v_add_u32_e32 v16, 1, v16
	v_cmp_ge_i32_e32 vcc, v16, v26
	s_andn2_b64 s[60:61], s[60:61], exec
	s_and_b64 s[64:65], vcc, exec
	s_andn2_b64 s[58:59], s[58:59], exec
	s_or_b64 s[60:61], s[60:61], s[64:65]
	s_branch .LBB1_25
.LBB1_28:                               ;   in Loop: Header=BB1_6 Depth=2
	s_or_b64 exec, exec, s[54:55]
	s_and_saveexec_b64 s[54:55], s[56:57]
	s_xor_b64 s[54:55], exec, s[54:55]
	s_cbranch_execz .LBB1_30
; %bb.29:                               ;   in Loop: Header=BB1_6 Depth=2
	v_mov_b32_e32 v11, s45
	v_add_co_u32_e32 v14, vcc, s44, v17
	v_addc_co_u32_e32 v15, vcc, v11, v18, vcc
	global_store_dword v[14:15], v20, off
.LBB1_30:                               ;   in Loop: Header=BB1_6 Depth=2
	s_or_b64 exec, exec, s[52:53]
.LBB1_31:                               ;   in Loop: Header=BB1_6 Depth=2
	s_or_b64 exec, exec, s[50:51]
                                        ; implicit-def: $vgpr20
                                        ; implicit-def: $vgpr14_vgpr15
.LBB1_32:                               ;   in Loop: Header=BB1_6 Depth=2
	s_andn2_saveexec_b64 s[10:11], s[10:11]
	s_cbranch_execz .LBB1_5
; %bb.33:                               ;   in Loop: Header=BB1_6 Depth=2
	v_cmp_lt_i32_e32 vcc, v11, v31
	s_and_b64 exec, exec, vcc
	s_cbranch_execz .LBB1_5
; %bb.34:                               ;   in Loop: Header=BB1_6 Depth=2
	s_mov_b64 s[10:11], 0
                                        ; implicit-def: $sgpr50_sgpr51
                                        ; implicit-def: $sgpr54_sgpr55
                                        ; implicit-def: $sgpr52_sgpr53
	s_branch .LBB1_36
.LBB1_35:                               ;   in Loop: Header=BB1_36 Depth=3
	s_or_b64 exec, exec, s[56:57]
	s_and_b64 s[56:57], exec, s[54:55]
	s_or_b64 s[10:11], s[56:57], s[10:11]
	s_andn2_b64 s[50:51], s[50:51], exec
	s_and_b64 s[56:57], s[52:53], exec
	s_or_b64 s[50:51], s[50:51], s[56:57]
	s_andn2_b64 exec, exec, s[10:11]
	s_cbranch_execz .LBB1_38
.LBB1_36:                               ;   Parent Loop BB1_3 Depth=1
                                        ;     Parent Loop BB1_6 Depth=2
                                        ; =>    This Inner Loop Header: Depth=3
	v_add_u32_e32 v15, v10, v11
	v_ashrrev_i32_e32 v16, 31, v15
	v_lshlrev_b64 v[15:16], 2, v[15:16]
	v_mov_b32_e32 v18, s21
	v_add_co_u32_e32 v17, vcc, s20, v15
	v_addc_co_u32_e32 v18, vcc, v18, v16, vcc
	global_load_dword v17, v[17:18], off
	s_or_b64 s[52:53], s[52:53], exec
	s_or_b64 s[54:55], s[54:55], exec
	s_waitcnt vmcnt(0)
	v_subrev_u32_e32 v17, s66, v17
	v_cmp_ne_u32_e32 vcc, v17, v14
	s_and_saveexec_b64 s[56:57], vcc
	s_cbranch_execz .LBB1_35
; %bb.37:                               ;   in Loop: Header=BB1_36 Depth=3
	v_add_u32_e32 v11, 1, v11
	v_cmp_ge_i32_e32 vcc, v11, v31
	s_andn2_b64 s[54:55], s[54:55], exec
	s_and_b64 s[58:59], vcc, exec
	s_andn2_b64 s[52:53], s[52:53], exec
	s_or_b64 s[54:55], s[54:55], s[58:59]
	s_branch .LBB1_35
.LBB1_38:                               ;   in Loop: Header=BB1_6 Depth=2
	s_or_b64 exec, exec, s[10:11]
	s_and_saveexec_b64 s[10:11], s[50:51]
	s_xor_b64 s[10:11], exec, s[10:11]
	s_cbranch_execz .LBB1_5
; %bb.39:                               ;   in Loop: Header=BB1_6 Depth=2
	v_mov_b32_e32 v11, s35
	v_add_co_u32_e32 v14, vcc, s34, v15
	v_addc_co_u32_e32 v15, vcc, v11, v16, vcc
	global_store_dword v[14:15], v20, off
	s_branch .LBB1_5
.LBB1_40:                               ;   in Loop: Header=BB1_3 Depth=1
	s_or_b64 exec, exec, s[12:13]
	s_and_saveexec_b64 s[46:47], s[4:5]
	s_cbranch_execz .LBB1_78
; %bb.41:                               ;   in Loop: Header=BB1_3 Depth=1
	global_load_dword v11, v[6:7], off offset:2048
	global_load_dword v14, v[8:9], off offset:2048
	s_waitcnt vmcnt(1)
	v_add_u32_e32 v13, v28, v11
	s_waitcnt vmcnt(0)
	v_subrev_u32_e32 v38, s67, v14
	v_cmp_lt_i32_e32 vcc, v13, v38
	s_and_b64 exec, exec, vcc
	s_cbranch_execz .LBB1_78
; %bb.42:                               ;   in Loop: Header=BB1_3 Depth=1
	global_load_dword v11, v[2:3], off offset:2048
	global_load_dword v14, v[4:5], off offset:2048
	v_mov_b32_e32 v18, s21
	v_mov_b32_e32 v19, s23
	s_mov_b64 s[48:49], 0
	s_waitcnt vmcnt(1)
	v_subrev_u32_e32 v15, s66, v11
	v_ashrrev_i32_e32 v16, 31, v15
	v_lshlrev_b64 v[16:17], 2, v[15:16]
	s_waitcnt vmcnt(0)
	v_sub_u32_e32 v39, v14, v11
	v_add_co_u32_e32 v40, vcc, s20, v16
	v_addc_co_u32_e32 v41, vcc, v18, v17, vcc
	v_add_co_u32_e32 v42, vcc, s22, v16
	v_cmp_lt_i32_e64 s[10:11], 0, v39
	v_addc_co_u32_e32 v43, vcc, v19, v17, vcc
	s_branch .LBB1_44
.LBB1_43:                               ;   in Loop: Header=BB1_44 Depth=2
	s_or_b64 exec, exec, s[50:51]
	v_add_u32_e32 v13, 2, v13
	v_cmp_ge_i32_e32 vcc, v13, v38
	s_or_b64 s[48:49], vcc, s[48:49]
	s_andn2_b64 exec, exec, s[48:49]
	s_cbranch_execz .LBB1_78
.LBB1_44:                               ;   Parent Loop BB1_3 Depth=1
                                        ; =>  This Loop Header: Depth=2
                                        ;       Child Loop BB1_48 Depth 3
                                        ;       Child Loop BB1_64 Depth 3
	;; [unrolled: 1-line block ×3, first 2 shown]
	v_ashrrev_i32_e32 v14, 31, v13
	v_lshlrev_b64 v[22:23], 2, v[13:14]
	v_mov_b32_e32 v11, s29
	v_add_co_u32_e32 v16, vcc, s28, v22
	v_addc_co_u32_e32 v17, vcc, v11, v23, vcc
	global_load_dword v11, v[16:17], off
	v_mov_b32_e32 v14, s37
	v_mov_b32_e32 v19, s39
	;; [unrolled: 1-line block ×3, first 2 shown]
	s_waitcnt vmcnt(0)
	v_subrev_u32_e32 v16, s67, v11
	v_ashrrev_i32_e32 v17, 31, v16
	v_lshlrev_b64 v[20:21], 2, v[16:17]
	v_add_co_u32_e32 v17, vcc, s36, v20
	v_addc_co_u32_e32 v18, vcc, v14, v21, vcc
	v_add_co_u32_e32 v24, vcc, s38, v20
	v_addc_co_u32_e32 v25, vcc, v19, v21, vcc
	global_load_dword v11, v[17:18], off
	global_load_dword v14, v[24:25], off
	v_mov_b32_e32 v18, 0
	s_waitcnt vmcnt(1)
	v_subrev_u32_e32 v17, s68, v11
	s_waitcnt vmcnt(0)
	v_sub_u32_e32 v14, v14, v11
	v_mov_b32_e32 v11, v18
	s_and_saveexec_b64 s[12:13], s[10:11]
	s_cbranch_execz .LBB1_52
; %bb.45:                               ;   in Loop: Header=BB1_44 Depth=2
	v_ashrrev_i32_e32 v18, 31, v17
	v_lshlrev_b64 v[18:19], 2, v[17:18]
	v_mov_b32_e32 v11, s41
	v_add_co_u32_e32 v45, vcc, s40, v18
	v_addc_co_u32_e32 v46, vcc, v11, v19, vcc
	v_mov_b32_e32 v11, s43
	v_add_co_u32_e32 v47, vcc, s42, v18
	v_addc_co_u32_e32 v48, vcc, v11, v19, vcc
	v_mov_b32_e32 v11, 0
	v_mov_b32_e32 v44, 0
	s_mov_b64 s[50:51], 0
	v_mov_b32_e32 v18, v11
                                        ; implicit-def: $sgpr52_sgpr53
	s_branch .LBB1_48
.LBB1_46:                               ;   in Loop: Header=BB1_48 Depth=3
	s_or_b64 exec, exec, s[56:57]
	v_cmp_le_i32_e32 vcc, v19, v49
	v_addc_co_u32_e32 v11, vcc, 0, v11, vcc
	v_cmp_ge_i32_e32 vcc, v19, v49
	v_addc_co_u32_e32 v18, vcc, 0, v18, vcc
	v_cmp_ge_i32_e32 vcc, v11, v39
	s_andn2_b64 s[52:53], s[52:53], exec
	s_and_b64 s[56:57], vcc, exec
	s_or_b64 s[52:53], s[52:53], s[56:57]
.LBB1_47:                               ;   in Loop: Header=BB1_48 Depth=3
	s_or_b64 exec, exec, s[54:55]
	s_and_b64 s[54:55], exec, s[52:53]
	s_or_b64 s[50:51], s[54:55], s[50:51]
	s_andn2_b64 exec, exec, s[50:51]
	s_cbranch_execz .LBB1_51
.LBB1_48:                               ;   Parent Loop BB1_3 Depth=1
                                        ;     Parent Loop BB1_44 Depth=2
                                        ; =>    This Inner Loop Header: Depth=3
	v_cmp_lt_i32_e32 vcc, v18, v14
	s_or_b64 s[52:53], s[52:53], exec
	s_and_saveexec_b64 s[54:55], vcc
	s_cbranch_execz .LBB1_47
; %bb.49:                               ;   in Loop: Header=BB1_48 Depth=3
	v_lshlrev_b64 v[24:25], 2, v[11:12]
	v_mov_b32_e32 v19, v12
	v_add_co_u32_e32 v26, vcc, v40, v24
	v_addc_co_u32_e32 v27, vcc, v41, v25, vcc
	global_load_dword v51, v[26:27], off
	v_lshlrev_b64 v[26:27], 2, v[18:19]
	v_add_co_u32_e32 v49, vcc, v45, v26
	v_addc_co_u32_e32 v50, vcc, v46, v27, vcc
	global_load_dword v49, v[49:50], off
	s_waitcnt vmcnt(1)
	v_subrev_u32_e32 v19, s66, v51
	s_waitcnt vmcnt(0)
	v_subrev_u32_e32 v49, s68, v49
	v_cmp_eq_u32_e32 vcc, v19, v49
	s_and_saveexec_b64 s[56:57], vcc
	s_cbranch_execz .LBB1_46
; %bb.50:                               ;   in Loop: Header=BB1_48 Depth=3
	v_add_co_u32_e32 v24, vcc, v42, v24
	v_addc_co_u32_e32 v25, vcc, v43, v25, vcc
	v_add_co_u32_e32 v26, vcc, v47, v26
	v_addc_co_u32_e32 v27, vcc, v48, v27, vcc
	global_load_dword v24, v[24:25], off
	s_nop 0
	global_load_dword v25, v[26:27], off
	s_waitcnt vmcnt(0)
	v_fmac_f32_e32 v44, v24, v25
	s_branch .LBB1_46
.LBB1_51:                               ;   in Loop: Header=BB1_44 Depth=2
	s_or_b64 exec, exec, s[50:51]
.LBB1_52:                               ;   in Loop: Header=BB1_44 Depth=2
	s_or_b64 exec, exec, s[12:13]
	v_mov_b32_e32 v19, s31
	v_add_co_u32_e32 v22, vcc, s30, v22
	v_addc_co_u32_e32 v23, vcc, v19, v23, vcc
	global_load_dword v19, v[22:23], off
	v_cmp_le_i32_e64 s[12:13], v0, v16
	v_cmp_gt_i32_e32 vcc, v0, v16
	s_waitcnt vmcnt(0)
	v_sub_f32_e32 v22, v19, v44
	s_and_saveexec_b64 s[50:51], vcc
	s_cbranch_execz .LBB1_56
; %bb.53:                               ;   in Loop: Header=BB1_44 Depth=2
	v_mov_b32_e32 v19, s25
	v_add_co_u32_e32 v23, vcc, s24, v20
	v_addc_co_u32_e32 v24, vcc, v19, v21, vcc
	global_load_dword v19, v[23:24], off
	v_mov_b32_e32 v23, 0
	s_waitcnt vmcnt(0)
	v_cmp_lg_f32_e32 vcc, 0, v19
	s_and_saveexec_b64 s[52:53], vcc
	s_cbranch_execz .LBB1_55
; %bb.54:                               ;   in Loop: Header=BB1_44 Depth=2
	v_div_scale_f32 v23, s[54:55], v19, v19, v22
	v_div_scale_f32 v24, vcc, v22, v19, v22
	v_rcp_f32_e32 v25, v23
	v_fma_f32 v26, -v23, v25, 1.0
	v_fmac_f32_e32 v25, v26, v25
	v_mul_f32_e32 v26, v24, v25
	v_fma_f32 v27, -v23, v26, v24
	v_fmac_f32_e32 v26, v27, v25
	v_fma_f32 v23, -v23, v26, v24
	v_div_fmas_f32 v23, v23, v25, v26
	v_div_fixup_f32 v23, v23, v19, v22
.LBB1_55:                               ;   in Loop: Header=BB1_44 Depth=2
	s_or_b64 exec, exec, s[52:53]
	v_mov_b32_e32 v22, v23
.LBB1_56:                               ;   in Loop: Header=BB1_44 Depth=2
	s_or_b64 exec, exec, s[50:51]
	v_cmp_class_f32_e64 s[52:53], v22, s70
	s_and_saveexec_b64 s[50:51], s[52:53]
	s_cbranch_execz .LBB1_43
; %bb.57:                               ;   in Loop: Header=BB1_44 Depth=2
	s_and_saveexec_b64 s[52:53], s[12:13]
	s_xor_b64 s[12:13], exec, s[52:53]
	s_cbranch_execz .LBB1_70
; %bb.58:                               ;   in Loop: Header=BB1_44 Depth=2
	v_cmp_ge_i32_e32 vcc, v0, v16
	s_and_saveexec_b64 s[52:53], vcc
	s_xor_b64 s[52:53], exec, s[52:53]
	s_cbranch_execz .LBB1_60
; %bb.59:                               ;   in Loop: Header=BB1_44 Depth=2
	v_mov_b32_e32 v11, s27
	v_add_co_u32_e32 v16, vcc, s26, v20
	v_addc_co_u32_e32 v17, vcc, v11, v21, vcc
	global_store_dword v[16:17], v22, off
                                        ; implicit-def: $vgpr18
                                        ; implicit-def: $vgpr14
                                        ; implicit-def: $vgpr22
                                        ; implicit-def: $vgpr17
.LBB1_60:                               ;   in Loop: Header=BB1_44 Depth=2
	s_andn2_saveexec_b64 s[52:53], s[52:53]
	s_cbranch_execz .LBB1_69
; %bb.61:                               ;   in Loop: Header=BB1_44 Depth=2
	v_cmp_lt_i32_e32 vcc, v18, v14
	s_and_saveexec_b64 s[54:55], vcc
	s_cbranch_execz .LBB1_68
; %bb.62:                               ;   in Loop: Header=BB1_44 Depth=2
	s_mov_b64 s[56:57], 0
                                        ; implicit-def: $sgpr58_sgpr59
                                        ; implicit-def: $sgpr62_sgpr63
                                        ; implicit-def: $sgpr60_sgpr61
	s_branch .LBB1_64
.LBB1_63:                               ;   in Loop: Header=BB1_64 Depth=3
	s_or_b64 exec, exec, s[64:65]
	s_and_b64 s[64:65], exec, s[62:63]
	s_or_b64 s[56:57], s[64:65], s[56:57]
	s_andn2_b64 s[58:59], s[58:59], exec
	s_and_b64 s[64:65], s[60:61], exec
	s_or_b64 s[58:59], s[58:59], s[64:65]
	s_andn2_b64 exec, exec, s[56:57]
	s_cbranch_execz .LBB1_66
.LBB1_64:                               ;   Parent Loop BB1_3 Depth=1
                                        ;     Parent Loop BB1_44 Depth=2
                                        ; =>    This Inner Loop Header: Depth=3
	v_add_u32_e32 v19, v17, v18
	v_ashrrev_i32_e32 v20, 31, v19
	v_lshlrev_b64 v[19:20], 2, v[19:20]
	v_mov_b32_e32 v11, s41
	v_add_co_u32_e32 v23, vcc, s40, v19
	v_addc_co_u32_e32 v24, vcc, v11, v20, vcc
	global_load_dword v11, v[23:24], off
	s_or_b64 s[60:61], s[60:61], exec
	s_or_b64 s[62:63], s[62:63], exec
	s_waitcnt vmcnt(0)
	v_subrev_u32_e32 v11, s68, v11
	v_cmp_ne_u32_e32 vcc, v11, v0
	s_and_saveexec_b64 s[64:65], vcc
	s_cbranch_execz .LBB1_63
; %bb.65:                               ;   in Loop: Header=BB1_64 Depth=3
	v_add_u32_e32 v18, 1, v18
	v_cmp_ge_i32_e32 vcc, v18, v14
	s_andn2_b64 s[62:63], s[62:63], exec
	s_and_b64 s[72:73], vcc, exec
	s_andn2_b64 s[60:61], s[60:61], exec
	s_or_b64 s[62:63], s[62:63], s[72:73]
	s_branch .LBB1_63
.LBB1_66:                               ;   in Loop: Header=BB1_44 Depth=2
	s_or_b64 exec, exec, s[56:57]
	s_and_saveexec_b64 s[56:57], s[58:59]
	s_xor_b64 s[56:57], exec, s[56:57]
	s_cbranch_execz .LBB1_68
; %bb.67:                               ;   in Loop: Header=BB1_44 Depth=2
	v_mov_b32_e32 v11, s45
	v_add_co_u32_e32 v16, vcc, s44, v19
	v_addc_co_u32_e32 v17, vcc, v11, v20, vcc
	global_store_dword v[16:17], v22, off
.LBB1_68:                               ;   in Loop: Header=BB1_44 Depth=2
	s_or_b64 exec, exec, s[54:55]
.LBB1_69:                               ;   in Loop: Header=BB1_44 Depth=2
	s_or_b64 exec, exec, s[52:53]
                                        ; implicit-def: $vgpr22
                                        ; implicit-def: $vgpr16_vgpr17
.LBB1_70:                               ;   in Loop: Header=BB1_44 Depth=2
	s_andn2_saveexec_b64 s[12:13], s[12:13]
	s_cbranch_execz .LBB1_43
; %bb.71:                               ;   in Loop: Header=BB1_44 Depth=2
	v_cmp_lt_i32_e32 vcc, v11, v39
	s_and_b64 exec, exec, vcc
	s_cbranch_execz .LBB1_43
; %bb.72:                               ;   in Loop: Header=BB1_44 Depth=2
	s_mov_b64 s[12:13], 0
                                        ; implicit-def: $sgpr52_sgpr53
                                        ; implicit-def: $sgpr56_sgpr57
                                        ; implicit-def: $sgpr54_sgpr55
	s_branch .LBB1_74
.LBB1_73:                               ;   in Loop: Header=BB1_74 Depth=3
	s_or_b64 exec, exec, s[58:59]
	s_and_b64 s[58:59], exec, s[56:57]
	s_or_b64 s[12:13], s[58:59], s[12:13]
	s_andn2_b64 s[52:53], s[52:53], exec
	s_and_b64 s[58:59], s[54:55], exec
	s_or_b64 s[52:53], s[52:53], s[58:59]
	s_andn2_b64 exec, exec, s[12:13]
	s_cbranch_execz .LBB1_76
.LBB1_74:                               ;   Parent Loop BB1_3 Depth=1
                                        ;     Parent Loop BB1_44 Depth=2
                                        ; =>    This Inner Loop Header: Depth=3
	v_add_u32_e32 v17, v15, v11
	v_ashrrev_i32_e32 v18, 31, v17
	v_lshlrev_b64 v[17:18], 2, v[17:18]
	v_mov_b32_e32 v14, s21
	v_add_co_u32_e32 v19, vcc, s20, v17
	v_addc_co_u32_e32 v20, vcc, v14, v18, vcc
	global_load_dword v14, v[19:20], off
	s_or_b64 s[54:55], s[54:55], exec
	s_or_b64 s[56:57], s[56:57], exec
	s_waitcnt vmcnt(0)
	v_subrev_u32_e32 v14, s66, v14
	v_cmp_ne_u32_e32 vcc, v14, v16
	s_and_saveexec_b64 s[58:59], vcc
	s_cbranch_execz .LBB1_73
; %bb.75:                               ;   in Loop: Header=BB1_74 Depth=3
	v_add_u32_e32 v11, 1, v11
	v_cmp_ge_i32_e32 vcc, v11, v39
	s_andn2_b64 s[56:57], s[56:57], exec
	s_and_b64 s[60:61], vcc, exec
	s_andn2_b64 s[54:55], s[54:55], exec
	s_or_b64 s[56:57], s[56:57], s[60:61]
	s_branch .LBB1_73
.LBB1_76:                               ;   in Loop: Header=BB1_44 Depth=2
	s_or_b64 exec, exec, s[12:13]
	s_and_saveexec_b64 s[12:13], s[52:53]
	s_xor_b64 s[12:13], exec, s[12:13]
	s_cbranch_execz .LBB1_43
; %bb.77:                               ;   in Loop: Header=BB1_44 Depth=2
	v_mov_b32_e32 v11, s35
	v_add_co_u32_e32 v16, vcc, s34, v17
	v_addc_co_u32_e32 v17, vcc, v11, v18, vcc
	global_store_dword v[16:17], v22, off
	s_branch .LBB1_43
.LBB1_78:                               ;   in Loop: Header=BB1_3 Depth=1
	s_or_b64 exec, exec, s[46:47]
	s_and_saveexec_b64 s[10:11], s[0:1]
	s_cbranch_execz .LBB1_2
; %bb.79:                               ;   in Loop: Header=BB1_3 Depth=1
	s_mov_b64 s[12:13], 0
	v_mov_b32_e32 v13, v1
	s_branch .LBB1_81
.LBB1_80:                               ;   in Loop: Header=BB1_81 Depth=2
	s_or_b64 exec, exec, s[46:47]
	v_add_u32_e32 v13, 0x200, v13
	v_cmp_le_u32_e32 vcc, s69, v13
	s_or_b64 s[12:13], vcc, s[12:13]
	s_andn2_b64 exec, exec, s[12:13]
	s_cbranch_execz .LBB1_2
.LBB1_81:                               ;   Parent Loop BB1_3 Depth=1
                                        ; =>  This Loop Header: Depth=2
                                        ;       Child Loop BB1_84 Depth 3
                                        ;       Child Loop BB1_87 Depth 3
	v_cmp_gt_i32_e32 vcc, s15, v13
	s_and_saveexec_b64 s[46:47], vcc
	s_cbranch_execz .LBB1_80
; %bb.82:                               ;   in Loop: Header=BB1_81 Depth=2
	v_ashrrev_i32_e32 v14, 31, v13
	v_lshlrev_b64 v[14:15], 2, v[13:14]
	v_mov_b32_e32 v11, s17
	v_add_co_u32_e32 v16, vcc, s16, v14
	v_addc_co_u32_e32 v17, vcc, v11, v15, vcc
	global_load_dword v11, v[16:17], off
	v_mov_b32_e32 v17, s19
	v_add_co_u32_e32 v16, vcc, s18, v14
	v_addc_co_u32_e32 v17, vcc, v17, v15, vcc
	global_load_dword v17, v[16:17], off
	s_waitcnt vmcnt(1)
	v_add_u32_e32 v16, v29, v11
	s_waitcnt vmcnt(0)
	v_subrev_u32_e32 v11, s66, v17
	v_cmp_lt_i32_e32 vcc, v16, v11
	s_and_saveexec_b64 s[48:49], vcc
	s_cbranch_execz .LBB1_85
; %bb.83:                               ;   in Loop: Header=BB1_81 Depth=2
	v_ashrrev_i32_e32 v17, 31, v16
	v_lshlrev_b64 v[19:20], 2, v[16:17]
	v_mov_b32_e32 v18, s35
	v_add_co_u32_e32 v17, vcc, s34, v19
	v_addc_co_u32_e32 v18, vcc, v18, v20, vcc
	v_mov_b32_e32 v21, s23
	v_add_co_u32_e32 v19, vcc, s22, v19
	v_addc_co_u32_e32 v20, vcc, v21, v20, vcc
	s_mov_b64 s[50:51], 0
.LBB1_84:                               ;   Parent Loop BB1_3 Depth=1
                                        ;     Parent Loop BB1_81 Depth=2
                                        ; =>    This Inner Loop Header: Depth=3
	global_load_dword v21, v[17:18], off
	v_add_co_u32_e32 v17, vcc, 8, v17
	v_add_u32_e32 v16, 2, v16
	v_addc_co_u32_e32 v18, vcc, 0, v18, vcc
	v_cmp_ge_i32_e32 vcc, v16, v11
	s_or_b64 s[50:51], vcc, s[50:51]
	s_waitcnt vmcnt(0)
	global_store_dword v[19:20], v21, off
	v_add_co_u32_e32 v19, vcc, 8, v19
	v_addc_co_u32_e32 v20, vcc, 0, v20, vcc
	s_andn2_b64 exec, exec, s[50:51]
	s_cbranch_execnz .LBB1_84
.LBB1_85:                               ;   in Loop: Header=BB1_81 Depth=2
	s_or_b64 exec, exec, s[48:49]
	v_mov_b32_e32 v11, s37
	v_add_co_u32_e32 v16, vcc, s36, v14
	v_addc_co_u32_e32 v17, vcc, v11, v15, vcc
	global_load_dword v11, v[16:17], off
	v_mov_b32_e32 v17, s39
	v_add_co_u32_e32 v16, vcc, s38, v14
	v_addc_co_u32_e32 v17, vcc, v17, v15, vcc
	global_load_dword v17, v[16:17], off
	s_waitcnt vmcnt(1)
	v_add_u32_e32 v16, v30, v11
	s_waitcnt vmcnt(0)
	v_subrev_u32_e32 v11, s68, v17
	v_cmp_lt_i32_e32 vcc, v16, v11
	s_and_saveexec_b64 s[48:49], vcc
	s_cbranch_execz .LBB1_88
; %bb.86:                               ;   in Loop: Header=BB1_81 Depth=2
	v_ashrrev_i32_e32 v17, 31, v16
	v_lshlrev_b64 v[19:20], 2, v[16:17]
	v_mov_b32_e32 v18, s45
	v_add_co_u32_e32 v17, vcc, s44, v19
	v_addc_co_u32_e32 v18, vcc, v18, v20, vcc
	v_mov_b32_e32 v21, s43
	v_add_co_u32_e32 v19, vcc, s42, v19
	v_addc_co_u32_e32 v20, vcc, v21, v20, vcc
	s_mov_b64 s[50:51], 0
.LBB1_87:                               ;   Parent Loop BB1_3 Depth=1
                                        ;     Parent Loop BB1_81 Depth=2
                                        ; =>    This Inner Loop Header: Depth=3
	global_load_dword v21, v[17:18], off
	v_add_co_u32_e32 v17, vcc, 8, v17
	v_add_u32_e32 v16, 2, v16
	v_addc_co_u32_e32 v18, vcc, 0, v18, vcc
	v_cmp_ge_i32_e32 vcc, v16, v11
	s_or_b64 s[50:51], vcc, s[50:51]
	s_waitcnt vmcnt(0)
	global_store_dword v[19:20], v21, off
	v_add_co_u32_e32 v19, vcc, 8, v19
	v_addc_co_u32_e32 v20, vcc, 0, v20, vcc
	s_andn2_b64 exec, exec, s[50:51]
	s_cbranch_execnz .LBB1_87
.LBB1_88:                               ;   in Loop: Header=BB1_81 Depth=2
	s_or_b64 exec, exec, s[48:49]
	s_and_b64 exec, exec, s[2:3]
	s_cbranch_execz .LBB1_80
; %bb.89:                               ;   in Loop: Header=BB1_81 Depth=2
	v_mov_b32_e32 v11, s27
	v_add_co_u32_e32 v16, vcc, s26, v14
	v_addc_co_u32_e32 v17, vcc, v11, v15, vcc
	global_load_dword v11, v[16:17], off
	v_mov_b32_e32 v16, s25
	v_add_co_u32_e32 v14, vcc, s24, v14
	v_addc_co_u32_e32 v15, vcc, v16, v15, vcc
	s_waitcnt vmcnt(0)
	global_store_dword v[14:15], v11, off
	s_branch .LBB1_80
.LBB1_90:
	s_endpgm
	.section	.rodata,"a",@progbits
	.p2align	6, 0x0
	.amdhsa_kernel _ZN9rocsparseL14kernel_freerunILi1024ELi2EfiiEEvT3_S1_T2_PKS2_S4_PKS1_PKT1_21rocsparse_index_base_S4_S4_S6_PS7_SB_SA_S4_S4_S6_SB_SB_SA_SB_SB_
		.amdhsa_group_segment_fixed_size 0
		.amdhsa_private_segment_fixed_size 0
		.amdhsa_kernarg_size 168
		.amdhsa_user_sgpr_count 6
		.amdhsa_user_sgpr_private_segment_buffer 1
		.amdhsa_user_sgpr_dispatch_ptr 0
		.amdhsa_user_sgpr_queue_ptr 0
		.amdhsa_user_sgpr_kernarg_segment_ptr 1
		.amdhsa_user_sgpr_dispatch_id 0
		.amdhsa_user_sgpr_flat_scratch_init 0
		.amdhsa_user_sgpr_private_segment_size 0
		.amdhsa_uses_dynamic_stack 0
		.amdhsa_system_sgpr_private_segment_wavefront_offset 0
		.amdhsa_system_sgpr_workgroup_id_x 1
		.amdhsa_system_sgpr_workgroup_id_y 0
		.amdhsa_system_sgpr_workgroup_id_z 0
		.amdhsa_system_sgpr_workgroup_info 0
		.amdhsa_system_vgpr_workitem_id 0
		.amdhsa_next_free_vgpr 52
		.amdhsa_next_free_sgpr 74
		.amdhsa_reserve_vcc 1
		.amdhsa_reserve_flat_scratch 0
		.amdhsa_float_round_mode_32 0
		.amdhsa_float_round_mode_16_64 0
		.amdhsa_float_denorm_mode_32 3
		.amdhsa_float_denorm_mode_16_64 3
		.amdhsa_dx10_clamp 1
		.amdhsa_ieee_mode 1
		.amdhsa_fp16_overflow 0
		.amdhsa_exception_fp_ieee_invalid_op 0
		.amdhsa_exception_fp_denorm_src 0
		.amdhsa_exception_fp_ieee_div_zero 0
		.amdhsa_exception_fp_ieee_overflow 0
		.amdhsa_exception_fp_ieee_underflow 0
		.amdhsa_exception_fp_ieee_inexact 0
		.amdhsa_exception_int_div_zero 0
	.end_amdhsa_kernel
	.section	.text._ZN9rocsparseL14kernel_freerunILi1024ELi2EfiiEEvT3_S1_T2_PKS2_S4_PKS1_PKT1_21rocsparse_index_base_S4_S4_S6_PS7_SB_SA_S4_S4_S6_SB_SB_SA_SB_SB_,"axG",@progbits,_ZN9rocsparseL14kernel_freerunILi1024ELi2EfiiEEvT3_S1_T2_PKS2_S4_PKS1_PKT1_21rocsparse_index_base_S4_S4_S6_PS7_SB_SA_S4_S4_S6_SB_SB_SA_SB_SB_,comdat
.Lfunc_end1:
	.size	_ZN9rocsparseL14kernel_freerunILi1024ELi2EfiiEEvT3_S1_T2_PKS2_S4_PKS1_PKT1_21rocsparse_index_base_S4_S4_S6_PS7_SB_SA_S4_S4_S6_SB_SB_SA_SB_SB_, .Lfunc_end1-_ZN9rocsparseL14kernel_freerunILi1024ELi2EfiiEEvT3_S1_T2_PKS2_S4_PKS1_PKT1_21rocsparse_index_base_S4_S4_S6_PS7_SB_SA_S4_S4_S6_SB_SB_SA_SB_SB_
                                        ; -- End function
	.set _ZN9rocsparseL14kernel_freerunILi1024ELi2EfiiEEvT3_S1_T2_PKS2_S4_PKS1_PKT1_21rocsparse_index_base_S4_S4_S6_PS7_SB_SA_S4_S4_S6_SB_SB_SA_SB_SB_.num_vgpr, 52
	.set _ZN9rocsparseL14kernel_freerunILi1024ELi2EfiiEEvT3_S1_T2_PKS2_S4_PKS1_PKT1_21rocsparse_index_base_S4_S4_S6_PS7_SB_SA_S4_S4_S6_SB_SB_SA_SB_SB_.num_agpr, 0
	.set _ZN9rocsparseL14kernel_freerunILi1024ELi2EfiiEEvT3_S1_T2_PKS2_S4_PKS1_PKT1_21rocsparse_index_base_S4_S4_S6_PS7_SB_SA_S4_S4_S6_SB_SB_SA_SB_SB_.numbered_sgpr, 74
	.set _ZN9rocsparseL14kernel_freerunILi1024ELi2EfiiEEvT3_S1_T2_PKS2_S4_PKS1_PKT1_21rocsparse_index_base_S4_S4_S6_PS7_SB_SA_S4_S4_S6_SB_SB_SA_SB_SB_.num_named_barrier, 0
	.set _ZN9rocsparseL14kernel_freerunILi1024ELi2EfiiEEvT3_S1_T2_PKS2_S4_PKS1_PKT1_21rocsparse_index_base_S4_S4_S6_PS7_SB_SA_S4_S4_S6_SB_SB_SA_SB_SB_.private_seg_size, 0
	.set _ZN9rocsparseL14kernel_freerunILi1024ELi2EfiiEEvT3_S1_T2_PKS2_S4_PKS1_PKT1_21rocsparse_index_base_S4_S4_S6_PS7_SB_SA_S4_S4_S6_SB_SB_SA_SB_SB_.uses_vcc, 1
	.set _ZN9rocsparseL14kernel_freerunILi1024ELi2EfiiEEvT3_S1_T2_PKS2_S4_PKS1_PKT1_21rocsparse_index_base_S4_S4_S6_PS7_SB_SA_S4_S4_S6_SB_SB_SA_SB_SB_.uses_flat_scratch, 0
	.set _ZN9rocsparseL14kernel_freerunILi1024ELi2EfiiEEvT3_S1_T2_PKS2_S4_PKS1_PKT1_21rocsparse_index_base_S4_S4_S6_PS7_SB_SA_S4_S4_S6_SB_SB_SA_SB_SB_.has_dyn_sized_stack, 0
	.set _ZN9rocsparseL14kernel_freerunILi1024ELi2EfiiEEvT3_S1_T2_PKS2_S4_PKS1_PKT1_21rocsparse_index_base_S4_S4_S6_PS7_SB_SA_S4_S4_S6_SB_SB_SA_SB_SB_.has_recursion, 0
	.set _ZN9rocsparseL14kernel_freerunILi1024ELi2EfiiEEvT3_S1_T2_PKS2_S4_PKS1_PKT1_21rocsparse_index_base_S4_S4_S6_PS7_SB_SA_S4_S4_S6_SB_SB_SA_SB_SB_.has_indirect_call, 0
	.section	.AMDGPU.csdata,"",@progbits
; Kernel info:
; codeLenInByte = 3100
; TotalNumSgprs: 78
; NumVgprs: 52
; ScratchSize: 0
; MemoryBound: 0
; FloatMode: 240
; IeeeMode: 1
; LDSByteSize: 0 bytes/workgroup (compile time only)
; SGPRBlocks: 9
; VGPRBlocks: 12
; NumSGPRsForWavesPerEU: 78
; NumVGPRsForWavesPerEU: 52
; Occupancy: 4
; WaveLimiterHint : 1
; COMPUTE_PGM_RSRC2:SCRATCH_EN: 0
; COMPUTE_PGM_RSRC2:USER_SGPR: 6
; COMPUTE_PGM_RSRC2:TRAP_HANDLER: 0
; COMPUTE_PGM_RSRC2:TGID_X_EN: 1
; COMPUTE_PGM_RSRC2:TGID_Y_EN: 0
; COMPUTE_PGM_RSRC2:TGID_Z_EN: 0
; COMPUTE_PGM_RSRC2:TIDIG_COMP_CNT: 0
	.section	.text._ZN9rocsparseL14kernel_freerunILi1024ELi4EfiiEEvT3_S1_T2_PKS2_S4_PKS1_PKT1_21rocsparse_index_base_S4_S4_S6_PS7_SB_SA_S4_S4_S6_SB_SB_SA_SB_SB_,"axG",@progbits,_ZN9rocsparseL14kernel_freerunILi1024ELi4EfiiEEvT3_S1_T2_PKS2_S4_PKS1_PKT1_21rocsparse_index_base_S4_S4_S6_PS7_SB_SA_S4_S4_S6_SB_SB_SA_SB_SB_,comdat
	.globl	_ZN9rocsparseL14kernel_freerunILi1024ELi4EfiiEEvT3_S1_T2_PKS2_S4_PKS1_PKT1_21rocsparse_index_base_S4_S4_S6_PS7_SB_SA_S4_S4_S6_SB_SB_SA_SB_SB_ ; -- Begin function _ZN9rocsparseL14kernel_freerunILi1024ELi4EfiiEEvT3_S1_T2_PKS2_S4_PKS1_PKT1_21rocsparse_index_base_S4_S4_S6_PS7_SB_SA_S4_S4_S6_SB_SB_SA_SB_SB_
	.p2align	8
	.type	_ZN9rocsparseL14kernel_freerunILi1024ELi4EfiiEEvT3_S1_T2_PKS2_S4_PKS1_PKT1_21rocsparse_index_base_S4_S4_S6_PS7_SB_SA_S4_S4_S6_SB_SB_SA_SB_SB_,@function
_ZN9rocsparseL14kernel_freerunILi1024ELi4EfiiEEvT3_S1_T2_PKS2_S4_PKS1_PKT1_21rocsparse_index_base_S4_S4_S6_PS7_SB_SA_S4_S4_S6_SB_SB_SA_SB_SB_: ; @_ZN9rocsparseL14kernel_freerunILi1024ELi4EfiiEEvT3_S1_T2_PKS2_S4_PKS1_PKT1_21rocsparse_index_base_S4_S4_S6_PS7_SB_SA_S4_S4_S6_SB_SB_SA_SB_SB_
; %bb.0:
	s_load_dwordx2 s[34:35], s[4:5], 0x0
	v_lshrrev_b32_e32 v1, 2, v0
	s_lshl_b32 s67, s6, 10
	v_or_b32_e32 v18, s67, v1
	s_mov_b32 s33, 0
	s_waitcnt lgkmcnt(0)
	s_cmp_gt_i32 s34, 0
	v_cmp_gt_i32_e32 vcc, s35, v18
	s_cselect_b64 s[0:1], -1, 0
	s_and_b64 s[0:1], vcc, s[0:1]
	s_and_saveexec_b64 s[2:3], s[0:1]
	s_cbranch_execz .LBB2_55
; %bb.1:
	s_load_dwordx4 s[36:39], s[4:5], 0x98
	s_load_dwordx8 s[8:15], s[4:5], 0x68
	s_load_dwordx8 s[16:23], s[4:5], 0x38
	;; [unrolled: 1-line block ×3, first 2 shown]
	s_load_dword s64, s[4:5], 0x30
	s_load_dwordx2 s[40:41], s[4:5], 0x58
	s_load_dword s65, s[4:5], 0x60
	s_load_dwordx2 s[42:43], s[4:5], 0x88
	s_load_dword s66, s[4:5], 0x90
	v_and_b32_e32 v0, 3, v0
	s_addk_i32 s67, 0x400
	s_waitcnt lgkmcnt(0)
	v_subrev_u32_e32 v19, s64, v0
	v_cmp_gt_u32_e64 s[0:1], s67, v18
	v_subrev_u32_e32 v20, s65, v0
	v_subrev_u32_e32 v21, s66, v0
	v_cmp_eq_u32_e64 s[2:3], 0, v0
	v_mov_b32_e32 v1, 0
	s_movk_i32 s68, 0x1f8
	s_branch .LBB2_3
.LBB2_2:                                ;   in Loop: Header=BB2_3 Depth=1
	s_or_b64 exec, exec, s[4:5]
	s_add_i32 s33, s33, 1
	s_cmp_eq_u32 s33, s34
	s_cbranch_scc1 .LBB2_55
.LBB2_3:                                ; =>This Loop Header: Depth=1
                                        ;     Child Loop BB2_5 Depth 2
                                        ;       Child Loop BB2_9 Depth 3
                                        ;         Child Loop BB2_13 Depth 4
                                        ;         Child Loop BB2_29 Depth 4
	;; [unrolled: 1-line block ×3, first 2 shown]
                                        ;     Child Loop BB2_46 Depth 2
                                        ;       Child Loop BB2_49 Depth 3
                                        ;       Child Loop BB2_52 Depth 3
	s_mov_b32 s69, 0
	s_branch .LBB2_5
.LBB2_4:                                ;   in Loop: Header=BB2_5 Depth=2
	s_or_b64 exec, exec, s[44:45]
	s_add_i32 s69, s69, 1
	s_cmp_eq_u32 s69, 4
	s_cbranch_scc1 .LBB2_43
.LBB2_5:                                ;   Parent Loop BB2_3 Depth=1
                                        ; =>  This Loop Header: Depth=2
                                        ;       Child Loop BB2_9 Depth 3
                                        ;         Child Loop BB2_13 Depth 4
                                        ;         Child Loop BB2_29 Depth 4
	;; [unrolled: 1-line block ×3, first 2 shown]
	v_lshl_add_u32 v2, s69, 8, v18
	v_cmp_gt_i32_e32 vcc, s35, v2
	s_and_saveexec_b64 s[44:45], vcc
	s_cbranch_execz .LBB2_4
; %bb.6:                                ;   in Loop: Header=BB2_5 Depth=2
	v_ashrrev_i32_e32 v3, 31, v2
	v_lshlrev_b64 v[4:5], 2, v[2:3]
	v_mov_b32_e32 v0, s25
	v_add_co_u32_e32 v6, vcc, s24, v4
	v_addc_co_u32_e32 v7, vcc, v0, v5, vcc
	global_load_dword v0, v[6:7], off
	v_mov_b32_e32 v3, s27
	v_add_co_u32_e32 v6, vcc, s26, v4
	v_addc_co_u32_e32 v7, vcc, v3, v5, vcc
	global_load_dword v6, v[6:7], off
	s_waitcnt vmcnt(1)
	v_add_u32_e32 v3, v19, v0
	s_waitcnt vmcnt(0)
	v_subrev_u32_e32 v22, s64, v6
	v_cmp_lt_i32_e32 vcc, v3, v22
	s_and_b64 exec, exec, vcc
	s_cbranch_execz .LBB2_4
; %bb.7:                                ;   in Loop: Header=BB2_5 Depth=2
	v_mov_b32_e32 v0, s19
	v_add_co_u32_e32 v6, vcc, s18, v4
	v_addc_co_u32_e32 v7, vcc, v0, v5, vcc
	v_mov_b32_e32 v0, s17
	v_add_co_u32_e32 v4, vcc, s16, v4
	v_addc_co_u32_e32 v5, vcc, v0, v5, vcc
	global_load_dword v0, v[4:5], off
	global_load_dword v8, v[6:7], off
	v_mov_b32_e32 v4, s21
	v_mov_b32_e32 v9, s23
	s_mov_b64 s[46:47], 0
	s_waitcnt vmcnt(1)
	v_subrev_u32_e32 v5, s65, v0
	v_ashrrev_i32_e32 v6, 31, v5
	v_lshlrev_b64 v[6:7], 2, v[5:6]
	s_waitcnt vmcnt(0)
	v_sub_u32_e32 v23, v8, v0
	v_add_co_u32_e32 v24, vcc, s20, v6
	v_addc_co_u32_e32 v25, vcc, v4, v7, vcc
	v_add_co_u32_e32 v26, vcc, s22, v6
	v_cmp_lt_i32_e64 s[4:5], 0, v23
	v_addc_co_u32_e32 v27, vcc, v9, v7, vcc
	s_branch .LBB2_9
.LBB2_8:                                ;   in Loop: Header=BB2_9 Depth=3
	s_or_b64 exec, exec, s[48:49]
	v_add_u32_e32 v3, 4, v3
	v_cmp_ge_i32_e32 vcc, v3, v22
	s_or_b64 s[46:47], vcc, s[46:47]
	s_andn2_b64 exec, exec, s[46:47]
	s_cbranch_execz .LBB2_4
.LBB2_9:                                ;   Parent Loop BB2_3 Depth=1
                                        ;     Parent Loop BB2_5 Depth=2
                                        ; =>    This Loop Header: Depth=3
                                        ;         Child Loop BB2_13 Depth 4
                                        ;         Child Loop BB2_29 Depth 4
	;; [unrolled: 1-line block ×3, first 2 shown]
	v_ashrrev_i32_e32 v4, 31, v3
	v_lshlrev_b64 v[12:13], 2, v[3:4]
	v_mov_b32_e32 v0, s29
	v_add_co_u32_e32 v6, vcc, s28, v12
	v_addc_co_u32_e32 v7, vcc, v0, v13, vcc
	global_load_dword v0, v[6:7], off
	v_mov_b32_e32 v4, s9
	v_mov_b32_e32 v9, s11
	;; [unrolled: 1-line block ×3, first 2 shown]
	s_waitcnt vmcnt(0)
	v_subrev_u32_e32 v6, s64, v0
	v_ashrrev_i32_e32 v7, 31, v6
	v_lshlrev_b64 v[10:11], 2, v[6:7]
	v_add_co_u32_e32 v7, vcc, s8, v10
	v_addc_co_u32_e32 v8, vcc, v4, v11, vcc
	v_add_co_u32_e32 v14, vcc, s10, v10
	v_addc_co_u32_e32 v15, vcc, v9, v11, vcc
	global_load_dword v0, v[7:8], off
	global_load_dword v4, v[14:15], off
	v_mov_b32_e32 v8, 0
	s_waitcnt vmcnt(1)
	v_subrev_u32_e32 v7, s66, v0
	s_waitcnt vmcnt(0)
	v_sub_u32_e32 v4, v4, v0
	v_mov_b32_e32 v0, v8
	s_and_saveexec_b64 s[6:7], s[4:5]
	s_cbranch_execz .LBB2_17
; %bb.10:                               ;   in Loop: Header=BB2_9 Depth=3
	v_ashrrev_i32_e32 v8, 31, v7
	v_lshlrev_b64 v[8:9], 2, v[7:8]
	v_mov_b32_e32 v0, s13
	v_add_co_u32_e32 v29, vcc, s12, v8
	v_addc_co_u32_e32 v30, vcc, v0, v9, vcc
	v_mov_b32_e32 v0, s15
	v_add_co_u32_e32 v31, vcc, s14, v8
	v_addc_co_u32_e32 v32, vcc, v0, v9, vcc
	v_mov_b32_e32 v0, 0
	v_mov_b32_e32 v28, 0
	s_mov_b64 s[48:49], 0
	v_mov_b32_e32 v8, v0
                                        ; implicit-def: $sgpr50_sgpr51
	s_branch .LBB2_13
.LBB2_11:                               ;   in Loop: Header=BB2_13 Depth=4
	s_or_b64 exec, exec, s[54:55]
	v_cmp_le_i32_e32 vcc, v9, v33
	v_addc_co_u32_e32 v0, vcc, 0, v0, vcc
	v_cmp_ge_i32_e32 vcc, v9, v33
	v_addc_co_u32_e32 v8, vcc, 0, v8, vcc
	v_cmp_ge_i32_e32 vcc, v0, v23
	s_andn2_b64 s[50:51], s[50:51], exec
	s_and_b64 s[54:55], vcc, exec
	s_or_b64 s[50:51], s[50:51], s[54:55]
.LBB2_12:                               ;   in Loop: Header=BB2_13 Depth=4
	s_or_b64 exec, exec, s[52:53]
	s_and_b64 s[52:53], exec, s[50:51]
	s_or_b64 s[48:49], s[52:53], s[48:49]
	s_andn2_b64 exec, exec, s[48:49]
	s_cbranch_execz .LBB2_16
.LBB2_13:                               ;   Parent Loop BB2_3 Depth=1
                                        ;     Parent Loop BB2_5 Depth=2
                                        ;       Parent Loop BB2_9 Depth=3
                                        ; =>      This Inner Loop Header: Depth=4
	v_cmp_lt_i32_e32 vcc, v8, v4
	s_or_b64 s[50:51], s[50:51], exec
	s_and_saveexec_b64 s[52:53], vcc
	s_cbranch_execz .LBB2_12
; %bb.14:                               ;   in Loop: Header=BB2_13 Depth=4
	v_lshlrev_b64 v[14:15], 2, v[0:1]
	v_mov_b32_e32 v9, v1
	v_add_co_u32_e32 v16, vcc, v24, v14
	v_addc_co_u32_e32 v17, vcc, v25, v15, vcc
	global_load_dword v35, v[16:17], off
	v_lshlrev_b64 v[16:17], 2, v[8:9]
	v_add_co_u32_e32 v33, vcc, v29, v16
	v_addc_co_u32_e32 v34, vcc, v30, v17, vcc
	global_load_dword v33, v[33:34], off
	s_waitcnt vmcnt(1)
	v_subrev_u32_e32 v9, s65, v35
	s_waitcnt vmcnt(0)
	v_subrev_u32_e32 v33, s66, v33
	v_cmp_eq_u32_e32 vcc, v9, v33
	s_and_saveexec_b64 s[54:55], vcc
	s_cbranch_execz .LBB2_11
; %bb.15:                               ;   in Loop: Header=BB2_13 Depth=4
	v_add_co_u32_e32 v14, vcc, v26, v14
	v_addc_co_u32_e32 v15, vcc, v27, v15, vcc
	v_add_co_u32_e32 v16, vcc, v31, v16
	v_addc_co_u32_e32 v17, vcc, v32, v17, vcc
	global_load_dword v14, v[14:15], off
	s_nop 0
	global_load_dword v15, v[16:17], off
	s_waitcnt vmcnt(0)
	v_fmac_f32_e32 v28, v14, v15
	s_branch .LBB2_11
.LBB2_16:                               ;   in Loop: Header=BB2_9 Depth=3
	s_or_b64 exec, exec, s[48:49]
.LBB2_17:                               ;   in Loop: Header=BB2_9 Depth=3
	s_or_b64 exec, exec, s[6:7]
	v_mov_b32_e32 v9, s31
	v_add_co_u32_e32 v12, vcc, s30, v12
	v_addc_co_u32_e32 v13, vcc, v9, v13, vcc
	global_load_dword v9, v[12:13], off
	v_cmp_le_i32_e64 s[6:7], v2, v6
	v_cmp_gt_i32_e32 vcc, v2, v6
	s_waitcnt vmcnt(0)
	v_sub_f32_e32 v12, v9, v28
	s_and_saveexec_b64 s[48:49], vcc
	s_cbranch_execz .LBB2_21
; %bb.18:                               ;   in Loop: Header=BB2_9 Depth=3
	v_mov_b32_e32 v9, s37
	v_add_co_u32_e32 v13, vcc, s36, v10
	v_addc_co_u32_e32 v14, vcc, v9, v11, vcc
	global_load_dword v9, v[13:14], off
	v_mov_b32_e32 v13, 0
	s_waitcnt vmcnt(0)
	v_cmp_lg_f32_e32 vcc, 0, v9
	s_and_saveexec_b64 s[50:51], vcc
	s_cbranch_execz .LBB2_20
; %bb.19:                               ;   in Loop: Header=BB2_9 Depth=3
	v_div_scale_f32 v13, s[52:53], v9, v9, v12
	v_div_scale_f32 v14, vcc, v12, v9, v12
	v_rcp_f32_e32 v15, v13
	v_fma_f32 v16, -v13, v15, 1.0
	v_fmac_f32_e32 v15, v16, v15
	v_mul_f32_e32 v16, v14, v15
	v_fma_f32 v17, -v13, v16, v14
	v_fmac_f32_e32 v16, v17, v15
	v_fma_f32 v13, -v13, v16, v14
	v_div_fmas_f32 v13, v13, v15, v16
	v_div_fixup_f32 v13, v13, v9, v12
.LBB2_20:                               ;   in Loop: Header=BB2_9 Depth=3
	s_or_b64 exec, exec, s[50:51]
	v_mov_b32_e32 v12, v13
.LBB2_21:                               ;   in Loop: Header=BB2_9 Depth=3
	s_or_b64 exec, exec, s[48:49]
	v_cmp_class_f32_e64 s[50:51], v12, s68
	s_and_saveexec_b64 s[48:49], s[50:51]
	s_cbranch_execz .LBB2_8
; %bb.22:                               ;   in Loop: Header=BB2_9 Depth=3
	s_and_saveexec_b64 s[50:51], s[6:7]
	s_xor_b64 s[6:7], exec, s[50:51]
	s_cbranch_execz .LBB2_35
; %bb.23:                               ;   in Loop: Header=BB2_9 Depth=3
	v_cmp_ge_i32_e32 vcc, v2, v6
	s_and_saveexec_b64 s[50:51], vcc
	s_xor_b64 s[50:51], exec, s[50:51]
	s_cbranch_execz .LBB2_25
; %bb.24:                               ;   in Loop: Header=BB2_9 Depth=3
	v_mov_b32_e32 v0, s39
	v_add_co_u32_e32 v6, vcc, s38, v10
	v_addc_co_u32_e32 v7, vcc, v0, v11, vcc
	global_store_dword v[6:7], v12, off
                                        ; implicit-def: $vgpr8
                                        ; implicit-def: $vgpr4
                                        ; implicit-def: $vgpr12
                                        ; implicit-def: $vgpr7
.LBB2_25:                               ;   in Loop: Header=BB2_9 Depth=3
	s_andn2_saveexec_b64 s[50:51], s[50:51]
	s_cbranch_execz .LBB2_34
; %bb.26:                               ;   in Loop: Header=BB2_9 Depth=3
	v_cmp_lt_i32_e32 vcc, v8, v4
	s_and_saveexec_b64 s[52:53], vcc
	s_cbranch_execz .LBB2_33
; %bb.27:                               ;   in Loop: Header=BB2_9 Depth=3
	s_mov_b64 s[54:55], 0
                                        ; implicit-def: $sgpr56_sgpr57
                                        ; implicit-def: $sgpr60_sgpr61
                                        ; implicit-def: $sgpr58_sgpr59
	s_branch .LBB2_29
.LBB2_28:                               ;   in Loop: Header=BB2_29 Depth=4
	s_or_b64 exec, exec, s[62:63]
	s_and_b64 s[62:63], exec, s[60:61]
	s_or_b64 s[54:55], s[62:63], s[54:55]
	s_andn2_b64 s[56:57], s[56:57], exec
	s_and_b64 s[62:63], s[58:59], exec
	s_or_b64 s[56:57], s[56:57], s[62:63]
	s_andn2_b64 exec, exec, s[54:55]
	s_cbranch_execz .LBB2_31
.LBB2_29:                               ;   Parent Loop BB2_3 Depth=1
                                        ;     Parent Loop BB2_5 Depth=2
                                        ;       Parent Loop BB2_9 Depth=3
                                        ; =>      This Inner Loop Header: Depth=4
	v_add_u32_e32 v9, v7, v8
	v_ashrrev_i32_e32 v10, 31, v9
	v_lshlrev_b64 v[9:10], 2, v[9:10]
	v_mov_b32_e32 v0, s13
	v_add_co_u32_e32 v13, vcc, s12, v9
	v_addc_co_u32_e32 v14, vcc, v0, v10, vcc
	global_load_dword v0, v[13:14], off
	s_or_b64 s[58:59], s[58:59], exec
	s_or_b64 s[60:61], s[60:61], exec
	s_waitcnt vmcnt(0)
	v_subrev_u32_e32 v0, s66, v0
	v_cmp_ne_u32_e32 vcc, v0, v2
	s_and_saveexec_b64 s[62:63], vcc
	s_cbranch_execz .LBB2_28
; %bb.30:                               ;   in Loop: Header=BB2_29 Depth=4
	v_add_u32_e32 v8, 1, v8
	v_cmp_ge_i32_e32 vcc, v8, v4
	s_andn2_b64 s[60:61], s[60:61], exec
	s_and_b64 s[70:71], vcc, exec
	s_andn2_b64 s[58:59], s[58:59], exec
	s_or_b64 s[60:61], s[60:61], s[70:71]
	s_branch .LBB2_28
.LBB2_31:                               ;   in Loop: Header=BB2_9 Depth=3
	s_or_b64 exec, exec, s[54:55]
	s_and_saveexec_b64 s[54:55], s[56:57]
	s_xor_b64 s[54:55], exec, s[54:55]
	s_cbranch_execz .LBB2_33
; %bb.32:                               ;   in Loop: Header=BB2_9 Depth=3
	v_mov_b32_e32 v0, s43
	v_add_co_u32_e32 v6, vcc, s42, v9
	v_addc_co_u32_e32 v7, vcc, v0, v10, vcc
	global_store_dword v[6:7], v12, off
.LBB2_33:                               ;   in Loop: Header=BB2_9 Depth=3
	s_or_b64 exec, exec, s[52:53]
.LBB2_34:                               ;   in Loop: Header=BB2_9 Depth=3
	s_or_b64 exec, exec, s[50:51]
                                        ; implicit-def: $vgpr12
                                        ; implicit-def: $vgpr6_vgpr7
.LBB2_35:                               ;   in Loop: Header=BB2_9 Depth=3
	s_andn2_saveexec_b64 s[6:7], s[6:7]
	s_cbranch_execz .LBB2_8
; %bb.36:                               ;   in Loop: Header=BB2_9 Depth=3
	v_cmp_lt_i32_e32 vcc, v0, v23
	s_and_b64 exec, exec, vcc
	s_cbranch_execz .LBB2_8
; %bb.37:                               ;   in Loop: Header=BB2_9 Depth=3
	s_mov_b64 s[6:7], 0
                                        ; implicit-def: $sgpr50_sgpr51
                                        ; implicit-def: $sgpr54_sgpr55
                                        ; implicit-def: $sgpr52_sgpr53
	s_branch .LBB2_39
.LBB2_38:                               ;   in Loop: Header=BB2_39 Depth=4
	s_or_b64 exec, exec, s[56:57]
	s_and_b64 s[56:57], exec, s[54:55]
	s_or_b64 s[6:7], s[56:57], s[6:7]
	s_andn2_b64 s[50:51], s[50:51], exec
	s_and_b64 s[56:57], s[52:53], exec
	s_or_b64 s[50:51], s[50:51], s[56:57]
	s_andn2_b64 exec, exec, s[6:7]
	s_cbranch_execz .LBB2_41
.LBB2_39:                               ;   Parent Loop BB2_3 Depth=1
                                        ;     Parent Loop BB2_5 Depth=2
                                        ;       Parent Loop BB2_9 Depth=3
                                        ; =>      This Inner Loop Header: Depth=4
	v_add_u32_e32 v7, v5, v0
	v_ashrrev_i32_e32 v8, 31, v7
	v_lshlrev_b64 v[7:8], 2, v[7:8]
	v_mov_b32_e32 v4, s21
	v_add_co_u32_e32 v9, vcc, s20, v7
	v_addc_co_u32_e32 v10, vcc, v4, v8, vcc
	global_load_dword v4, v[9:10], off
	s_or_b64 s[52:53], s[52:53], exec
	s_or_b64 s[54:55], s[54:55], exec
	s_waitcnt vmcnt(0)
	v_subrev_u32_e32 v4, s65, v4
	v_cmp_ne_u32_e32 vcc, v4, v6
	s_and_saveexec_b64 s[56:57], vcc
	s_cbranch_execz .LBB2_38
; %bb.40:                               ;   in Loop: Header=BB2_39 Depth=4
	v_add_u32_e32 v0, 1, v0
	v_cmp_ge_i32_e32 vcc, v0, v23
	s_andn2_b64 s[54:55], s[54:55], exec
	s_and_b64 s[58:59], vcc, exec
	s_andn2_b64 s[52:53], s[52:53], exec
	s_or_b64 s[54:55], s[54:55], s[58:59]
	s_branch .LBB2_38
.LBB2_41:                               ;   in Loop: Header=BB2_9 Depth=3
	s_or_b64 exec, exec, s[6:7]
	s_and_saveexec_b64 s[6:7], s[50:51]
	s_xor_b64 s[6:7], exec, s[6:7]
	s_cbranch_execz .LBB2_8
; %bb.42:                               ;   in Loop: Header=BB2_9 Depth=3
	v_mov_b32_e32 v0, s41
	v_add_co_u32_e32 v6, vcc, s40, v7
	v_addc_co_u32_e32 v7, vcc, v0, v8, vcc
	global_store_dword v[6:7], v12, off
	s_branch .LBB2_8
.LBB2_43:                               ;   in Loop: Header=BB2_3 Depth=1
	s_and_saveexec_b64 s[4:5], s[0:1]
	s_cbranch_execz .LBB2_2
; %bb.44:                               ;   in Loop: Header=BB2_3 Depth=1
	s_mov_b64 s[6:7], 0
	v_mov_b32_e32 v2, v18
	s_branch .LBB2_46
.LBB2_45:                               ;   in Loop: Header=BB2_46 Depth=2
	s_or_b64 exec, exec, s[44:45]
	v_add_u32_e32 v2, 0x100, v2
	v_cmp_le_u32_e32 vcc, s67, v2
	s_or_b64 s[6:7], vcc, s[6:7]
	s_andn2_b64 exec, exec, s[6:7]
	s_cbranch_execz .LBB2_2
.LBB2_46:                               ;   Parent Loop BB2_3 Depth=1
                                        ; =>  This Loop Header: Depth=2
                                        ;       Child Loop BB2_49 Depth 3
                                        ;       Child Loop BB2_52 Depth 3
	v_cmp_gt_i32_e32 vcc, s35, v2
	s_and_saveexec_b64 s[44:45], vcc
	s_cbranch_execz .LBB2_45
; %bb.47:                               ;   in Loop: Header=BB2_46 Depth=2
	v_ashrrev_i32_e32 v3, 31, v2
	v_lshlrev_b64 v[3:4], 2, v[2:3]
	v_mov_b32_e32 v0, s17
	v_add_co_u32_e32 v5, vcc, s16, v3
	v_addc_co_u32_e32 v6, vcc, v0, v4, vcc
	global_load_dword v0, v[5:6], off
	v_mov_b32_e32 v6, s19
	v_add_co_u32_e32 v5, vcc, s18, v3
	v_addc_co_u32_e32 v6, vcc, v6, v4, vcc
	global_load_dword v6, v[5:6], off
	s_waitcnt vmcnt(1)
	v_add_u32_e32 v5, v20, v0
	s_waitcnt vmcnt(0)
	v_subrev_u32_e32 v0, s65, v6
	v_cmp_lt_i32_e32 vcc, v5, v0
	s_and_saveexec_b64 s[46:47], vcc
	s_cbranch_execz .LBB2_50
; %bb.48:                               ;   in Loop: Header=BB2_46 Depth=2
	v_ashrrev_i32_e32 v6, 31, v5
	v_lshlrev_b64 v[8:9], 2, v[5:6]
	v_mov_b32_e32 v7, s41
	v_add_co_u32_e32 v6, vcc, s40, v8
	v_addc_co_u32_e32 v7, vcc, v7, v9, vcc
	v_mov_b32_e32 v10, s23
	v_add_co_u32_e32 v8, vcc, s22, v8
	v_addc_co_u32_e32 v9, vcc, v10, v9, vcc
	s_mov_b64 s[48:49], 0
.LBB2_49:                               ;   Parent Loop BB2_3 Depth=1
                                        ;     Parent Loop BB2_46 Depth=2
                                        ; =>    This Inner Loop Header: Depth=3
	global_load_dword v10, v[6:7], off
	v_add_co_u32_e32 v6, vcc, 16, v6
	v_add_u32_e32 v5, 4, v5
	v_addc_co_u32_e32 v7, vcc, 0, v7, vcc
	v_cmp_ge_i32_e32 vcc, v5, v0
	s_or_b64 s[48:49], vcc, s[48:49]
	s_waitcnt vmcnt(0)
	global_store_dword v[8:9], v10, off
	v_add_co_u32_e32 v8, vcc, 16, v8
	v_addc_co_u32_e32 v9, vcc, 0, v9, vcc
	s_andn2_b64 exec, exec, s[48:49]
	s_cbranch_execnz .LBB2_49
.LBB2_50:                               ;   in Loop: Header=BB2_46 Depth=2
	s_or_b64 exec, exec, s[46:47]
	v_mov_b32_e32 v0, s9
	v_add_co_u32_e32 v5, vcc, s8, v3
	v_addc_co_u32_e32 v6, vcc, v0, v4, vcc
	global_load_dword v0, v[5:6], off
	v_mov_b32_e32 v6, s11
	v_add_co_u32_e32 v5, vcc, s10, v3
	v_addc_co_u32_e32 v6, vcc, v6, v4, vcc
	global_load_dword v6, v[5:6], off
	s_waitcnt vmcnt(1)
	v_add_u32_e32 v5, v21, v0
	s_waitcnt vmcnt(0)
	v_subrev_u32_e32 v0, s66, v6
	v_cmp_lt_i32_e32 vcc, v5, v0
	s_and_saveexec_b64 s[46:47], vcc
	s_cbranch_execz .LBB2_53
; %bb.51:                               ;   in Loop: Header=BB2_46 Depth=2
	v_ashrrev_i32_e32 v6, 31, v5
	v_lshlrev_b64 v[8:9], 2, v[5:6]
	v_mov_b32_e32 v7, s43
	v_add_co_u32_e32 v6, vcc, s42, v8
	v_addc_co_u32_e32 v7, vcc, v7, v9, vcc
	v_mov_b32_e32 v10, s15
	v_add_co_u32_e32 v8, vcc, s14, v8
	v_addc_co_u32_e32 v9, vcc, v10, v9, vcc
	s_mov_b64 s[48:49], 0
.LBB2_52:                               ;   Parent Loop BB2_3 Depth=1
                                        ;     Parent Loop BB2_46 Depth=2
                                        ; =>    This Inner Loop Header: Depth=3
	global_load_dword v10, v[6:7], off
	v_add_co_u32_e32 v6, vcc, 16, v6
	v_add_u32_e32 v5, 4, v5
	v_addc_co_u32_e32 v7, vcc, 0, v7, vcc
	v_cmp_ge_i32_e32 vcc, v5, v0
	s_or_b64 s[48:49], vcc, s[48:49]
	s_waitcnt vmcnt(0)
	global_store_dword v[8:9], v10, off
	v_add_co_u32_e32 v8, vcc, 16, v8
	v_addc_co_u32_e32 v9, vcc, 0, v9, vcc
	s_andn2_b64 exec, exec, s[48:49]
	s_cbranch_execnz .LBB2_52
.LBB2_53:                               ;   in Loop: Header=BB2_46 Depth=2
	s_or_b64 exec, exec, s[46:47]
	s_and_b64 exec, exec, s[2:3]
	s_cbranch_execz .LBB2_45
; %bb.54:                               ;   in Loop: Header=BB2_46 Depth=2
	v_mov_b32_e32 v0, s39
	v_add_co_u32_e32 v5, vcc, s38, v3
	v_addc_co_u32_e32 v6, vcc, v0, v4, vcc
	global_load_dword v0, v[5:6], off
	v_mov_b32_e32 v5, s37
	v_add_co_u32_e32 v3, vcc, s36, v3
	v_addc_co_u32_e32 v4, vcc, v5, v4, vcc
	s_waitcnt vmcnt(0)
	global_store_dword v[3:4], v0, off
	s_branch .LBB2_45
.LBB2_55:
	s_endpgm
	.section	.rodata,"a",@progbits
	.p2align	6, 0x0
	.amdhsa_kernel _ZN9rocsparseL14kernel_freerunILi1024ELi4EfiiEEvT3_S1_T2_PKS2_S4_PKS1_PKT1_21rocsparse_index_base_S4_S4_S6_PS7_SB_SA_S4_S4_S6_SB_SB_SA_SB_SB_
		.amdhsa_group_segment_fixed_size 0
		.amdhsa_private_segment_fixed_size 0
		.amdhsa_kernarg_size 168
		.amdhsa_user_sgpr_count 6
		.amdhsa_user_sgpr_private_segment_buffer 1
		.amdhsa_user_sgpr_dispatch_ptr 0
		.amdhsa_user_sgpr_queue_ptr 0
		.amdhsa_user_sgpr_kernarg_segment_ptr 1
		.amdhsa_user_sgpr_dispatch_id 0
		.amdhsa_user_sgpr_flat_scratch_init 0
		.amdhsa_user_sgpr_private_segment_size 0
		.amdhsa_uses_dynamic_stack 0
		.amdhsa_system_sgpr_private_segment_wavefront_offset 0
		.amdhsa_system_sgpr_workgroup_id_x 1
		.amdhsa_system_sgpr_workgroup_id_y 0
		.amdhsa_system_sgpr_workgroup_id_z 0
		.amdhsa_system_sgpr_workgroup_info 0
		.amdhsa_system_vgpr_workitem_id 0
		.amdhsa_next_free_vgpr 36
		.amdhsa_next_free_sgpr 72
		.amdhsa_reserve_vcc 1
		.amdhsa_reserve_flat_scratch 0
		.amdhsa_float_round_mode_32 0
		.amdhsa_float_round_mode_16_64 0
		.amdhsa_float_denorm_mode_32 3
		.amdhsa_float_denorm_mode_16_64 3
		.amdhsa_dx10_clamp 1
		.amdhsa_ieee_mode 1
		.amdhsa_fp16_overflow 0
		.amdhsa_exception_fp_ieee_invalid_op 0
		.amdhsa_exception_fp_denorm_src 0
		.amdhsa_exception_fp_ieee_div_zero 0
		.amdhsa_exception_fp_ieee_overflow 0
		.amdhsa_exception_fp_ieee_underflow 0
		.amdhsa_exception_fp_ieee_inexact 0
		.amdhsa_exception_int_div_zero 0
	.end_amdhsa_kernel
	.section	.text._ZN9rocsparseL14kernel_freerunILi1024ELi4EfiiEEvT3_S1_T2_PKS2_S4_PKS1_PKT1_21rocsparse_index_base_S4_S4_S6_PS7_SB_SA_S4_S4_S6_SB_SB_SA_SB_SB_,"axG",@progbits,_ZN9rocsparseL14kernel_freerunILi1024ELi4EfiiEEvT3_S1_T2_PKS2_S4_PKS1_PKT1_21rocsparse_index_base_S4_S4_S6_PS7_SB_SA_S4_S4_S6_SB_SB_SA_SB_SB_,comdat
.Lfunc_end2:
	.size	_ZN9rocsparseL14kernel_freerunILi1024ELi4EfiiEEvT3_S1_T2_PKS2_S4_PKS1_PKT1_21rocsparse_index_base_S4_S4_S6_PS7_SB_SA_S4_S4_S6_SB_SB_SA_SB_SB_, .Lfunc_end2-_ZN9rocsparseL14kernel_freerunILi1024ELi4EfiiEEvT3_S1_T2_PKS2_S4_PKS1_PKT1_21rocsparse_index_base_S4_S4_S6_PS7_SB_SA_S4_S4_S6_SB_SB_SA_SB_SB_
                                        ; -- End function
	.set _ZN9rocsparseL14kernel_freerunILi1024ELi4EfiiEEvT3_S1_T2_PKS2_S4_PKS1_PKT1_21rocsparse_index_base_S4_S4_S6_PS7_SB_SA_S4_S4_S6_SB_SB_SA_SB_SB_.num_vgpr, 36
	.set _ZN9rocsparseL14kernel_freerunILi1024ELi4EfiiEEvT3_S1_T2_PKS2_S4_PKS1_PKT1_21rocsparse_index_base_S4_S4_S6_PS7_SB_SA_S4_S4_S6_SB_SB_SA_SB_SB_.num_agpr, 0
	.set _ZN9rocsparseL14kernel_freerunILi1024ELi4EfiiEEvT3_S1_T2_PKS2_S4_PKS1_PKT1_21rocsparse_index_base_S4_S4_S6_PS7_SB_SA_S4_S4_S6_SB_SB_SA_SB_SB_.numbered_sgpr, 72
	.set _ZN9rocsparseL14kernel_freerunILi1024ELi4EfiiEEvT3_S1_T2_PKS2_S4_PKS1_PKT1_21rocsparse_index_base_S4_S4_S6_PS7_SB_SA_S4_S4_S6_SB_SB_SA_SB_SB_.num_named_barrier, 0
	.set _ZN9rocsparseL14kernel_freerunILi1024ELi4EfiiEEvT3_S1_T2_PKS2_S4_PKS1_PKT1_21rocsparse_index_base_S4_S4_S6_PS7_SB_SA_S4_S4_S6_SB_SB_SA_SB_SB_.private_seg_size, 0
	.set _ZN9rocsparseL14kernel_freerunILi1024ELi4EfiiEEvT3_S1_T2_PKS2_S4_PKS1_PKT1_21rocsparse_index_base_S4_S4_S6_PS7_SB_SA_S4_S4_S6_SB_SB_SA_SB_SB_.uses_vcc, 1
	.set _ZN9rocsparseL14kernel_freerunILi1024ELi4EfiiEEvT3_S1_T2_PKS2_S4_PKS1_PKT1_21rocsparse_index_base_S4_S4_S6_PS7_SB_SA_S4_S4_S6_SB_SB_SA_SB_SB_.uses_flat_scratch, 0
	.set _ZN9rocsparseL14kernel_freerunILi1024ELi4EfiiEEvT3_S1_T2_PKS2_S4_PKS1_PKT1_21rocsparse_index_base_S4_S4_S6_PS7_SB_SA_S4_S4_S6_SB_SB_SA_SB_SB_.has_dyn_sized_stack, 0
	.set _ZN9rocsparseL14kernel_freerunILi1024ELi4EfiiEEvT3_S1_T2_PKS2_S4_PKS1_PKT1_21rocsparse_index_base_S4_S4_S6_PS7_SB_SA_S4_S4_S6_SB_SB_SA_SB_SB_.has_recursion, 0
	.set _ZN9rocsparseL14kernel_freerunILi1024ELi4EfiiEEvT3_S1_T2_PKS2_S4_PKS1_PKT1_21rocsparse_index_base_S4_S4_S6_PS7_SB_SA_S4_S4_S6_SB_SB_SA_SB_SB_.has_indirect_call, 0
	.section	.AMDGPU.csdata,"",@progbits
; Kernel info:
; codeLenInByte = 1932
; TotalNumSgprs: 76
; NumVgprs: 36
; ScratchSize: 0
; MemoryBound: 0
; FloatMode: 240
; IeeeMode: 1
; LDSByteSize: 0 bytes/workgroup (compile time only)
; SGPRBlocks: 9
; VGPRBlocks: 8
; NumSGPRsForWavesPerEU: 76
; NumVGPRsForWavesPerEU: 36
; Occupancy: 7
; WaveLimiterHint : 1
; COMPUTE_PGM_RSRC2:SCRATCH_EN: 0
; COMPUTE_PGM_RSRC2:USER_SGPR: 6
; COMPUTE_PGM_RSRC2:TRAP_HANDLER: 0
; COMPUTE_PGM_RSRC2:TGID_X_EN: 1
; COMPUTE_PGM_RSRC2:TGID_Y_EN: 0
; COMPUTE_PGM_RSRC2:TGID_Z_EN: 0
; COMPUTE_PGM_RSRC2:TIDIG_COMP_CNT: 0
	.section	.text._ZN9rocsparseL14kernel_freerunILi1024ELi8EfiiEEvT3_S1_T2_PKS2_S4_PKS1_PKT1_21rocsparse_index_base_S4_S4_S6_PS7_SB_SA_S4_S4_S6_SB_SB_SA_SB_SB_,"axG",@progbits,_ZN9rocsparseL14kernel_freerunILi1024ELi8EfiiEEvT3_S1_T2_PKS2_S4_PKS1_PKT1_21rocsparse_index_base_S4_S4_S6_PS7_SB_SA_S4_S4_S6_SB_SB_SA_SB_SB_,comdat
	.globl	_ZN9rocsparseL14kernel_freerunILi1024ELi8EfiiEEvT3_S1_T2_PKS2_S4_PKS1_PKT1_21rocsparse_index_base_S4_S4_S6_PS7_SB_SA_S4_S4_S6_SB_SB_SA_SB_SB_ ; -- Begin function _ZN9rocsparseL14kernel_freerunILi1024ELi8EfiiEEvT3_S1_T2_PKS2_S4_PKS1_PKT1_21rocsparse_index_base_S4_S4_S6_PS7_SB_SA_S4_S4_S6_SB_SB_SA_SB_SB_
	.p2align	8
	.type	_ZN9rocsparseL14kernel_freerunILi1024ELi8EfiiEEvT3_S1_T2_PKS2_S4_PKS1_PKT1_21rocsparse_index_base_S4_S4_S6_PS7_SB_SA_S4_S4_S6_SB_SB_SA_SB_SB_,@function
_ZN9rocsparseL14kernel_freerunILi1024ELi8EfiiEEvT3_S1_T2_PKS2_S4_PKS1_PKT1_21rocsparse_index_base_S4_S4_S6_PS7_SB_SA_S4_S4_S6_SB_SB_SA_SB_SB_: ; @_ZN9rocsparseL14kernel_freerunILi1024ELi8EfiiEEvT3_S1_T2_PKS2_S4_PKS1_PKT1_21rocsparse_index_base_S4_S4_S6_PS7_SB_SA_S4_S4_S6_SB_SB_SA_SB_SB_
; %bb.0:
	s_load_dwordx2 s[34:35], s[4:5], 0x0
	v_lshrrev_b32_e32 v1, 3, v0
	s_lshl_b32 s67, s6, 10
	v_or_b32_e32 v18, s67, v1
	s_mov_b32 s33, 0
	s_waitcnt lgkmcnt(0)
	s_cmp_gt_i32 s34, 0
	v_cmp_gt_i32_e32 vcc, s35, v18
	s_cselect_b64 s[0:1], -1, 0
	s_and_b64 s[0:1], vcc, s[0:1]
	s_and_saveexec_b64 s[2:3], s[0:1]
	s_cbranch_execz .LBB3_55
; %bb.1:
	s_load_dwordx4 s[36:39], s[4:5], 0x98
	s_load_dwordx8 s[8:15], s[4:5], 0x68
	s_load_dwordx8 s[16:23], s[4:5], 0x38
	;; [unrolled: 1-line block ×3, first 2 shown]
	s_load_dword s64, s[4:5], 0x30
	s_load_dwordx2 s[40:41], s[4:5], 0x58
	s_load_dword s65, s[4:5], 0x60
	s_load_dwordx2 s[42:43], s[4:5], 0x88
	s_load_dword s66, s[4:5], 0x90
	v_and_b32_e32 v0, 7, v0
	s_addk_i32 s67, 0x400
	s_waitcnt lgkmcnt(0)
	v_subrev_u32_e32 v19, s64, v0
	v_cmp_gt_u32_e64 s[0:1], s67, v18
	v_subrev_u32_e32 v20, s65, v0
	v_subrev_u32_e32 v21, s66, v0
	v_cmp_eq_u32_e64 s[2:3], 0, v0
	v_mov_b32_e32 v1, 0
	s_movk_i32 s68, 0x1f8
	s_branch .LBB3_3
.LBB3_2:                                ;   in Loop: Header=BB3_3 Depth=1
	s_or_b64 exec, exec, s[4:5]
	s_add_i32 s33, s33, 1
	s_cmp_eq_u32 s33, s34
	s_cbranch_scc1 .LBB3_55
.LBB3_3:                                ; =>This Loop Header: Depth=1
                                        ;     Child Loop BB3_5 Depth 2
                                        ;       Child Loop BB3_9 Depth 3
                                        ;         Child Loop BB3_13 Depth 4
                                        ;         Child Loop BB3_29 Depth 4
	;; [unrolled: 1-line block ×3, first 2 shown]
                                        ;     Child Loop BB3_46 Depth 2
                                        ;       Child Loop BB3_49 Depth 3
                                        ;       Child Loop BB3_52 Depth 3
	s_mov_b32 s69, 0
	s_branch .LBB3_5
.LBB3_4:                                ;   in Loop: Header=BB3_5 Depth=2
	s_or_b64 exec, exec, s[44:45]
	s_add_i32 s69, s69, 1
	s_cmp_eq_u32 s69, 8
	s_cbranch_scc1 .LBB3_43
.LBB3_5:                                ;   Parent Loop BB3_3 Depth=1
                                        ; =>  This Loop Header: Depth=2
                                        ;       Child Loop BB3_9 Depth 3
                                        ;         Child Loop BB3_13 Depth 4
                                        ;         Child Loop BB3_29 Depth 4
	;; [unrolled: 1-line block ×3, first 2 shown]
	v_lshl_add_u32 v2, s69, 7, v18
	v_cmp_gt_i32_e32 vcc, s35, v2
	s_and_saveexec_b64 s[44:45], vcc
	s_cbranch_execz .LBB3_4
; %bb.6:                                ;   in Loop: Header=BB3_5 Depth=2
	v_ashrrev_i32_e32 v3, 31, v2
	v_lshlrev_b64 v[4:5], 2, v[2:3]
	v_mov_b32_e32 v0, s25
	v_add_co_u32_e32 v6, vcc, s24, v4
	v_addc_co_u32_e32 v7, vcc, v0, v5, vcc
	global_load_dword v0, v[6:7], off
	v_mov_b32_e32 v3, s27
	v_add_co_u32_e32 v6, vcc, s26, v4
	v_addc_co_u32_e32 v7, vcc, v3, v5, vcc
	global_load_dword v6, v[6:7], off
	s_waitcnt vmcnt(1)
	v_add_u32_e32 v3, v19, v0
	s_waitcnt vmcnt(0)
	v_subrev_u32_e32 v22, s64, v6
	v_cmp_lt_i32_e32 vcc, v3, v22
	s_and_b64 exec, exec, vcc
	s_cbranch_execz .LBB3_4
; %bb.7:                                ;   in Loop: Header=BB3_5 Depth=2
	v_mov_b32_e32 v0, s19
	v_add_co_u32_e32 v6, vcc, s18, v4
	v_addc_co_u32_e32 v7, vcc, v0, v5, vcc
	v_mov_b32_e32 v0, s17
	v_add_co_u32_e32 v4, vcc, s16, v4
	v_addc_co_u32_e32 v5, vcc, v0, v5, vcc
	global_load_dword v0, v[4:5], off
	global_load_dword v8, v[6:7], off
	v_mov_b32_e32 v4, s21
	v_mov_b32_e32 v9, s23
	s_mov_b64 s[46:47], 0
	s_waitcnt vmcnt(1)
	v_subrev_u32_e32 v5, s65, v0
	v_ashrrev_i32_e32 v6, 31, v5
	v_lshlrev_b64 v[6:7], 2, v[5:6]
	s_waitcnt vmcnt(0)
	v_sub_u32_e32 v23, v8, v0
	v_add_co_u32_e32 v24, vcc, s20, v6
	v_addc_co_u32_e32 v25, vcc, v4, v7, vcc
	v_add_co_u32_e32 v26, vcc, s22, v6
	v_cmp_lt_i32_e64 s[4:5], 0, v23
	v_addc_co_u32_e32 v27, vcc, v9, v7, vcc
	s_branch .LBB3_9
.LBB3_8:                                ;   in Loop: Header=BB3_9 Depth=3
	s_or_b64 exec, exec, s[48:49]
	v_add_u32_e32 v3, 8, v3
	v_cmp_ge_i32_e32 vcc, v3, v22
	s_or_b64 s[46:47], vcc, s[46:47]
	s_andn2_b64 exec, exec, s[46:47]
	s_cbranch_execz .LBB3_4
.LBB3_9:                                ;   Parent Loop BB3_3 Depth=1
                                        ;     Parent Loop BB3_5 Depth=2
                                        ; =>    This Loop Header: Depth=3
                                        ;         Child Loop BB3_13 Depth 4
                                        ;         Child Loop BB3_29 Depth 4
	;; [unrolled: 1-line block ×3, first 2 shown]
	v_ashrrev_i32_e32 v4, 31, v3
	v_lshlrev_b64 v[12:13], 2, v[3:4]
	v_mov_b32_e32 v0, s29
	v_add_co_u32_e32 v6, vcc, s28, v12
	v_addc_co_u32_e32 v7, vcc, v0, v13, vcc
	global_load_dword v0, v[6:7], off
	v_mov_b32_e32 v4, s9
	v_mov_b32_e32 v9, s11
	;; [unrolled: 1-line block ×3, first 2 shown]
	s_waitcnt vmcnt(0)
	v_subrev_u32_e32 v6, s64, v0
	v_ashrrev_i32_e32 v7, 31, v6
	v_lshlrev_b64 v[10:11], 2, v[6:7]
	v_add_co_u32_e32 v7, vcc, s8, v10
	v_addc_co_u32_e32 v8, vcc, v4, v11, vcc
	v_add_co_u32_e32 v14, vcc, s10, v10
	v_addc_co_u32_e32 v15, vcc, v9, v11, vcc
	global_load_dword v0, v[7:8], off
	global_load_dword v4, v[14:15], off
	v_mov_b32_e32 v8, 0
	s_waitcnt vmcnt(1)
	v_subrev_u32_e32 v7, s66, v0
	s_waitcnt vmcnt(0)
	v_sub_u32_e32 v4, v4, v0
	v_mov_b32_e32 v0, v8
	s_and_saveexec_b64 s[6:7], s[4:5]
	s_cbranch_execz .LBB3_17
; %bb.10:                               ;   in Loop: Header=BB3_9 Depth=3
	v_ashrrev_i32_e32 v8, 31, v7
	v_lshlrev_b64 v[8:9], 2, v[7:8]
	v_mov_b32_e32 v0, s13
	v_add_co_u32_e32 v29, vcc, s12, v8
	v_addc_co_u32_e32 v30, vcc, v0, v9, vcc
	v_mov_b32_e32 v0, s15
	v_add_co_u32_e32 v31, vcc, s14, v8
	v_addc_co_u32_e32 v32, vcc, v0, v9, vcc
	v_mov_b32_e32 v0, 0
	v_mov_b32_e32 v28, 0
	s_mov_b64 s[48:49], 0
	v_mov_b32_e32 v8, v0
                                        ; implicit-def: $sgpr50_sgpr51
	s_branch .LBB3_13
.LBB3_11:                               ;   in Loop: Header=BB3_13 Depth=4
	s_or_b64 exec, exec, s[54:55]
	v_cmp_le_i32_e32 vcc, v9, v33
	v_addc_co_u32_e32 v0, vcc, 0, v0, vcc
	v_cmp_ge_i32_e32 vcc, v9, v33
	v_addc_co_u32_e32 v8, vcc, 0, v8, vcc
	v_cmp_ge_i32_e32 vcc, v0, v23
	s_andn2_b64 s[50:51], s[50:51], exec
	s_and_b64 s[54:55], vcc, exec
	s_or_b64 s[50:51], s[50:51], s[54:55]
.LBB3_12:                               ;   in Loop: Header=BB3_13 Depth=4
	s_or_b64 exec, exec, s[52:53]
	s_and_b64 s[52:53], exec, s[50:51]
	s_or_b64 s[48:49], s[52:53], s[48:49]
	s_andn2_b64 exec, exec, s[48:49]
	s_cbranch_execz .LBB3_16
.LBB3_13:                               ;   Parent Loop BB3_3 Depth=1
                                        ;     Parent Loop BB3_5 Depth=2
                                        ;       Parent Loop BB3_9 Depth=3
                                        ; =>      This Inner Loop Header: Depth=4
	v_cmp_lt_i32_e32 vcc, v8, v4
	s_or_b64 s[50:51], s[50:51], exec
	s_and_saveexec_b64 s[52:53], vcc
	s_cbranch_execz .LBB3_12
; %bb.14:                               ;   in Loop: Header=BB3_13 Depth=4
	v_lshlrev_b64 v[14:15], 2, v[0:1]
	v_mov_b32_e32 v9, v1
	v_add_co_u32_e32 v16, vcc, v24, v14
	v_addc_co_u32_e32 v17, vcc, v25, v15, vcc
	global_load_dword v35, v[16:17], off
	v_lshlrev_b64 v[16:17], 2, v[8:9]
	v_add_co_u32_e32 v33, vcc, v29, v16
	v_addc_co_u32_e32 v34, vcc, v30, v17, vcc
	global_load_dword v33, v[33:34], off
	s_waitcnt vmcnt(1)
	v_subrev_u32_e32 v9, s65, v35
	s_waitcnt vmcnt(0)
	v_subrev_u32_e32 v33, s66, v33
	v_cmp_eq_u32_e32 vcc, v9, v33
	s_and_saveexec_b64 s[54:55], vcc
	s_cbranch_execz .LBB3_11
; %bb.15:                               ;   in Loop: Header=BB3_13 Depth=4
	v_add_co_u32_e32 v14, vcc, v26, v14
	v_addc_co_u32_e32 v15, vcc, v27, v15, vcc
	v_add_co_u32_e32 v16, vcc, v31, v16
	v_addc_co_u32_e32 v17, vcc, v32, v17, vcc
	global_load_dword v14, v[14:15], off
	s_nop 0
	global_load_dword v15, v[16:17], off
	s_waitcnt vmcnt(0)
	v_fmac_f32_e32 v28, v14, v15
	s_branch .LBB3_11
.LBB3_16:                               ;   in Loop: Header=BB3_9 Depth=3
	s_or_b64 exec, exec, s[48:49]
.LBB3_17:                               ;   in Loop: Header=BB3_9 Depth=3
	s_or_b64 exec, exec, s[6:7]
	v_mov_b32_e32 v9, s31
	v_add_co_u32_e32 v12, vcc, s30, v12
	v_addc_co_u32_e32 v13, vcc, v9, v13, vcc
	global_load_dword v9, v[12:13], off
	v_cmp_le_i32_e64 s[6:7], v2, v6
	v_cmp_gt_i32_e32 vcc, v2, v6
	s_waitcnt vmcnt(0)
	v_sub_f32_e32 v12, v9, v28
	s_and_saveexec_b64 s[48:49], vcc
	s_cbranch_execz .LBB3_21
; %bb.18:                               ;   in Loop: Header=BB3_9 Depth=3
	v_mov_b32_e32 v9, s37
	v_add_co_u32_e32 v13, vcc, s36, v10
	v_addc_co_u32_e32 v14, vcc, v9, v11, vcc
	global_load_dword v9, v[13:14], off
	v_mov_b32_e32 v13, 0
	s_waitcnt vmcnt(0)
	v_cmp_lg_f32_e32 vcc, 0, v9
	s_and_saveexec_b64 s[50:51], vcc
	s_cbranch_execz .LBB3_20
; %bb.19:                               ;   in Loop: Header=BB3_9 Depth=3
	v_div_scale_f32 v13, s[52:53], v9, v9, v12
	v_div_scale_f32 v14, vcc, v12, v9, v12
	v_rcp_f32_e32 v15, v13
	v_fma_f32 v16, -v13, v15, 1.0
	v_fmac_f32_e32 v15, v16, v15
	v_mul_f32_e32 v16, v14, v15
	v_fma_f32 v17, -v13, v16, v14
	v_fmac_f32_e32 v16, v17, v15
	v_fma_f32 v13, -v13, v16, v14
	v_div_fmas_f32 v13, v13, v15, v16
	v_div_fixup_f32 v13, v13, v9, v12
.LBB3_20:                               ;   in Loop: Header=BB3_9 Depth=3
	s_or_b64 exec, exec, s[50:51]
	v_mov_b32_e32 v12, v13
.LBB3_21:                               ;   in Loop: Header=BB3_9 Depth=3
	s_or_b64 exec, exec, s[48:49]
	v_cmp_class_f32_e64 s[50:51], v12, s68
	s_and_saveexec_b64 s[48:49], s[50:51]
	s_cbranch_execz .LBB3_8
; %bb.22:                               ;   in Loop: Header=BB3_9 Depth=3
	s_and_saveexec_b64 s[50:51], s[6:7]
	s_xor_b64 s[6:7], exec, s[50:51]
	s_cbranch_execz .LBB3_35
; %bb.23:                               ;   in Loop: Header=BB3_9 Depth=3
	v_cmp_ge_i32_e32 vcc, v2, v6
	s_and_saveexec_b64 s[50:51], vcc
	s_xor_b64 s[50:51], exec, s[50:51]
	s_cbranch_execz .LBB3_25
; %bb.24:                               ;   in Loop: Header=BB3_9 Depth=3
	v_mov_b32_e32 v0, s39
	v_add_co_u32_e32 v6, vcc, s38, v10
	v_addc_co_u32_e32 v7, vcc, v0, v11, vcc
	global_store_dword v[6:7], v12, off
                                        ; implicit-def: $vgpr8
                                        ; implicit-def: $vgpr4
                                        ; implicit-def: $vgpr12
                                        ; implicit-def: $vgpr7
.LBB3_25:                               ;   in Loop: Header=BB3_9 Depth=3
	s_andn2_saveexec_b64 s[50:51], s[50:51]
	s_cbranch_execz .LBB3_34
; %bb.26:                               ;   in Loop: Header=BB3_9 Depth=3
	v_cmp_lt_i32_e32 vcc, v8, v4
	s_and_saveexec_b64 s[52:53], vcc
	s_cbranch_execz .LBB3_33
; %bb.27:                               ;   in Loop: Header=BB3_9 Depth=3
	s_mov_b64 s[54:55], 0
                                        ; implicit-def: $sgpr56_sgpr57
                                        ; implicit-def: $sgpr60_sgpr61
                                        ; implicit-def: $sgpr58_sgpr59
	s_branch .LBB3_29
.LBB3_28:                               ;   in Loop: Header=BB3_29 Depth=4
	s_or_b64 exec, exec, s[62:63]
	s_and_b64 s[62:63], exec, s[60:61]
	s_or_b64 s[54:55], s[62:63], s[54:55]
	s_andn2_b64 s[56:57], s[56:57], exec
	s_and_b64 s[62:63], s[58:59], exec
	s_or_b64 s[56:57], s[56:57], s[62:63]
	s_andn2_b64 exec, exec, s[54:55]
	s_cbranch_execz .LBB3_31
.LBB3_29:                               ;   Parent Loop BB3_3 Depth=1
                                        ;     Parent Loop BB3_5 Depth=2
                                        ;       Parent Loop BB3_9 Depth=3
                                        ; =>      This Inner Loop Header: Depth=4
	v_add_u32_e32 v9, v7, v8
	v_ashrrev_i32_e32 v10, 31, v9
	v_lshlrev_b64 v[9:10], 2, v[9:10]
	v_mov_b32_e32 v0, s13
	v_add_co_u32_e32 v13, vcc, s12, v9
	v_addc_co_u32_e32 v14, vcc, v0, v10, vcc
	global_load_dword v0, v[13:14], off
	s_or_b64 s[58:59], s[58:59], exec
	s_or_b64 s[60:61], s[60:61], exec
	s_waitcnt vmcnt(0)
	v_subrev_u32_e32 v0, s66, v0
	v_cmp_ne_u32_e32 vcc, v0, v2
	s_and_saveexec_b64 s[62:63], vcc
	s_cbranch_execz .LBB3_28
; %bb.30:                               ;   in Loop: Header=BB3_29 Depth=4
	v_add_u32_e32 v8, 1, v8
	v_cmp_ge_i32_e32 vcc, v8, v4
	s_andn2_b64 s[60:61], s[60:61], exec
	s_and_b64 s[70:71], vcc, exec
	s_andn2_b64 s[58:59], s[58:59], exec
	s_or_b64 s[60:61], s[60:61], s[70:71]
	s_branch .LBB3_28
.LBB3_31:                               ;   in Loop: Header=BB3_9 Depth=3
	s_or_b64 exec, exec, s[54:55]
	s_and_saveexec_b64 s[54:55], s[56:57]
	s_xor_b64 s[54:55], exec, s[54:55]
	s_cbranch_execz .LBB3_33
; %bb.32:                               ;   in Loop: Header=BB3_9 Depth=3
	v_mov_b32_e32 v0, s43
	v_add_co_u32_e32 v6, vcc, s42, v9
	v_addc_co_u32_e32 v7, vcc, v0, v10, vcc
	global_store_dword v[6:7], v12, off
.LBB3_33:                               ;   in Loop: Header=BB3_9 Depth=3
	s_or_b64 exec, exec, s[52:53]
.LBB3_34:                               ;   in Loop: Header=BB3_9 Depth=3
	s_or_b64 exec, exec, s[50:51]
                                        ; implicit-def: $vgpr12
                                        ; implicit-def: $vgpr6_vgpr7
.LBB3_35:                               ;   in Loop: Header=BB3_9 Depth=3
	s_andn2_saveexec_b64 s[6:7], s[6:7]
	s_cbranch_execz .LBB3_8
; %bb.36:                               ;   in Loop: Header=BB3_9 Depth=3
	v_cmp_lt_i32_e32 vcc, v0, v23
	s_and_b64 exec, exec, vcc
	s_cbranch_execz .LBB3_8
; %bb.37:                               ;   in Loop: Header=BB3_9 Depth=3
	s_mov_b64 s[6:7], 0
                                        ; implicit-def: $sgpr50_sgpr51
                                        ; implicit-def: $sgpr54_sgpr55
                                        ; implicit-def: $sgpr52_sgpr53
	s_branch .LBB3_39
.LBB3_38:                               ;   in Loop: Header=BB3_39 Depth=4
	s_or_b64 exec, exec, s[56:57]
	s_and_b64 s[56:57], exec, s[54:55]
	s_or_b64 s[6:7], s[56:57], s[6:7]
	s_andn2_b64 s[50:51], s[50:51], exec
	s_and_b64 s[56:57], s[52:53], exec
	s_or_b64 s[50:51], s[50:51], s[56:57]
	s_andn2_b64 exec, exec, s[6:7]
	s_cbranch_execz .LBB3_41
.LBB3_39:                               ;   Parent Loop BB3_3 Depth=1
                                        ;     Parent Loop BB3_5 Depth=2
                                        ;       Parent Loop BB3_9 Depth=3
                                        ; =>      This Inner Loop Header: Depth=4
	v_add_u32_e32 v7, v5, v0
	v_ashrrev_i32_e32 v8, 31, v7
	v_lshlrev_b64 v[7:8], 2, v[7:8]
	v_mov_b32_e32 v4, s21
	v_add_co_u32_e32 v9, vcc, s20, v7
	v_addc_co_u32_e32 v10, vcc, v4, v8, vcc
	global_load_dword v4, v[9:10], off
	s_or_b64 s[52:53], s[52:53], exec
	s_or_b64 s[54:55], s[54:55], exec
	s_waitcnt vmcnt(0)
	v_subrev_u32_e32 v4, s65, v4
	v_cmp_ne_u32_e32 vcc, v4, v6
	s_and_saveexec_b64 s[56:57], vcc
	s_cbranch_execz .LBB3_38
; %bb.40:                               ;   in Loop: Header=BB3_39 Depth=4
	v_add_u32_e32 v0, 1, v0
	v_cmp_ge_i32_e32 vcc, v0, v23
	s_andn2_b64 s[54:55], s[54:55], exec
	s_and_b64 s[58:59], vcc, exec
	s_andn2_b64 s[52:53], s[52:53], exec
	s_or_b64 s[54:55], s[54:55], s[58:59]
	s_branch .LBB3_38
.LBB3_41:                               ;   in Loop: Header=BB3_9 Depth=3
	s_or_b64 exec, exec, s[6:7]
	s_and_saveexec_b64 s[6:7], s[50:51]
	s_xor_b64 s[6:7], exec, s[6:7]
	s_cbranch_execz .LBB3_8
; %bb.42:                               ;   in Loop: Header=BB3_9 Depth=3
	v_mov_b32_e32 v0, s41
	v_add_co_u32_e32 v6, vcc, s40, v7
	v_addc_co_u32_e32 v7, vcc, v0, v8, vcc
	global_store_dword v[6:7], v12, off
	s_branch .LBB3_8
.LBB3_43:                               ;   in Loop: Header=BB3_3 Depth=1
	s_and_saveexec_b64 s[4:5], s[0:1]
	s_cbranch_execz .LBB3_2
; %bb.44:                               ;   in Loop: Header=BB3_3 Depth=1
	s_mov_b64 s[6:7], 0
	v_mov_b32_e32 v2, v18
	s_branch .LBB3_46
.LBB3_45:                               ;   in Loop: Header=BB3_46 Depth=2
	s_or_b64 exec, exec, s[44:45]
	v_add_u32_e32 v2, 0x80, v2
	v_cmp_le_u32_e32 vcc, s67, v2
	s_or_b64 s[6:7], vcc, s[6:7]
	s_andn2_b64 exec, exec, s[6:7]
	s_cbranch_execz .LBB3_2
.LBB3_46:                               ;   Parent Loop BB3_3 Depth=1
                                        ; =>  This Loop Header: Depth=2
                                        ;       Child Loop BB3_49 Depth 3
                                        ;       Child Loop BB3_52 Depth 3
	v_cmp_gt_i32_e32 vcc, s35, v2
	s_and_saveexec_b64 s[44:45], vcc
	s_cbranch_execz .LBB3_45
; %bb.47:                               ;   in Loop: Header=BB3_46 Depth=2
	v_ashrrev_i32_e32 v3, 31, v2
	v_lshlrev_b64 v[3:4], 2, v[2:3]
	v_mov_b32_e32 v0, s17
	v_add_co_u32_e32 v5, vcc, s16, v3
	v_addc_co_u32_e32 v6, vcc, v0, v4, vcc
	global_load_dword v0, v[5:6], off
	v_mov_b32_e32 v6, s19
	v_add_co_u32_e32 v5, vcc, s18, v3
	v_addc_co_u32_e32 v6, vcc, v6, v4, vcc
	global_load_dword v6, v[5:6], off
	s_waitcnt vmcnt(1)
	v_add_u32_e32 v5, v20, v0
	s_waitcnt vmcnt(0)
	v_subrev_u32_e32 v0, s65, v6
	v_cmp_lt_i32_e32 vcc, v5, v0
	s_and_saveexec_b64 s[46:47], vcc
	s_cbranch_execz .LBB3_50
; %bb.48:                               ;   in Loop: Header=BB3_46 Depth=2
	v_ashrrev_i32_e32 v6, 31, v5
	v_lshlrev_b64 v[8:9], 2, v[5:6]
	v_mov_b32_e32 v7, s41
	v_add_co_u32_e32 v6, vcc, s40, v8
	v_addc_co_u32_e32 v7, vcc, v7, v9, vcc
	v_mov_b32_e32 v10, s23
	v_add_co_u32_e32 v8, vcc, s22, v8
	v_addc_co_u32_e32 v9, vcc, v10, v9, vcc
	s_mov_b64 s[48:49], 0
.LBB3_49:                               ;   Parent Loop BB3_3 Depth=1
                                        ;     Parent Loop BB3_46 Depth=2
                                        ; =>    This Inner Loop Header: Depth=3
	global_load_dword v10, v[6:7], off
	v_add_co_u32_e32 v6, vcc, 32, v6
	v_add_u32_e32 v5, 8, v5
	v_addc_co_u32_e32 v7, vcc, 0, v7, vcc
	v_cmp_ge_i32_e32 vcc, v5, v0
	s_or_b64 s[48:49], vcc, s[48:49]
	s_waitcnt vmcnt(0)
	global_store_dword v[8:9], v10, off
	v_add_co_u32_e32 v8, vcc, 32, v8
	v_addc_co_u32_e32 v9, vcc, 0, v9, vcc
	s_andn2_b64 exec, exec, s[48:49]
	s_cbranch_execnz .LBB3_49
.LBB3_50:                               ;   in Loop: Header=BB3_46 Depth=2
	s_or_b64 exec, exec, s[46:47]
	v_mov_b32_e32 v0, s9
	v_add_co_u32_e32 v5, vcc, s8, v3
	v_addc_co_u32_e32 v6, vcc, v0, v4, vcc
	global_load_dword v0, v[5:6], off
	v_mov_b32_e32 v6, s11
	v_add_co_u32_e32 v5, vcc, s10, v3
	v_addc_co_u32_e32 v6, vcc, v6, v4, vcc
	global_load_dword v6, v[5:6], off
	s_waitcnt vmcnt(1)
	v_add_u32_e32 v5, v21, v0
	s_waitcnt vmcnt(0)
	v_subrev_u32_e32 v0, s66, v6
	v_cmp_lt_i32_e32 vcc, v5, v0
	s_and_saveexec_b64 s[46:47], vcc
	s_cbranch_execz .LBB3_53
; %bb.51:                               ;   in Loop: Header=BB3_46 Depth=2
	v_ashrrev_i32_e32 v6, 31, v5
	v_lshlrev_b64 v[8:9], 2, v[5:6]
	v_mov_b32_e32 v7, s43
	v_add_co_u32_e32 v6, vcc, s42, v8
	v_addc_co_u32_e32 v7, vcc, v7, v9, vcc
	v_mov_b32_e32 v10, s15
	v_add_co_u32_e32 v8, vcc, s14, v8
	v_addc_co_u32_e32 v9, vcc, v10, v9, vcc
	s_mov_b64 s[48:49], 0
.LBB3_52:                               ;   Parent Loop BB3_3 Depth=1
                                        ;     Parent Loop BB3_46 Depth=2
                                        ; =>    This Inner Loop Header: Depth=3
	global_load_dword v10, v[6:7], off
	v_add_co_u32_e32 v6, vcc, 32, v6
	v_add_u32_e32 v5, 8, v5
	v_addc_co_u32_e32 v7, vcc, 0, v7, vcc
	v_cmp_ge_i32_e32 vcc, v5, v0
	s_or_b64 s[48:49], vcc, s[48:49]
	s_waitcnt vmcnt(0)
	global_store_dword v[8:9], v10, off
	v_add_co_u32_e32 v8, vcc, 32, v8
	v_addc_co_u32_e32 v9, vcc, 0, v9, vcc
	s_andn2_b64 exec, exec, s[48:49]
	s_cbranch_execnz .LBB3_52
.LBB3_53:                               ;   in Loop: Header=BB3_46 Depth=2
	s_or_b64 exec, exec, s[46:47]
	s_and_b64 exec, exec, s[2:3]
	s_cbranch_execz .LBB3_45
; %bb.54:                               ;   in Loop: Header=BB3_46 Depth=2
	v_mov_b32_e32 v0, s39
	v_add_co_u32_e32 v5, vcc, s38, v3
	v_addc_co_u32_e32 v6, vcc, v0, v4, vcc
	global_load_dword v0, v[5:6], off
	v_mov_b32_e32 v5, s37
	v_add_co_u32_e32 v3, vcc, s36, v3
	v_addc_co_u32_e32 v4, vcc, v5, v4, vcc
	s_waitcnt vmcnt(0)
	global_store_dword v[3:4], v0, off
	s_branch .LBB3_45
.LBB3_55:
	s_endpgm
	.section	.rodata,"a",@progbits
	.p2align	6, 0x0
	.amdhsa_kernel _ZN9rocsparseL14kernel_freerunILi1024ELi8EfiiEEvT3_S1_T2_PKS2_S4_PKS1_PKT1_21rocsparse_index_base_S4_S4_S6_PS7_SB_SA_S4_S4_S6_SB_SB_SA_SB_SB_
		.amdhsa_group_segment_fixed_size 0
		.amdhsa_private_segment_fixed_size 0
		.amdhsa_kernarg_size 168
		.amdhsa_user_sgpr_count 6
		.amdhsa_user_sgpr_private_segment_buffer 1
		.amdhsa_user_sgpr_dispatch_ptr 0
		.amdhsa_user_sgpr_queue_ptr 0
		.amdhsa_user_sgpr_kernarg_segment_ptr 1
		.amdhsa_user_sgpr_dispatch_id 0
		.amdhsa_user_sgpr_flat_scratch_init 0
		.amdhsa_user_sgpr_private_segment_size 0
		.amdhsa_uses_dynamic_stack 0
		.amdhsa_system_sgpr_private_segment_wavefront_offset 0
		.amdhsa_system_sgpr_workgroup_id_x 1
		.amdhsa_system_sgpr_workgroup_id_y 0
		.amdhsa_system_sgpr_workgroup_id_z 0
		.amdhsa_system_sgpr_workgroup_info 0
		.amdhsa_system_vgpr_workitem_id 0
		.amdhsa_next_free_vgpr 36
		.amdhsa_next_free_sgpr 72
		.amdhsa_reserve_vcc 1
		.amdhsa_reserve_flat_scratch 0
		.amdhsa_float_round_mode_32 0
		.amdhsa_float_round_mode_16_64 0
		.amdhsa_float_denorm_mode_32 3
		.amdhsa_float_denorm_mode_16_64 3
		.amdhsa_dx10_clamp 1
		.amdhsa_ieee_mode 1
		.amdhsa_fp16_overflow 0
		.amdhsa_exception_fp_ieee_invalid_op 0
		.amdhsa_exception_fp_denorm_src 0
		.amdhsa_exception_fp_ieee_div_zero 0
		.amdhsa_exception_fp_ieee_overflow 0
		.amdhsa_exception_fp_ieee_underflow 0
		.amdhsa_exception_fp_ieee_inexact 0
		.amdhsa_exception_int_div_zero 0
	.end_amdhsa_kernel
	.section	.text._ZN9rocsparseL14kernel_freerunILi1024ELi8EfiiEEvT3_S1_T2_PKS2_S4_PKS1_PKT1_21rocsparse_index_base_S4_S4_S6_PS7_SB_SA_S4_S4_S6_SB_SB_SA_SB_SB_,"axG",@progbits,_ZN9rocsparseL14kernel_freerunILi1024ELi8EfiiEEvT3_S1_T2_PKS2_S4_PKS1_PKT1_21rocsparse_index_base_S4_S4_S6_PS7_SB_SA_S4_S4_S6_SB_SB_SA_SB_SB_,comdat
.Lfunc_end3:
	.size	_ZN9rocsparseL14kernel_freerunILi1024ELi8EfiiEEvT3_S1_T2_PKS2_S4_PKS1_PKT1_21rocsparse_index_base_S4_S4_S6_PS7_SB_SA_S4_S4_S6_SB_SB_SA_SB_SB_, .Lfunc_end3-_ZN9rocsparseL14kernel_freerunILi1024ELi8EfiiEEvT3_S1_T2_PKS2_S4_PKS1_PKT1_21rocsparse_index_base_S4_S4_S6_PS7_SB_SA_S4_S4_S6_SB_SB_SA_SB_SB_
                                        ; -- End function
	.set _ZN9rocsparseL14kernel_freerunILi1024ELi8EfiiEEvT3_S1_T2_PKS2_S4_PKS1_PKT1_21rocsparse_index_base_S4_S4_S6_PS7_SB_SA_S4_S4_S6_SB_SB_SA_SB_SB_.num_vgpr, 36
	.set _ZN9rocsparseL14kernel_freerunILi1024ELi8EfiiEEvT3_S1_T2_PKS2_S4_PKS1_PKT1_21rocsparse_index_base_S4_S4_S6_PS7_SB_SA_S4_S4_S6_SB_SB_SA_SB_SB_.num_agpr, 0
	.set _ZN9rocsparseL14kernel_freerunILi1024ELi8EfiiEEvT3_S1_T2_PKS2_S4_PKS1_PKT1_21rocsparse_index_base_S4_S4_S6_PS7_SB_SA_S4_S4_S6_SB_SB_SA_SB_SB_.numbered_sgpr, 72
	.set _ZN9rocsparseL14kernel_freerunILi1024ELi8EfiiEEvT3_S1_T2_PKS2_S4_PKS1_PKT1_21rocsparse_index_base_S4_S4_S6_PS7_SB_SA_S4_S4_S6_SB_SB_SA_SB_SB_.num_named_barrier, 0
	.set _ZN9rocsparseL14kernel_freerunILi1024ELi8EfiiEEvT3_S1_T2_PKS2_S4_PKS1_PKT1_21rocsparse_index_base_S4_S4_S6_PS7_SB_SA_S4_S4_S6_SB_SB_SA_SB_SB_.private_seg_size, 0
	.set _ZN9rocsparseL14kernel_freerunILi1024ELi8EfiiEEvT3_S1_T2_PKS2_S4_PKS1_PKT1_21rocsparse_index_base_S4_S4_S6_PS7_SB_SA_S4_S4_S6_SB_SB_SA_SB_SB_.uses_vcc, 1
	.set _ZN9rocsparseL14kernel_freerunILi1024ELi8EfiiEEvT3_S1_T2_PKS2_S4_PKS1_PKT1_21rocsparse_index_base_S4_S4_S6_PS7_SB_SA_S4_S4_S6_SB_SB_SA_SB_SB_.uses_flat_scratch, 0
	.set _ZN9rocsparseL14kernel_freerunILi1024ELi8EfiiEEvT3_S1_T2_PKS2_S4_PKS1_PKT1_21rocsparse_index_base_S4_S4_S6_PS7_SB_SA_S4_S4_S6_SB_SB_SA_SB_SB_.has_dyn_sized_stack, 0
	.set _ZN9rocsparseL14kernel_freerunILi1024ELi8EfiiEEvT3_S1_T2_PKS2_S4_PKS1_PKT1_21rocsparse_index_base_S4_S4_S6_PS7_SB_SA_S4_S4_S6_SB_SB_SA_SB_SB_.has_recursion, 0
	.set _ZN9rocsparseL14kernel_freerunILi1024ELi8EfiiEEvT3_S1_T2_PKS2_S4_PKS1_PKT1_21rocsparse_index_base_S4_S4_S6_PS7_SB_SA_S4_S4_S6_SB_SB_SA_SB_SB_.has_indirect_call, 0
	.section	.AMDGPU.csdata,"",@progbits
; Kernel info:
; codeLenInByte = 1932
; TotalNumSgprs: 76
; NumVgprs: 36
; ScratchSize: 0
; MemoryBound: 0
; FloatMode: 240
; IeeeMode: 1
; LDSByteSize: 0 bytes/workgroup (compile time only)
; SGPRBlocks: 9
; VGPRBlocks: 8
; NumSGPRsForWavesPerEU: 76
; NumVGPRsForWavesPerEU: 36
; Occupancy: 7
; WaveLimiterHint : 1
; COMPUTE_PGM_RSRC2:SCRATCH_EN: 0
; COMPUTE_PGM_RSRC2:USER_SGPR: 6
; COMPUTE_PGM_RSRC2:TRAP_HANDLER: 0
; COMPUTE_PGM_RSRC2:TGID_X_EN: 1
; COMPUTE_PGM_RSRC2:TGID_Y_EN: 0
; COMPUTE_PGM_RSRC2:TGID_Z_EN: 0
; COMPUTE_PGM_RSRC2:TIDIG_COMP_CNT: 0
	.section	.text._ZN9rocsparseL14kernel_freerunILi1024ELi16EfiiEEvT3_S1_T2_PKS2_S4_PKS1_PKT1_21rocsparse_index_base_S4_S4_S6_PS7_SB_SA_S4_S4_S6_SB_SB_SA_SB_SB_,"axG",@progbits,_ZN9rocsparseL14kernel_freerunILi1024ELi16EfiiEEvT3_S1_T2_PKS2_S4_PKS1_PKT1_21rocsparse_index_base_S4_S4_S6_PS7_SB_SA_S4_S4_S6_SB_SB_SA_SB_SB_,comdat
	.globl	_ZN9rocsparseL14kernel_freerunILi1024ELi16EfiiEEvT3_S1_T2_PKS2_S4_PKS1_PKT1_21rocsparse_index_base_S4_S4_S6_PS7_SB_SA_S4_S4_S6_SB_SB_SA_SB_SB_ ; -- Begin function _ZN9rocsparseL14kernel_freerunILi1024ELi16EfiiEEvT3_S1_T2_PKS2_S4_PKS1_PKT1_21rocsparse_index_base_S4_S4_S6_PS7_SB_SA_S4_S4_S6_SB_SB_SA_SB_SB_
	.p2align	8
	.type	_ZN9rocsparseL14kernel_freerunILi1024ELi16EfiiEEvT3_S1_T2_PKS2_S4_PKS1_PKT1_21rocsparse_index_base_S4_S4_S6_PS7_SB_SA_S4_S4_S6_SB_SB_SA_SB_SB_,@function
_ZN9rocsparseL14kernel_freerunILi1024ELi16EfiiEEvT3_S1_T2_PKS2_S4_PKS1_PKT1_21rocsparse_index_base_S4_S4_S6_PS7_SB_SA_S4_S4_S6_SB_SB_SA_SB_SB_: ; @_ZN9rocsparseL14kernel_freerunILi1024ELi16EfiiEEvT3_S1_T2_PKS2_S4_PKS1_PKT1_21rocsparse_index_base_S4_S4_S6_PS7_SB_SA_S4_S4_S6_SB_SB_SA_SB_SB_
; %bb.0:
	s_load_dwordx2 s[34:35], s[4:5], 0x0
	v_lshrrev_b32_e32 v1, 4, v0
	s_lshl_b32 s67, s6, 10
	v_or_b32_e32 v18, s67, v1
	s_mov_b32 s33, 0
	s_waitcnt lgkmcnt(0)
	s_cmp_gt_i32 s34, 0
	v_cmp_gt_i32_e32 vcc, s35, v18
	s_cselect_b64 s[0:1], -1, 0
	s_and_b64 s[0:1], vcc, s[0:1]
	s_and_saveexec_b64 s[2:3], s[0:1]
	s_cbranch_execz .LBB4_55
; %bb.1:
	s_load_dwordx4 s[36:39], s[4:5], 0x98
	s_load_dwordx8 s[8:15], s[4:5], 0x68
	s_load_dwordx8 s[16:23], s[4:5], 0x38
	;; [unrolled: 1-line block ×3, first 2 shown]
	s_load_dword s64, s[4:5], 0x30
	s_load_dwordx2 s[40:41], s[4:5], 0x58
	s_load_dword s65, s[4:5], 0x60
	s_load_dwordx2 s[42:43], s[4:5], 0x88
	s_load_dword s66, s[4:5], 0x90
	v_and_b32_e32 v0, 15, v0
	s_addk_i32 s67, 0x400
	s_waitcnt lgkmcnt(0)
	v_subrev_u32_e32 v19, s64, v0
	v_cmp_gt_u32_e64 s[0:1], s67, v18
	v_subrev_u32_e32 v20, s65, v0
	v_subrev_u32_e32 v21, s66, v0
	v_cmp_eq_u32_e64 s[2:3], 0, v0
	v_mov_b32_e32 v1, 0
	s_movk_i32 s68, 0x1f8
	s_branch .LBB4_3
.LBB4_2:                                ;   in Loop: Header=BB4_3 Depth=1
	s_or_b64 exec, exec, s[4:5]
	s_add_i32 s33, s33, 1
	s_cmp_eq_u32 s33, s34
	s_cbranch_scc1 .LBB4_55
.LBB4_3:                                ; =>This Loop Header: Depth=1
                                        ;     Child Loop BB4_5 Depth 2
                                        ;       Child Loop BB4_9 Depth 3
                                        ;         Child Loop BB4_13 Depth 4
                                        ;         Child Loop BB4_29 Depth 4
	;; [unrolled: 1-line block ×3, first 2 shown]
                                        ;     Child Loop BB4_46 Depth 2
                                        ;       Child Loop BB4_49 Depth 3
                                        ;       Child Loop BB4_52 Depth 3
	s_mov_b32 s69, 0
	s_branch .LBB4_5
.LBB4_4:                                ;   in Loop: Header=BB4_5 Depth=2
	s_or_b64 exec, exec, s[44:45]
	s_add_i32 s69, s69, 1
	s_cmp_eq_u32 s69, 16
	s_cbranch_scc1 .LBB4_43
.LBB4_5:                                ;   Parent Loop BB4_3 Depth=1
                                        ; =>  This Loop Header: Depth=2
                                        ;       Child Loop BB4_9 Depth 3
                                        ;         Child Loop BB4_13 Depth 4
                                        ;         Child Loop BB4_29 Depth 4
	;; [unrolled: 1-line block ×3, first 2 shown]
	v_lshl_add_u32 v2, s69, 6, v18
	v_cmp_gt_i32_e32 vcc, s35, v2
	s_and_saveexec_b64 s[44:45], vcc
	s_cbranch_execz .LBB4_4
; %bb.6:                                ;   in Loop: Header=BB4_5 Depth=2
	v_ashrrev_i32_e32 v3, 31, v2
	v_lshlrev_b64 v[4:5], 2, v[2:3]
	v_mov_b32_e32 v0, s25
	v_add_co_u32_e32 v6, vcc, s24, v4
	v_addc_co_u32_e32 v7, vcc, v0, v5, vcc
	global_load_dword v0, v[6:7], off
	v_mov_b32_e32 v3, s27
	v_add_co_u32_e32 v6, vcc, s26, v4
	v_addc_co_u32_e32 v7, vcc, v3, v5, vcc
	global_load_dword v6, v[6:7], off
	s_waitcnt vmcnt(1)
	v_add_u32_e32 v3, v19, v0
	s_waitcnt vmcnt(0)
	v_subrev_u32_e32 v22, s64, v6
	v_cmp_lt_i32_e32 vcc, v3, v22
	s_and_b64 exec, exec, vcc
	s_cbranch_execz .LBB4_4
; %bb.7:                                ;   in Loop: Header=BB4_5 Depth=2
	v_mov_b32_e32 v0, s19
	v_add_co_u32_e32 v6, vcc, s18, v4
	v_addc_co_u32_e32 v7, vcc, v0, v5, vcc
	v_mov_b32_e32 v0, s17
	v_add_co_u32_e32 v4, vcc, s16, v4
	v_addc_co_u32_e32 v5, vcc, v0, v5, vcc
	global_load_dword v0, v[4:5], off
	global_load_dword v8, v[6:7], off
	v_mov_b32_e32 v4, s21
	v_mov_b32_e32 v9, s23
	s_mov_b64 s[46:47], 0
	s_waitcnt vmcnt(1)
	v_subrev_u32_e32 v5, s65, v0
	v_ashrrev_i32_e32 v6, 31, v5
	v_lshlrev_b64 v[6:7], 2, v[5:6]
	s_waitcnt vmcnt(0)
	v_sub_u32_e32 v23, v8, v0
	v_add_co_u32_e32 v24, vcc, s20, v6
	v_addc_co_u32_e32 v25, vcc, v4, v7, vcc
	v_add_co_u32_e32 v26, vcc, s22, v6
	v_cmp_lt_i32_e64 s[4:5], 0, v23
	v_addc_co_u32_e32 v27, vcc, v9, v7, vcc
	s_branch .LBB4_9
.LBB4_8:                                ;   in Loop: Header=BB4_9 Depth=3
	s_or_b64 exec, exec, s[48:49]
	v_add_u32_e32 v3, 16, v3
	v_cmp_ge_i32_e32 vcc, v3, v22
	s_or_b64 s[46:47], vcc, s[46:47]
	s_andn2_b64 exec, exec, s[46:47]
	s_cbranch_execz .LBB4_4
.LBB4_9:                                ;   Parent Loop BB4_3 Depth=1
                                        ;     Parent Loop BB4_5 Depth=2
                                        ; =>    This Loop Header: Depth=3
                                        ;         Child Loop BB4_13 Depth 4
                                        ;         Child Loop BB4_29 Depth 4
	;; [unrolled: 1-line block ×3, first 2 shown]
	v_ashrrev_i32_e32 v4, 31, v3
	v_lshlrev_b64 v[12:13], 2, v[3:4]
	v_mov_b32_e32 v0, s29
	v_add_co_u32_e32 v6, vcc, s28, v12
	v_addc_co_u32_e32 v7, vcc, v0, v13, vcc
	global_load_dword v0, v[6:7], off
	v_mov_b32_e32 v4, s9
	v_mov_b32_e32 v9, s11
	;; [unrolled: 1-line block ×3, first 2 shown]
	s_waitcnt vmcnt(0)
	v_subrev_u32_e32 v6, s64, v0
	v_ashrrev_i32_e32 v7, 31, v6
	v_lshlrev_b64 v[10:11], 2, v[6:7]
	v_add_co_u32_e32 v7, vcc, s8, v10
	v_addc_co_u32_e32 v8, vcc, v4, v11, vcc
	v_add_co_u32_e32 v14, vcc, s10, v10
	v_addc_co_u32_e32 v15, vcc, v9, v11, vcc
	global_load_dword v0, v[7:8], off
	global_load_dword v4, v[14:15], off
	v_mov_b32_e32 v8, 0
	s_waitcnt vmcnt(1)
	v_subrev_u32_e32 v7, s66, v0
	s_waitcnt vmcnt(0)
	v_sub_u32_e32 v4, v4, v0
	v_mov_b32_e32 v0, v8
	s_and_saveexec_b64 s[6:7], s[4:5]
	s_cbranch_execz .LBB4_17
; %bb.10:                               ;   in Loop: Header=BB4_9 Depth=3
	v_ashrrev_i32_e32 v8, 31, v7
	v_lshlrev_b64 v[8:9], 2, v[7:8]
	v_mov_b32_e32 v0, s13
	v_add_co_u32_e32 v29, vcc, s12, v8
	v_addc_co_u32_e32 v30, vcc, v0, v9, vcc
	v_mov_b32_e32 v0, s15
	v_add_co_u32_e32 v31, vcc, s14, v8
	v_addc_co_u32_e32 v32, vcc, v0, v9, vcc
	v_mov_b32_e32 v0, 0
	v_mov_b32_e32 v28, 0
	s_mov_b64 s[48:49], 0
	v_mov_b32_e32 v8, v0
                                        ; implicit-def: $sgpr50_sgpr51
	s_branch .LBB4_13
.LBB4_11:                               ;   in Loop: Header=BB4_13 Depth=4
	s_or_b64 exec, exec, s[54:55]
	v_cmp_le_i32_e32 vcc, v9, v33
	v_addc_co_u32_e32 v0, vcc, 0, v0, vcc
	v_cmp_ge_i32_e32 vcc, v9, v33
	v_addc_co_u32_e32 v8, vcc, 0, v8, vcc
	v_cmp_ge_i32_e32 vcc, v0, v23
	s_andn2_b64 s[50:51], s[50:51], exec
	s_and_b64 s[54:55], vcc, exec
	s_or_b64 s[50:51], s[50:51], s[54:55]
.LBB4_12:                               ;   in Loop: Header=BB4_13 Depth=4
	s_or_b64 exec, exec, s[52:53]
	s_and_b64 s[52:53], exec, s[50:51]
	s_or_b64 s[48:49], s[52:53], s[48:49]
	s_andn2_b64 exec, exec, s[48:49]
	s_cbranch_execz .LBB4_16
.LBB4_13:                               ;   Parent Loop BB4_3 Depth=1
                                        ;     Parent Loop BB4_5 Depth=2
                                        ;       Parent Loop BB4_9 Depth=3
                                        ; =>      This Inner Loop Header: Depth=4
	v_cmp_lt_i32_e32 vcc, v8, v4
	s_or_b64 s[50:51], s[50:51], exec
	s_and_saveexec_b64 s[52:53], vcc
	s_cbranch_execz .LBB4_12
; %bb.14:                               ;   in Loop: Header=BB4_13 Depth=4
	v_lshlrev_b64 v[14:15], 2, v[0:1]
	v_mov_b32_e32 v9, v1
	v_add_co_u32_e32 v16, vcc, v24, v14
	v_addc_co_u32_e32 v17, vcc, v25, v15, vcc
	global_load_dword v35, v[16:17], off
	v_lshlrev_b64 v[16:17], 2, v[8:9]
	v_add_co_u32_e32 v33, vcc, v29, v16
	v_addc_co_u32_e32 v34, vcc, v30, v17, vcc
	global_load_dword v33, v[33:34], off
	s_waitcnt vmcnt(1)
	v_subrev_u32_e32 v9, s65, v35
	s_waitcnt vmcnt(0)
	v_subrev_u32_e32 v33, s66, v33
	v_cmp_eq_u32_e32 vcc, v9, v33
	s_and_saveexec_b64 s[54:55], vcc
	s_cbranch_execz .LBB4_11
; %bb.15:                               ;   in Loop: Header=BB4_13 Depth=4
	v_add_co_u32_e32 v14, vcc, v26, v14
	v_addc_co_u32_e32 v15, vcc, v27, v15, vcc
	v_add_co_u32_e32 v16, vcc, v31, v16
	v_addc_co_u32_e32 v17, vcc, v32, v17, vcc
	global_load_dword v14, v[14:15], off
	s_nop 0
	global_load_dword v15, v[16:17], off
	s_waitcnt vmcnt(0)
	v_fmac_f32_e32 v28, v14, v15
	s_branch .LBB4_11
.LBB4_16:                               ;   in Loop: Header=BB4_9 Depth=3
	s_or_b64 exec, exec, s[48:49]
.LBB4_17:                               ;   in Loop: Header=BB4_9 Depth=3
	s_or_b64 exec, exec, s[6:7]
	v_mov_b32_e32 v9, s31
	v_add_co_u32_e32 v12, vcc, s30, v12
	v_addc_co_u32_e32 v13, vcc, v9, v13, vcc
	global_load_dword v9, v[12:13], off
	v_cmp_le_i32_e64 s[6:7], v2, v6
	v_cmp_gt_i32_e32 vcc, v2, v6
	s_waitcnt vmcnt(0)
	v_sub_f32_e32 v12, v9, v28
	s_and_saveexec_b64 s[48:49], vcc
	s_cbranch_execz .LBB4_21
; %bb.18:                               ;   in Loop: Header=BB4_9 Depth=3
	v_mov_b32_e32 v9, s37
	v_add_co_u32_e32 v13, vcc, s36, v10
	v_addc_co_u32_e32 v14, vcc, v9, v11, vcc
	global_load_dword v9, v[13:14], off
	v_mov_b32_e32 v13, 0
	s_waitcnt vmcnt(0)
	v_cmp_lg_f32_e32 vcc, 0, v9
	s_and_saveexec_b64 s[50:51], vcc
	s_cbranch_execz .LBB4_20
; %bb.19:                               ;   in Loop: Header=BB4_9 Depth=3
	v_div_scale_f32 v13, s[52:53], v9, v9, v12
	v_div_scale_f32 v14, vcc, v12, v9, v12
	v_rcp_f32_e32 v15, v13
	v_fma_f32 v16, -v13, v15, 1.0
	v_fmac_f32_e32 v15, v16, v15
	v_mul_f32_e32 v16, v14, v15
	v_fma_f32 v17, -v13, v16, v14
	v_fmac_f32_e32 v16, v17, v15
	v_fma_f32 v13, -v13, v16, v14
	v_div_fmas_f32 v13, v13, v15, v16
	v_div_fixup_f32 v13, v13, v9, v12
.LBB4_20:                               ;   in Loop: Header=BB4_9 Depth=3
	s_or_b64 exec, exec, s[50:51]
	v_mov_b32_e32 v12, v13
.LBB4_21:                               ;   in Loop: Header=BB4_9 Depth=3
	s_or_b64 exec, exec, s[48:49]
	v_cmp_class_f32_e64 s[50:51], v12, s68
	s_and_saveexec_b64 s[48:49], s[50:51]
	s_cbranch_execz .LBB4_8
; %bb.22:                               ;   in Loop: Header=BB4_9 Depth=3
	s_and_saveexec_b64 s[50:51], s[6:7]
	s_xor_b64 s[6:7], exec, s[50:51]
	s_cbranch_execz .LBB4_35
; %bb.23:                               ;   in Loop: Header=BB4_9 Depth=3
	v_cmp_ge_i32_e32 vcc, v2, v6
	s_and_saveexec_b64 s[50:51], vcc
	s_xor_b64 s[50:51], exec, s[50:51]
	s_cbranch_execz .LBB4_25
; %bb.24:                               ;   in Loop: Header=BB4_9 Depth=3
	v_mov_b32_e32 v0, s39
	v_add_co_u32_e32 v6, vcc, s38, v10
	v_addc_co_u32_e32 v7, vcc, v0, v11, vcc
	global_store_dword v[6:7], v12, off
                                        ; implicit-def: $vgpr8
                                        ; implicit-def: $vgpr4
                                        ; implicit-def: $vgpr12
                                        ; implicit-def: $vgpr7
.LBB4_25:                               ;   in Loop: Header=BB4_9 Depth=3
	s_andn2_saveexec_b64 s[50:51], s[50:51]
	s_cbranch_execz .LBB4_34
; %bb.26:                               ;   in Loop: Header=BB4_9 Depth=3
	v_cmp_lt_i32_e32 vcc, v8, v4
	s_and_saveexec_b64 s[52:53], vcc
	s_cbranch_execz .LBB4_33
; %bb.27:                               ;   in Loop: Header=BB4_9 Depth=3
	s_mov_b64 s[54:55], 0
                                        ; implicit-def: $sgpr56_sgpr57
                                        ; implicit-def: $sgpr60_sgpr61
                                        ; implicit-def: $sgpr58_sgpr59
	s_branch .LBB4_29
.LBB4_28:                               ;   in Loop: Header=BB4_29 Depth=4
	s_or_b64 exec, exec, s[62:63]
	s_and_b64 s[62:63], exec, s[60:61]
	s_or_b64 s[54:55], s[62:63], s[54:55]
	s_andn2_b64 s[56:57], s[56:57], exec
	s_and_b64 s[62:63], s[58:59], exec
	s_or_b64 s[56:57], s[56:57], s[62:63]
	s_andn2_b64 exec, exec, s[54:55]
	s_cbranch_execz .LBB4_31
.LBB4_29:                               ;   Parent Loop BB4_3 Depth=1
                                        ;     Parent Loop BB4_5 Depth=2
                                        ;       Parent Loop BB4_9 Depth=3
                                        ; =>      This Inner Loop Header: Depth=4
	v_add_u32_e32 v9, v7, v8
	v_ashrrev_i32_e32 v10, 31, v9
	v_lshlrev_b64 v[9:10], 2, v[9:10]
	v_mov_b32_e32 v0, s13
	v_add_co_u32_e32 v13, vcc, s12, v9
	v_addc_co_u32_e32 v14, vcc, v0, v10, vcc
	global_load_dword v0, v[13:14], off
	s_or_b64 s[58:59], s[58:59], exec
	s_or_b64 s[60:61], s[60:61], exec
	s_waitcnt vmcnt(0)
	v_subrev_u32_e32 v0, s66, v0
	v_cmp_ne_u32_e32 vcc, v0, v2
	s_and_saveexec_b64 s[62:63], vcc
	s_cbranch_execz .LBB4_28
; %bb.30:                               ;   in Loop: Header=BB4_29 Depth=4
	v_add_u32_e32 v8, 1, v8
	v_cmp_ge_i32_e32 vcc, v8, v4
	s_andn2_b64 s[60:61], s[60:61], exec
	s_and_b64 s[70:71], vcc, exec
	s_andn2_b64 s[58:59], s[58:59], exec
	s_or_b64 s[60:61], s[60:61], s[70:71]
	s_branch .LBB4_28
.LBB4_31:                               ;   in Loop: Header=BB4_9 Depth=3
	s_or_b64 exec, exec, s[54:55]
	s_and_saveexec_b64 s[54:55], s[56:57]
	s_xor_b64 s[54:55], exec, s[54:55]
	s_cbranch_execz .LBB4_33
; %bb.32:                               ;   in Loop: Header=BB4_9 Depth=3
	v_mov_b32_e32 v0, s43
	v_add_co_u32_e32 v6, vcc, s42, v9
	v_addc_co_u32_e32 v7, vcc, v0, v10, vcc
	global_store_dword v[6:7], v12, off
.LBB4_33:                               ;   in Loop: Header=BB4_9 Depth=3
	s_or_b64 exec, exec, s[52:53]
.LBB4_34:                               ;   in Loop: Header=BB4_9 Depth=3
	s_or_b64 exec, exec, s[50:51]
                                        ; implicit-def: $vgpr12
                                        ; implicit-def: $vgpr6_vgpr7
.LBB4_35:                               ;   in Loop: Header=BB4_9 Depth=3
	s_andn2_saveexec_b64 s[6:7], s[6:7]
	s_cbranch_execz .LBB4_8
; %bb.36:                               ;   in Loop: Header=BB4_9 Depth=3
	v_cmp_lt_i32_e32 vcc, v0, v23
	s_and_b64 exec, exec, vcc
	s_cbranch_execz .LBB4_8
; %bb.37:                               ;   in Loop: Header=BB4_9 Depth=3
	s_mov_b64 s[6:7], 0
                                        ; implicit-def: $sgpr50_sgpr51
                                        ; implicit-def: $sgpr54_sgpr55
                                        ; implicit-def: $sgpr52_sgpr53
	s_branch .LBB4_39
.LBB4_38:                               ;   in Loop: Header=BB4_39 Depth=4
	s_or_b64 exec, exec, s[56:57]
	s_and_b64 s[56:57], exec, s[54:55]
	s_or_b64 s[6:7], s[56:57], s[6:7]
	s_andn2_b64 s[50:51], s[50:51], exec
	s_and_b64 s[56:57], s[52:53], exec
	s_or_b64 s[50:51], s[50:51], s[56:57]
	s_andn2_b64 exec, exec, s[6:7]
	s_cbranch_execz .LBB4_41
.LBB4_39:                               ;   Parent Loop BB4_3 Depth=1
                                        ;     Parent Loop BB4_5 Depth=2
                                        ;       Parent Loop BB4_9 Depth=3
                                        ; =>      This Inner Loop Header: Depth=4
	v_add_u32_e32 v7, v5, v0
	v_ashrrev_i32_e32 v8, 31, v7
	v_lshlrev_b64 v[7:8], 2, v[7:8]
	v_mov_b32_e32 v4, s21
	v_add_co_u32_e32 v9, vcc, s20, v7
	v_addc_co_u32_e32 v10, vcc, v4, v8, vcc
	global_load_dword v4, v[9:10], off
	s_or_b64 s[52:53], s[52:53], exec
	s_or_b64 s[54:55], s[54:55], exec
	s_waitcnt vmcnt(0)
	v_subrev_u32_e32 v4, s65, v4
	v_cmp_ne_u32_e32 vcc, v4, v6
	s_and_saveexec_b64 s[56:57], vcc
	s_cbranch_execz .LBB4_38
; %bb.40:                               ;   in Loop: Header=BB4_39 Depth=4
	v_add_u32_e32 v0, 1, v0
	v_cmp_ge_i32_e32 vcc, v0, v23
	s_andn2_b64 s[54:55], s[54:55], exec
	s_and_b64 s[58:59], vcc, exec
	s_andn2_b64 s[52:53], s[52:53], exec
	s_or_b64 s[54:55], s[54:55], s[58:59]
	s_branch .LBB4_38
.LBB4_41:                               ;   in Loop: Header=BB4_9 Depth=3
	s_or_b64 exec, exec, s[6:7]
	s_and_saveexec_b64 s[6:7], s[50:51]
	s_xor_b64 s[6:7], exec, s[6:7]
	s_cbranch_execz .LBB4_8
; %bb.42:                               ;   in Loop: Header=BB4_9 Depth=3
	v_mov_b32_e32 v0, s41
	v_add_co_u32_e32 v6, vcc, s40, v7
	v_addc_co_u32_e32 v7, vcc, v0, v8, vcc
	global_store_dword v[6:7], v12, off
	s_branch .LBB4_8
.LBB4_43:                               ;   in Loop: Header=BB4_3 Depth=1
	s_and_saveexec_b64 s[4:5], s[0:1]
	s_cbranch_execz .LBB4_2
; %bb.44:                               ;   in Loop: Header=BB4_3 Depth=1
	s_mov_b64 s[6:7], 0
	v_mov_b32_e32 v2, v18
	s_branch .LBB4_46
.LBB4_45:                               ;   in Loop: Header=BB4_46 Depth=2
	s_or_b64 exec, exec, s[44:45]
	v_add_u32_e32 v2, 64, v2
	v_cmp_le_u32_e32 vcc, s67, v2
	s_or_b64 s[6:7], vcc, s[6:7]
	s_andn2_b64 exec, exec, s[6:7]
	s_cbranch_execz .LBB4_2
.LBB4_46:                               ;   Parent Loop BB4_3 Depth=1
                                        ; =>  This Loop Header: Depth=2
                                        ;       Child Loop BB4_49 Depth 3
                                        ;       Child Loop BB4_52 Depth 3
	v_cmp_gt_i32_e32 vcc, s35, v2
	s_and_saveexec_b64 s[44:45], vcc
	s_cbranch_execz .LBB4_45
; %bb.47:                               ;   in Loop: Header=BB4_46 Depth=2
	v_ashrrev_i32_e32 v3, 31, v2
	v_lshlrev_b64 v[3:4], 2, v[2:3]
	v_mov_b32_e32 v0, s17
	v_add_co_u32_e32 v5, vcc, s16, v3
	v_addc_co_u32_e32 v6, vcc, v0, v4, vcc
	global_load_dword v0, v[5:6], off
	v_mov_b32_e32 v6, s19
	v_add_co_u32_e32 v5, vcc, s18, v3
	v_addc_co_u32_e32 v6, vcc, v6, v4, vcc
	global_load_dword v6, v[5:6], off
	s_waitcnt vmcnt(1)
	v_add_u32_e32 v5, v20, v0
	s_waitcnt vmcnt(0)
	v_subrev_u32_e32 v0, s65, v6
	v_cmp_lt_i32_e32 vcc, v5, v0
	s_and_saveexec_b64 s[46:47], vcc
	s_cbranch_execz .LBB4_50
; %bb.48:                               ;   in Loop: Header=BB4_46 Depth=2
	v_ashrrev_i32_e32 v6, 31, v5
	v_lshlrev_b64 v[8:9], 2, v[5:6]
	v_mov_b32_e32 v7, s41
	v_add_co_u32_e32 v6, vcc, s40, v8
	v_addc_co_u32_e32 v7, vcc, v7, v9, vcc
	v_mov_b32_e32 v10, s23
	v_add_co_u32_e32 v8, vcc, s22, v8
	v_addc_co_u32_e32 v9, vcc, v10, v9, vcc
	s_mov_b64 s[48:49], 0
.LBB4_49:                               ;   Parent Loop BB4_3 Depth=1
                                        ;     Parent Loop BB4_46 Depth=2
                                        ; =>    This Inner Loop Header: Depth=3
	global_load_dword v10, v[6:7], off
	v_add_co_u32_e32 v6, vcc, 64, v6
	v_add_u32_e32 v5, 16, v5
	v_addc_co_u32_e32 v7, vcc, 0, v7, vcc
	v_cmp_ge_i32_e32 vcc, v5, v0
	s_or_b64 s[48:49], vcc, s[48:49]
	s_waitcnt vmcnt(0)
	global_store_dword v[8:9], v10, off
	v_add_co_u32_e32 v8, vcc, 64, v8
	v_addc_co_u32_e32 v9, vcc, 0, v9, vcc
	s_andn2_b64 exec, exec, s[48:49]
	s_cbranch_execnz .LBB4_49
.LBB4_50:                               ;   in Loop: Header=BB4_46 Depth=2
	s_or_b64 exec, exec, s[46:47]
	v_mov_b32_e32 v0, s9
	v_add_co_u32_e32 v5, vcc, s8, v3
	v_addc_co_u32_e32 v6, vcc, v0, v4, vcc
	global_load_dword v0, v[5:6], off
	v_mov_b32_e32 v6, s11
	v_add_co_u32_e32 v5, vcc, s10, v3
	v_addc_co_u32_e32 v6, vcc, v6, v4, vcc
	global_load_dword v6, v[5:6], off
	s_waitcnt vmcnt(1)
	v_add_u32_e32 v5, v21, v0
	s_waitcnt vmcnt(0)
	v_subrev_u32_e32 v0, s66, v6
	v_cmp_lt_i32_e32 vcc, v5, v0
	s_and_saveexec_b64 s[46:47], vcc
	s_cbranch_execz .LBB4_53
; %bb.51:                               ;   in Loop: Header=BB4_46 Depth=2
	v_ashrrev_i32_e32 v6, 31, v5
	v_lshlrev_b64 v[8:9], 2, v[5:6]
	v_mov_b32_e32 v7, s43
	v_add_co_u32_e32 v6, vcc, s42, v8
	v_addc_co_u32_e32 v7, vcc, v7, v9, vcc
	v_mov_b32_e32 v10, s15
	v_add_co_u32_e32 v8, vcc, s14, v8
	v_addc_co_u32_e32 v9, vcc, v10, v9, vcc
	s_mov_b64 s[48:49], 0
.LBB4_52:                               ;   Parent Loop BB4_3 Depth=1
                                        ;     Parent Loop BB4_46 Depth=2
                                        ; =>    This Inner Loop Header: Depth=3
	global_load_dword v10, v[6:7], off
	v_add_co_u32_e32 v6, vcc, 64, v6
	v_add_u32_e32 v5, 16, v5
	v_addc_co_u32_e32 v7, vcc, 0, v7, vcc
	v_cmp_ge_i32_e32 vcc, v5, v0
	s_or_b64 s[48:49], vcc, s[48:49]
	s_waitcnt vmcnt(0)
	global_store_dword v[8:9], v10, off
	v_add_co_u32_e32 v8, vcc, 64, v8
	v_addc_co_u32_e32 v9, vcc, 0, v9, vcc
	s_andn2_b64 exec, exec, s[48:49]
	s_cbranch_execnz .LBB4_52
.LBB4_53:                               ;   in Loop: Header=BB4_46 Depth=2
	s_or_b64 exec, exec, s[46:47]
	s_and_b64 exec, exec, s[2:3]
	s_cbranch_execz .LBB4_45
; %bb.54:                               ;   in Loop: Header=BB4_46 Depth=2
	v_mov_b32_e32 v0, s39
	v_add_co_u32_e32 v5, vcc, s38, v3
	v_addc_co_u32_e32 v6, vcc, v0, v4, vcc
	global_load_dword v0, v[5:6], off
	v_mov_b32_e32 v5, s37
	v_add_co_u32_e32 v3, vcc, s36, v3
	v_addc_co_u32_e32 v4, vcc, v5, v4, vcc
	s_waitcnt vmcnt(0)
	global_store_dword v[3:4], v0, off
	s_branch .LBB4_45
.LBB4_55:
	s_endpgm
	.section	.rodata,"a",@progbits
	.p2align	6, 0x0
	.amdhsa_kernel _ZN9rocsparseL14kernel_freerunILi1024ELi16EfiiEEvT3_S1_T2_PKS2_S4_PKS1_PKT1_21rocsparse_index_base_S4_S4_S6_PS7_SB_SA_S4_S4_S6_SB_SB_SA_SB_SB_
		.amdhsa_group_segment_fixed_size 0
		.amdhsa_private_segment_fixed_size 0
		.amdhsa_kernarg_size 168
		.amdhsa_user_sgpr_count 6
		.amdhsa_user_sgpr_private_segment_buffer 1
		.amdhsa_user_sgpr_dispatch_ptr 0
		.amdhsa_user_sgpr_queue_ptr 0
		.amdhsa_user_sgpr_kernarg_segment_ptr 1
		.amdhsa_user_sgpr_dispatch_id 0
		.amdhsa_user_sgpr_flat_scratch_init 0
		.amdhsa_user_sgpr_private_segment_size 0
		.amdhsa_uses_dynamic_stack 0
		.amdhsa_system_sgpr_private_segment_wavefront_offset 0
		.amdhsa_system_sgpr_workgroup_id_x 1
		.amdhsa_system_sgpr_workgroup_id_y 0
		.amdhsa_system_sgpr_workgroup_id_z 0
		.amdhsa_system_sgpr_workgroup_info 0
		.amdhsa_system_vgpr_workitem_id 0
		.amdhsa_next_free_vgpr 36
		.amdhsa_next_free_sgpr 72
		.amdhsa_reserve_vcc 1
		.amdhsa_reserve_flat_scratch 0
		.amdhsa_float_round_mode_32 0
		.amdhsa_float_round_mode_16_64 0
		.amdhsa_float_denorm_mode_32 3
		.amdhsa_float_denorm_mode_16_64 3
		.amdhsa_dx10_clamp 1
		.amdhsa_ieee_mode 1
		.amdhsa_fp16_overflow 0
		.amdhsa_exception_fp_ieee_invalid_op 0
		.amdhsa_exception_fp_denorm_src 0
		.amdhsa_exception_fp_ieee_div_zero 0
		.amdhsa_exception_fp_ieee_overflow 0
		.amdhsa_exception_fp_ieee_underflow 0
		.amdhsa_exception_fp_ieee_inexact 0
		.amdhsa_exception_int_div_zero 0
	.end_amdhsa_kernel
	.section	.text._ZN9rocsparseL14kernel_freerunILi1024ELi16EfiiEEvT3_S1_T2_PKS2_S4_PKS1_PKT1_21rocsparse_index_base_S4_S4_S6_PS7_SB_SA_S4_S4_S6_SB_SB_SA_SB_SB_,"axG",@progbits,_ZN9rocsparseL14kernel_freerunILi1024ELi16EfiiEEvT3_S1_T2_PKS2_S4_PKS1_PKT1_21rocsparse_index_base_S4_S4_S6_PS7_SB_SA_S4_S4_S6_SB_SB_SA_SB_SB_,comdat
.Lfunc_end4:
	.size	_ZN9rocsparseL14kernel_freerunILi1024ELi16EfiiEEvT3_S1_T2_PKS2_S4_PKS1_PKT1_21rocsparse_index_base_S4_S4_S6_PS7_SB_SA_S4_S4_S6_SB_SB_SA_SB_SB_, .Lfunc_end4-_ZN9rocsparseL14kernel_freerunILi1024ELi16EfiiEEvT3_S1_T2_PKS2_S4_PKS1_PKT1_21rocsparse_index_base_S4_S4_S6_PS7_SB_SA_S4_S4_S6_SB_SB_SA_SB_SB_
                                        ; -- End function
	.set _ZN9rocsparseL14kernel_freerunILi1024ELi16EfiiEEvT3_S1_T2_PKS2_S4_PKS1_PKT1_21rocsparse_index_base_S4_S4_S6_PS7_SB_SA_S4_S4_S6_SB_SB_SA_SB_SB_.num_vgpr, 36
	.set _ZN9rocsparseL14kernel_freerunILi1024ELi16EfiiEEvT3_S1_T2_PKS2_S4_PKS1_PKT1_21rocsparse_index_base_S4_S4_S6_PS7_SB_SA_S4_S4_S6_SB_SB_SA_SB_SB_.num_agpr, 0
	.set _ZN9rocsparseL14kernel_freerunILi1024ELi16EfiiEEvT3_S1_T2_PKS2_S4_PKS1_PKT1_21rocsparse_index_base_S4_S4_S6_PS7_SB_SA_S4_S4_S6_SB_SB_SA_SB_SB_.numbered_sgpr, 72
	.set _ZN9rocsparseL14kernel_freerunILi1024ELi16EfiiEEvT3_S1_T2_PKS2_S4_PKS1_PKT1_21rocsparse_index_base_S4_S4_S6_PS7_SB_SA_S4_S4_S6_SB_SB_SA_SB_SB_.num_named_barrier, 0
	.set _ZN9rocsparseL14kernel_freerunILi1024ELi16EfiiEEvT3_S1_T2_PKS2_S4_PKS1_PKT1_21rocsparse_index_base_S4_S4_S6_PS7_SB_SA_S4_S4_S6_SB_SB_SA_SB_SB_.private_seg_size, 0
	.set _ZN9rocsparseL14kernel_freerunILi1024ELi16EfiiEEvT3_S1_T2_PKS2_S4_PKS1_PKT1_21rocsparse_index_base_S4_S4_S6_PS7_SB_SA_S4_S4_S6_SB_SB_SA_SB_SB_.uses_vcc, 1
	.set _ZN9rocsparseL14kernel_freerunILi1024ELi16EfiiEEvT3_S1_T2_PKS2_S4_PKS1_PKT1_21rocsparse_index_base_S4_S4_S6_PS7_SB_SA_S4_S4_S6_SB_SB_SA_SB_SB_.uses_flat_scratch, 0
	.set _ZN9rocsparseL14kernel_freerunILi1024ELi16EfiiEEvT3_S1_T2_PKS2_S4_PKS1_PKT1_21rocsparse_index_base_S4_S4_S6_PS7_SB_SA_S4_S4_S6_SB_SB_SA_SB_SB_.has_dyn_sized_stack, 0
	.set _ZN9rocsparseL14kernel_freerunILi1024ELi16EfiiEEvT3_S1_T2_PKS2_S4_PKS1_PKT1_21rocsparse_index_base_S4_S4_S6_PS7_SB_SA_S4_S4_S6_SB_SB_SA_SB_SB_.has_recursion, 0
	.set _ZN9rocsparseL14kernel_freerunILi1024ELi16EfiiEEvT3_S1_T2_PKS2_S4_PKS1_PKT1_21rocsparse_index_base_S4_S4_S6_PS7_SB_SA_S4_S4_S6_SB_SB_SA_SB_SB_.has_indirect_call, 0
	.section	.AMDGPU.csdata,"",@progbits
; Kernel info:
; codeLenInByte = 1928
; TotalNumSgprs: 76
; NumVgprs: 36
; ScratchSize: 0
; MemoryBound: 0
; FloatMode: 240
; IeeeMode: 1
; LDSByteSize: 0 bytes/workgroup (compile time only)
; SGPRBlocks: 9
; VGPRBlocks: 8
; NumSGPRsForWavesPerEU: 76
; NumVGPRsForWavesPerEU: 36
; Occupancy: 7
; WaveLimiterHint : 1
; COMPUTE_PGM_RSRC2:SCRATCH_EN: 0
; COMPUTE_PGM_RSRC2:USER_SGPR: 6
; COMPUTE_PGM_RSRC2:TRAP_HANDLER: 0
; COMPUTE_PGM_RSRC2:TGID_X_EN: 1
; COMPUTE_PGM_RSRC2:TGID_Y_EN: 0
; COMPUTE_PGM_RSRC2:TGID_Z_EN: 0
; COMPUTE_PGM_RSRC2:TIDIG_COMP_CNT: 0
	.section	.text._ZN9rocsparseL14kernel_freerunILi1024ELi32EfiiEEvT3_S1_T2_PKS2_S4_PKS1_PKT1_21rocsparse_index_base_S4_S4_S6_PS7_SB_SA_S4_S4_S6_SB_SB_SA_SB_SB_,"axG",@progbits,_ZN9rocsparseL14kernel_freerunILi1024ELi32EfiiEEvT3_S1_T2_PKS2_S4_PKS1_PKT1_21rocsparse_index_base_S4_S4_S6_PS7_SB_SA_S4_S4_S6_SB_SB_SA_SB_SB_,comdat
	.globl	_ZN9rocsparseL14kernel_freerunILi1024ELi32EfiiEEvT3_S1_T2_PKS2_S4_PKS1_PKT1_21rocsparse_index_base_S4_S4_S6_PS7_SB_SA_S4_S4_S6_SB_SB_SA_SB_SB_ ; -- Begin function _ZN9rocsparseL14kernel_freerunILi1024ELi32EfiiEEvT3_S1_T2_PKS2_S4_PKS1_PKT1_21rocsparse_index_base_S4_S4_S6_PS7_SB_SA_S4_S4_S6_SB_SB_SA_SB_SB_
	.p2align	8
	.type	_ZN9rocsparseL14kernel_freerunILi1024ELi32EfiiEEvT3_S1_T2_PKS2_S4_PKS1_PKT1_21rocsparse_index_base_S4_S4_S6_PS7_SB_SA_S4_S4_S6_SB_SB_SA_SB_SB_,@function
_ZN9rocsparseL14kernel_freerunILi1024ELi32EfiiEEvT3_S1_T2_PKS2_S4_PKS1_PKT1_21rocsparse_index_base_S4_S4_S6_PS7_SB_SA_S4_S4_S6_SB_SB_SA_SB_SB_: ; @_ZN9rocsparseL14kernel_freerunILi1024ELi32EfiiEEvT3_S1_T2_PKS2_S4_PKS1_PKT1_21rocsparse_index_base_S4_S4_S6_PS7_SB_SA_S4_S4_S6_SB_SB_SA_SB_SB_
; %bb.0:
	s_load_dwordx2 s[34:35], s[4:5], 0x0
	v_lshrrev_b32_e32 v1, 5, v0
	s_lshl_b32 s67, s6, 10
	v_or_b32_e32 v18, s67, v1
	s_mov_b32 s33, 0
	s_waitcnt lgkmcnt(0)
	s_cmp_gt_i32 s34, 0
	v_cmp_gt_i32_e32 vcc, s35, v18
	s_cselect_b64 s[0:1], -1, 0
	s_and_b64 s[0:1], vcc, s[0:1]
	s_and_saveexec_b64 s[2:3], s[0:1]
	s_cbranch_execz .LBB5_55
; %bb.1:
	s_load_dwordx4 s[36:39], s[4:5], 0x98
	s_load_dwordx8 s[8:15], s[4:5], 0x68
	s_load_dwordx8 s[16:23], s[4:5], 0x38
	;; [unrolled: 1-line block ×3, first 2 shown]
	s_load_dword s64, s[4:5], 0x30
	s_load_dwordx2 s[40:41], s[4:5], 0x58
	s_load_dword s65, s[4:5], 0x60
	s_load_dwordx2 s[42:43], s[4:5], 0x88
	s_load_dword s66, s[4:5], 0x90
	v_and_b32_e32 v0, 31, v0
	s_addk_i32 s67, 0x400
	s_waitcnt lgkmcnt(0)
	v_subrev_u32_e32 v19, s64, v0
	v_cmp_gt_u32_e64 s[0:1], s67, v18
	v_subrev_u32_e32 v20, s65, v0
	v_subrev_u32_e32 v21, s66, v0
	v_cmp_eq_u32_e64 s[2:3], 0, v0
	v_mov_b32_e32 v1, 0
	s_movk_i32 s68, 0x1f8
	s_branch .LBB5_3
.LBB5_2:                                ;   in Loop: Header=BB5_3 Depth=1
	s_or_b64 exec, exec, s[4:5]
	s_add_i32 s33, s33, 1
	s_cmp_eq_u32 s33, s34
	s_cbranch_scc1 .LBB5_55
.LBB5_3:                                ; =>This Loop Header: Depth=1
                                        ;     Child Loop BB5_5 Depth 2
                                        ;       Child Loop BB5_9 Depth 3
                                        ;         Child Loop BB5_13 Depth 4
                                        ;         Child Loop BB5_29 Depth 4
	;; [unrolled: 1-line block ×3, first 2 shown]
                                        ;     Child Loop BB5_46 Depth 2
                                        ;       Child Loop BB5_49 Depth 3
                                        ;       Child Loop BB5_52 Depth 3
	s_mov_b32 s69, 0
	s_branch .LBB5_5
.LBB5_4:                                ;   in Loop: Header=BB5_5 Depth=2
	s_or_b64 exec, exec, s[44:45]
	s_add_i32 s69, s69, 1
	s_cmp_eq_u32 s69, 32
	s_cbranch_scc1 .LBB5_43
.LBB5_5:                                ;   Parent Loop BB5_3 Depth=1
                                        ; =>  This Loop Header: Depth=2
                                        ;       Child Loop BB5_9 Depth 3
                                        ;         Child Loop BB5_13 Depth 4
                                        ;         Child Loop BB5_29 Depth 4
	;; [unrolled: 1-line block ×3, first 2 shown]
	v_lshl_add_u32 v2, s69, 5, v18
	v_cmp_gt_i32_e32 vcc, s35, v2
	s_and_saveexec_b64 s[44:45], vcc
	s_cbranch_execz .LBB5_4
; %bb.6:                                ;   in Loop: Header=BB5_5 Depth=2
	v_ashrrev_i32_e32 v3, 31, v2
	v_lshlrev_b64 v[4:5], 2, v[2:3]
	v_mov_b32_e32 v0, s25
	v_add_co_u32_e32 v6, vcc, s24, v4
	v_addc_co_u32_e32 v7, vcc, v0, v5, vcc
	global_load_dword v0, v[6:7], off
	v_mov_b32_e32 v3, s27
	v_add_co_u32_e32 v6, vcc, s26, v4
	v_addc_co_u32_e32 v7, vcc, v3, v5, vcc
	global_load_dword v6, v[6:7], off
	s_waitcnt vmcnt(1)
	v_add_u32_e32 v3, v19, v0
	s_waitcnt vmcnt(0)
	v_subrev_u32_e32 v22, s64, v6
	v_cmp_lt_i32_e32 vcc, v3, v22
	s_and_b64 exec, exec, vcc
	s_cbranch_execz .LBB5_4
; %bb.7:                                ;   in Loop: Header=BB5_5 Depth=2
	v_mov_b32_e32 v0, s19
	v_add_co_u32_e32 v6, vcc, s18, v4
	v_addc_co_u32_e32 v7, vcc, v0, v5, vcc
	v_mov_b32_e32 v0, s17
	v_add_co_u32_e32 v4, vcc, s16, v4
	v_addc_co_u32_e32 v5, vcc, v0, v5, vcc
	global_load_dword v0, v[4:5], off
	global_load_dword v8, v[6:7], off
	v_mov_b32_e32 v4, s21
	v_mov_b32_e32 v9, s23
	s_mov_b64 s[46:47], 0
	s_waitcnt vmcnt(1)
	v_subrev_u32_e32 v5, s65, v0
	v_ashrrev_i32_e32 v6, 31, v5
	v_lshlrev_b64 v[6:7], 2, v[5:6]
	s_waitcnt vmcnt(0)
	v_sub_u32_e32 v23, v8, v0
	v_add_co_u32_e32 v24, vcc, s20, v6
	v_addc_co_u32_e32 v25, vcc, v4, v7, vcc
	v_add_co_u32_e32 v26, vcc, s22, v6
	v_cmp_lt_i32_e64 s[4:5], 0, v23
	v_addc_co_u32_e32 v27, vcc, v9, v7, vcc
	s_branch .LBB5_9
.LBB5_8:                                ;   in Loop: Header=BB5_9 Depth=3
	s_or_b64 exec, exec, s[48:49]
	v_add_u32_e32 v3, 32, v3
	v_cmp_ge_i32_e32 vcc, v3, v22
	s_or_b64 s[46:47], vcc, s[46:47]
	s_andn2_b64 exec, exec, s[46:47]
	s_cbranch_execz .LBB5_4
.LBB5_9:                                ;   Parent Loop BB5_3 Depth=1
                                        ;     Parent Loop BB5_5 Depth=2
                                        ; =>    This Loop Header: Depth=3
                                        ;         Child Loop BB5_13 Depth 4
                                        ;         Child Loop BB5_29 Depth 4
	;; [unrolled: 1-line block ×3, first 2 shown]
	v_ashrrev_i32_e32 v4, 31, v3
	v_lshlrev_b64 v[12:13], 2, v[3:4]
	v_mov_b32_e32 v0, s29
	v_add_co_u32_e32 v6, vcc, s28, v12
	v_addc_co_u32_e32 v7, vcc, v0, v13, vcc
	global_load_dword v0, v[6:7], off
	v_mov_b32_e32 v4, s9
	v_mov_b32_e32 v9, s11
	;; [unrolled: 1-line block ×3, first 2 shown]
	s_waitcnt vmcnt(0)
	v_subrev_u32_e32 v6, s64, v0
	v_ashrrev_i32_e32 v7, 31, v6
	v_lshlrev_b64 v[10:11], 2, v[6:7]
	v_add_co_u32_e32 v7, vcc, s8, v10
	v_addc_co_u32_e32 v8, vcc, v4, v11, vcc
	v_add_co_u32_e32 v14, vcc, s10, v10
	v_addc_co_u32_e32 v15, vcc, v9, v11, vcc
	global_load_dword v0, v[7:8], off
	global_load_dword v4, v[14:15], off
	v_mov_b32_e32 v8, 0
	s_waitcnt vmcnt(1)
	v_subrev_u32_e32 v7, s66, v0
	s_waitcnt vmcnt(0)
	v_sub_u32_e32 v4, v4, v0
	v_mov_b32_e32 v0, v8
	s_and_saveexec_b64 s[6:7], s[4:5]
	s_cbranch_execz .LBB5_17
; %bb.10:                               ;   in Loop: Header=BB5_9 Depth=3
	v_ashrrev_i32_e32 v8, 31, v7
	v_lshlrev_b64 v[8:9], 2, v[7:8]
	v_mov_b32_e32 v0, s13
	v_add_co_u32_e32 v29, vcc, s12, v8
	v_addc_co_u32_e32 v30, vcc, v0, v9, vcc
	v_mov_b32_e32 v0, s15
	v_add_co_u32_e32 v31, vcc, s14, v8
	v_addc_co_u32_e32 v32, vcc, v0, v9, vcc
	v_mov_b32_e32 v0, 0
	v_mov_b32_e32 v28, 0
	s_mov_b64 s[48:49], 0
	v_mov_b32_e32 v8, v0
                                        ; implicit-def: $sgpr50_sgpr51
	s_branch .LBB5_13
.LBB5_11:                               ;   in Loop: Header=BB5_13 Depth=4
	s_or_b64 exec, exec, s[54:55]
	v_cmp_le_i32_e32 vcc, v9, v33
	v_addc_co_u32_e32 v0, vcc, 0, v0, vcc
	v_cmp_ge_i32_e32 vcc, v9, v33
	v_addc_co_u32_e32 v8, vcc, 0, v8, vcc
	v_cmp_ge_i32_e32 vcc, v0, v23
	s_andn2_b64 s[50:51], s[50:51], exec
	s_and_b64 s[54:55], vcc, exec
	s_or_b64 s[50:51], s[50:51], s[54:55]
.LBB5_12:                               ;   in Loop: Header=BB5_13 Depth=4
	s_or_b64 exec, exec, s[52:53]
	s_and_b64 s[52:53], exec, s[50:51]
	s_or_b64 s[48:49], s[52:53], s[48:49]
	s_andn2_b64 exec, exec, s[48:49]
	s_cbranch_execz .LBB5_16
.LBB5_13:                               ;   Parent Loop BB5_3 Depth=1
                                        ;     Parent Loop BB5_5 Depth=2
                                        ;       Parent Loop BB5_9 Depth=3
                                        ; =>      This Inner Loop Header: Depth=4
	v_cmp_lt_i32_e32 vcc, v8, v4
	s_or_b64 s[50:51], s[50:51], exec
	s_and_saveexec_b64 s[52:53], vcc
	s_cbranch_execz .LBB5_12
; %bb.14:                               ;   in Loop: Header=BB5_13 Depth=4
	v_lshlrev_b64 v[14:15], 2, v[0:1]
	v_mov_b32_e32 v9, v1
	v_add_co_u32_e32 v16, vcc, v24, v14
	v_addc_co_u32_e32 v17, vcc, v25, v15, vcc
	global_load_dword v35, v[16:17], off
	v_lshlrev_b64 v[16:17], 2, v[8:9]
	v_add_co_u32_e32 v33, vcc, v29, v16
	v_addc_co_u32_e32 v34, vcc, v30, v17, vcc
	global_load_dword v33, v[33:34], off
	s_waitcnt vmcnt(1)
	v_subrev_u32_e32 v9, s65, v35
	s_waitcnt vmcnt(0)
	v_subrev_u32_e32 v33, s66, v33
	v_cmp_eq_u32_e32 vcc, v9, v33
	s_and_saveexec_b64 s[54:55], vcc
	s_cbranch_execz .LBB5_11
; %bb.15:                               ;   in Loop: Header=BB5_13 Depth=4
	v_add_co_u32_e32 v14, vcc, v26, v14
	v_addc_co_u32_e32 v15, vcc, v27, v15, vcc
	v_add_co_u32_e32 v16, vcc, v31, v16
	v_addc_co_u32_e32 v17, vcc, v32, v17, vcc
	global_load_dword v14, v[14:15], off
	s_nop 0
	global_load_dword v15, v[16:17], off
	s_waitcnt vmcnt(0)
	v_fmac_f32_e32 v28, v14, v15
	s_branch .LBB5_11
.LBB5_16:                               ;   in Loop: Header=BB5_9 Depth=3
	s_or_b64 exec, exec, s[48:49]
.LBB5_17:                               ;   in Loop: Header=BB5_9 Depth=3
	s_or_b64 exec, exec, s[6:7]
	v_mov_b32_e32 v9, s31
	v_add_co_u32_e32 v12, vcc, s30, v12
	v_addc_co_u32_e32 v13, vcc, v9, v13, vcc
	global_load_dword v9, v[12:13], off
	v_cmp_le_i32_e64 s[6:7], v2, v6
	v_cmp_gt_i32_e32 vcc, v2, v6
	s_waitcnt vmcnt(0)
	v_sub_f32_e32 v12, v9, v28
	s_and_saveexec_b64 s[48:49], vcc
	s_cbranch_execz .LBB5_21
; %bb.18:                               ;   in Loop: Header=BB5_9 Depth=3
	v_mov_b32_e32 v9, s37
	v_add_co_u32_e32 v13, vcc, s36, v10
	v_addc_co_u32_e32 v14, vcc, v9, v11, vcc
	global_load_dword v9, v[13:14], off
	v_mov_b32_e32 v13, 0
	s_waitcnt vmcnt(0)
	v_cmp_lg_f32_e32 vcc, 0, v9
	s_and_saveexec_b64 s[50:51], vcc
	s_cbranch_execz .LBB5_20
; %bb.19:                               ;   in Loop: Header=BB5_9 Depth=3
	v_div_scale_f32 v13, s[52:53], v9, v9, v12
	v_div_scale_f32 v14, vcc, v12, v9, v12
	v_rcp_f32_e32 v15, v13
	v_fma_f32 v16, -v13, v15, 1.0
	v_fmac_f32_e32 v15, v16, v15
	v_mul_f32_e32 v16, v14, v15
	v_fma_f32 v17, -v13, v16, v14
	v_fmac_f32_e32 v16, v17, v15
	v_fma_f32 v13, -v13, v16, v14
	v_div_fmas_f32 v13, v13, v15, v16
	v_div_fixup_f32 v13, v13, v9, v12
.LBB5_20:                               ;   in Loop: Header=BB5_9 Depth=3
	s_or_b64 exec, exec, s[50:51]
	v_mov_b32_e32 v12, v13
.LBB5_21:                               ;   in Loop: Header=BB5_9 Depth=3
	s_or_b64 exec, exec, s[48:49]
	v_cmp_class_f32_e64 s[50:51], v12, s68
	s_and_saveexec_b64 s[48:49], s[50:51]
	s_cbranch_execz .LBB5_8
; %bb.22:                               ;   in Loop: Header=BB5_9 Depth=3
	s_and_saveexec_b64 s[50:51], s[6:7]
	s_xor_b64 s[6:7], exec, s[50:51]
	s_cbranch_execz .LBB5_35
; %bb.23:                               ;   in Loop: Header=BB5_9 Depth=3
	v_cmp_ge_i32_e32 vcc, v2, v6
	s_and_saveexec_b64 s[50:51], vcc
	s_xor_b64 s[50:51], exec, s[50:51]
	s_cbranch_execz .LBB5_25
; %bb.24:                               ;   in Loop: Header=BB5_9 Depth=3
	v_mov_b32_e32 v0, s39
	v_add_co_u32_e32 v6, vcc, s38, v10
	v_addc_co_u32_e32 v7, vcc, v0, v11, vcc
	global_store_dword v[6:7], v12, off
                                        ; implicit-def: $vgpr8
                                        ; implicit-def: $vgpr4
                                        ; implicit-def: $vgpr12
                                        ; implicit-def: $vgpr7
.LBB5_25:                               ;   in Loop: Header=BB5_9 Depth=3
	s_andn2_saveexec_b64 s[50:51], s[50:51]
	s_cbranch_execz .LBB5_34
; %bb.26:                               ;   in Loop: Header=BB5_9 Depth=3
	v_cmp_lt_i32_e32 vcc, v8, v4
	s_and_saveexec_b64 s[52:53], vcc
	s_cbranch_execz .LBB5_33
; %bb.27:                               ;   in Loop: Header=BB5_9 Depth=3
	s_mov_b64 s[54:55], 0
                                        ; implicit-def: $sgpr56_sgpr57
                                        ; implicit-def: $sgpr60_sgpr61
                                        ; implicit-def: $sgpr58_sgpr59
	s_branch .LBB5_29
.LBB5_28:                               ;   in Loop: Header=BB5_29 Depth=4
	s_or_b64 exec, exec, s[62:63]
	s_and_b64 s[62:63], exec, s[60:61]
	s_or_b64 s[54:55], s[62:63], s[54:55]
	s_andn2_b64 s[56:57], s[56:57], exec
	s_and_b64 s[62:63], s[58:59], exec
	s_or_b64 s[56:57], s[56:57], s[62:63]
	s_andn2_b64 exec, exec, s[54:55]
	s_cbranch_execz .LBB5_31
.LBB5_29:                               ;   Parent Loop BB5_3 Depth=1
                                        ;     Parent Loop BB5_5 Depth=2
                                        ;       Parent Loop BB5_9 Depth=3
                                        ; =>      This Inner Loop Header: Depth=4
	v_add_u32_e32 v9, v7, v8
	v_ashrrev_i32_e32 v10, 31, v9
	v_lshlrev_b64 v[9:10], 2, v[9:10]
	v_mov_b32_e32 v0, s13
	v_add_co_u32_e32 v13, vcc, s12, v9
	v_addc_co_u32_e32 v14, vcc, v0, v10, vcc
	global_load_dword v0, v[13:14], off
	s_or_b64 s[58:59], s[58:59], exec
	s_or_b64 s[60:61], s[60:61], exec
	s_waitcnt vmcnt(0)
	v_subrev_u32_e32 v0, s66, v0
	v_cmp_ne_u32_e32 vcc, v0, v2
	s_and_saveexec_b64 s[62:63], vcc
	s_cbranch_execz .LBB5_28
; %bb.30:                               ;   in Loop: Header=BB5_29 Depth=4
	v_add_u32_e32 v8, 1, v8
	v_cmp_ge_i32_e32 vcc, v8, v4
	s_andn2_b64 s[60:61], s[60:61], exec
	s_and_b64 s[70:71], vcc, exec
	s_andn2_b64 s[58:59], s[58:59], exec
	s_or_b64 s[60:61], s[60:61], s[70:71]
	s_branch .LBB5_28
.LBB5_31:                               ;   in Loop: Header=BB5_9 Depth=3
	s_or_b64 exec, exec, s[54:55]
	s_and_saveexec_b64 s[54:55], s[56:57]
	s_xor_b64 s[54:55], exec, s[54:55]
	s_cbranch_execz .LBB5_33
; %bb.32:                               ;   in Loop: Header=BB5_9 Depth=3
	v_mov_b32_e32 v0, s43
	v_add_co_u32_e32 v6, vcc, s42, v9
	v_addc_co_u32_e32 v7, vcc, v0, v10, vcc
	global_store_dword v[6:7], v12, off
.LBB5_33:                               ;   in Loop: Header=BB5_9 Depth=3
	s_or_b64 exec, exec, s[52:53]
.LBB5_34:                               ;   in Loop: Header=BB5_9 Depth=3
	s_or_b64 exec, exec, s[50:51]
                                        ; implicit-def: $vgpr12
                                        ; implicit-def: $vgpr6_vgpr7
.LBB5_35:                               ;   in Loop: Header=BB5_9 Depth=3
	s_andn2_saveexec_b64 s[6:7], s[6:7]
	s_cbranch_execz .LBB5_8
; %bb.36:                               ;   in Loop: Header=BB5_9 Depth=3
	v_cmp_lt_i32_e32 vcc, v0, v23
	s_and_b64 exec, exec, vcc
	s_cbranch_execz .LBB5_8
; %bb.37:                               ;   in Loop: Header=BB5_9 Depth=3
	s_mov_b64 s[6:7], 0
                                        ; implicit-def: $sgpr50_sgpr51
                                        ; implicit-def: $sgpr54_sgpr55
                                        ; implicit-def: $sgpr52_sgpr53
	s_branch .LBB5_39
.LBB5_38:                               ;   in Loop: Header=BB5_39 Depth=4
	s_or_b64 exec, exec, s[56:57]
	s_and_b64 s[56:57], exec, s[54:55]
	s_or_b64 s[6:7], s[56:57], s[6:7]
	s_andn2_b64 s[50:51], s[50:51], exec
	s_and_b64 s[56:57], s[52:53], exec
	s_or_b64 s[50:51], s[50:51], s[56:57]
	s_andn2_b64 exec, exec, s[6:7]
	s_cbranch_execz .LBB5_41
.LBB5_39:                               ;   Parent Loop BB5_3 Depth=1
                                        ;     Parent Loop BB5_5 Depth=2
                                        ;       Parent Loop BB5_9 Depth=3
                                        ; =>      This Inner Loop Header: Depth=4
	v_add_u32_e32 v7, v5, v0
	v_ashrrev_i32_e32 v8, 31, v7
	v_lshlrev_b64 v[7:8], 2, v[7:8]
	v_mov_b32_e32 v4, s21
	v_add_co_u32_e32 v9, vcc, s20, v7
	v_addc_co_u32_e32 v10, vcc, v4, v8, vcc
	global_load_dword v4, v[9:10], off
	s_or_b64 s[52:53], s[52:53], exec
	s_or_b64 s[54:55], s[54:55], exec
	s_waitcnt vmcnt(0)
	v_subrev_u32_e32 v4, s65, v4
	v_cmp_ne_u32_e32 vcc, v4, v6
	s_and_saveexec_b64 s[56:57], vcc
	s_cbranch_execz .LBB5_38
; %bb.40:                               ;   in Loop: Header=BB5_39 Depth=4
	v_add_u32_e32 v0, 1, v0
	v_cmp_ge_i32_e32 vcc, v0, v23
	s_andn2_b64 s[54:55], s[54:55], exec
	s_and_b64 s[58:59], vcc, exec
	s_andn2_b64 s[52:53], s[52:53], exec
	s_or_b64 s[54:55], s[54:55], s[58:59]
	s_branch .LBB5_38
.LBB5_41:                               ;   in Loop: Header=BB5_9 Depth=3
	s_or_b64 exec, exec, s[6:7]
	s_and_saveexec_b64 s[6:7], s[50:51]
	s_xor_b64 s[6:7], exec, s[6:7]
	s_cbranch_execz .LBB5_8
; %bb.42:                               ;   in Loop: Header=BB5_9 Depth=3
	v_mov_b32_e32 v0, s41
	v_add_co_u32_e32 v6, vcc, s40, v7
	v_addc_co_u32_e32 v7, vcc, v0, v8, vcc
	global_store_dword v[6:7], v12, off
	s_branch .LBB5_8
.LBB5_43:                               ;   in Loop: Header=BB5_3 Depth=1
	s_and_saveexec_b64 s[4:5], s[0:1]
	s_cbranch_execz .LBB5_2
; %bb.44:                               ;   in Loop: Header=BB5_3 Depth=1
	s_mov_b64 s[6:7], 0
	v_mov_b32_e32 v2, v18
	s_branch .LBB5_46
.LBB5_45:                               ;   in Loop: Header=BB5_46 Depth=2
	s_or_b64 exec, exec, s[44:45]
	v_add_u32_e32 v2, 32, v2
	v_cmp_le_u32_e32 vcc, s67, v2
	s_or_b64 s[6:7], vcc, s[6:7]
	s_andn2_b64 exec, exec, s[6:7]
	s_cbranch_execz .LBB5_2
.LBB5_46:                               ;   Parent Loop BB5_3 Depth=1
                                        ; =>  This Loop Header: Depth=2
                                        ;       Child Loop BB5_49 Depth 3
                                        ;       Child Loop BB5_52 Depth 3
	v_cmp_gt_i32_e32 vcc, s35, v2
	s_and_saveexec_b64 s[44:45], vcc
	s_cbranch_execz .LBB5_45
; %bb.47:                               ;   in Loop: Header=BB5_46 Depth=2
	v_ashrrev_i32_e32 v3, 31, v2
	v_lshlrev_b64 v[3:4], 2, v[2:3]
	v_mov_b32_e32 v0, s17
	v_add_co_u32_e32 v5, vcc, s16, v3
	v_addc_co_u32_e32 v6, vcc, v0, v4, vcc
	global_load_dword v0, v[5:6], off
	v_mov_b32_e32 v6, s19
	v_add_co_u32_e32 v5, vcc, s18, v3
	v_addc_co_u32_e32 v6, vcc, v6, v4, vcc
	global_load_dword v6, v[5:6], off
	s_waitcnt vmcnt(1)
	v_add_u32_e32 v5, v20, v0
	s_waitcnt vmcnt(0)
	v_subrev_u32_e32 v0, s65, v6
	v_cmp_lt_i32_e32 vcc, v5, v0
	s_and_saveexec_b64 s[46:47], vcc
	s_cbranch_execz .LBB5_50
; %bb.48:                               ;   in Loop: Header=BB5_46 Depth=2
	v_ashrrev_i32_e32 v6, 31, v5
	v_lshlrev_b64 v[8:9], 2, v[5:6]
	v_mov_b32_e32 v7, s41
	v_add_co_u32_e32 v6, vcc, s40, v8
	v_addc_co_u32_e32 v7, vcc, v7, v9, vcc
	v_mov_b32_e32 v10, s23
	v_add_co_u32_e32 v8, vcc, s22, v8
	v_addc_co_u32_e32 v9, vcc, v10, v9, vcc
	s_mov_b64 s[48:49], 0
.LBB5_49:                               ;   Parent Loop BB5_3 Depth=1
                                        ;     Parent Loop BB5_46 Depth=2
                                        ; =>    This Inner Loop Header: Depth=3
	global_load_dword v10, v[6:7], off
	v_add_co_u32_e32 v6, vcc, 0x80, v6
	v_add_u32_e32 v5, 32, v5
	v_addc_co_u32_e32 v7, vcc, 0, v7, vcc
	v_cmp_ge_i32_e32 vcc, v5, v0
	s_or_b64 s[48:49], vcc, s[48:49]
	s_waitcnt vmcnt(0)
	global_store_dword v[8:9], v10, off
	v_add_co_u32_e32 v8, vcc, 0x80, v8
	v_addc_co_u32_e32 v9, vcc, 0, v9, vcc
	s_andn2_b64 exec, exec, s[48:49]
	s_cbranch_execnz .LBB5_49
.LBB5_50:                               ;   in Loop: Header=BB5_46 Depth=2
	s_or_b64 exec, exec, s[46:47]
	v_mov_b32_e32 v0, s9
	v_add_co_u32_e32 v5, vcc, s8, v3
	v_addc_co_u32_e32 v6, vcc, v0, v4, vcc
	global_load_dword v0, v[5:6], off
	v_mov_b32_e32 v6, s11
	v_add_co_u32_e32 v5, vcc, s10, v3
	v_addc_co_u32_e32 v6, vcc, v6, v4, vcc
	global_load_dword v6, v[5:6], off
	s_waitcnt vmcnt(1)
	v_add_u32_e32 v5, v21, v0
	s_waitcnt vmcnt(0)
	v_subrev_u32_e32 v0, s66, v6
	v_cmp_lt_i32_e32 vcc, v5, v0
	s_and_saveexec_b64 s[46:47], vcc
	s_cbranch_execz .LBB5_53
; %bb.51:                               ;   in Loop: Header=BB5_46 Depth=2
	v_ashrrev_i32_e32 v6, 31, v5
	v_lshlrev_b64 v[8:9], 2, v[5:6]
	v_mov_b32_e32 v7, s43
	v_add_co_u32_e32 v6, vcc, s42, v8
	v_addc_co_u32_e32 v7, vcc, v7, v9, vcc
	v_mov_b32_e32 v10, s15
	v_add_co_u32_e32 v8, vcc, s14, v8
	v_addc_co_u32_e32 v9, vcc, v10, v9, vcc
	s_mov_b64 s[48:49], 0
.LBB5_52:                               ;   Parent Loop BB5_3 Depth=1
                                        ;     Parent Loop BB5_46 Depth=2
                                        ; =>    This Inner Loop Header: Depth=3
	global_load_dword v10, v[6:7], off
	v_add_co_u32_e32 v6, vcc, 0x80, v6
	v_add_u32_e32 v5, 32, v5
	v_addc_co_u32_e32 v7, vcc, 0, v7, vcc
	v_cmp_ge_i32_e32 vcc, v5, v0
	s_or_b64 s[48:49], vcc, s[48:49]
	s_waitcnt vmcnt(0)
	global_store_dword v[8:9], v10, off
	v_add_co_u32_e32 v8, vcc, 0x80, v8
	v_addc_co_u32_e32 v9, vcc, 0, v9, vcc
	s_andn2_b64 exec, exec, s[48:49]
	s_cbranch_execnz .LBB5_52
.LBB5_53:                               ;   in Loop: Header=BB5_46 Depth=2
	s_or_b64 exec, exec, s[46:47]
	s_and_b64 exec, exec, s[2:3]
	s_cbranch_execz .LBB5_45
; %bb.54:                               ;   in Loop: Header=BB5_46 Depth=2
	v_mov_b32_e32 v0, s39
	v_add_co_u32_e32 v5, vcc, s38, v3
	v_addc_co_u32_e32 v6, vcc, v0, v4, vcc
	global_load_dword v0, v[5:6], off
	v_mov_b32_e32 v5, s37
	v_add_co_u32_e32 v3, vcc, s36, v3
	v_addc_co_u32_e32 v4, vcc, v5, v4, vcc
	s_waitcnt vmcnt(0)
	global_store_dword v[3:4], v0, off
	s_branch .LBB5_45
.LBB5_55:
	s_endpgm
	.section	.rodata,"a",@progbits
	.p2align	6, 0x0
	.amdhsa_kernel _ZN9rocsparseL14kernel_freerunILi1024ELi32EfiiEEvT3_S1_T2_PKS2_S4_PKS1_PKT1_21rocsparse_index_base_S4_S4_S6_PS7_SB_SA_S4_S4_S6_SB_SB_SA_SB_SB_
		.amdhsa_group_segment_fixed_size 0
		.amdhsa_private_segment_fixed_size 0
		.amdhsa_kernarg_size 168
		.amdhsa_user_sgpr_count 6
		.amdhsa_user_sgpr_private_segment_buffer 1
		.amdhsa_user_sgpr_dispatch_ptr 0
		.amdhsa_user_sgpr_queue_ptr 0
		.amdhsa_user_sgpr_kernarg_segment_ptr 1
		.amdhsa_user_sgpr_dispatch_id 0
		.amdhsa_user_sgpr_flat_scratch_init 0
		.amdhsa_user_sgpr_private_segment_size 0
		.amdhsa_uses_dynamic_stack 0
		.amdhsa_system_sgpr_private_segment_wavefront_offset 0
		.amdhsa_system_sgpr_workgroup_id_x 1
		.amdhsa_system_sgpr_workgroup_id_y 0
		.amdhsa_system_sgpr_workgroup_id_z 0
		.amdhsa_system_sgpr_workgroup_info 0
		.amdhsa_system_vgpr_workitem_id 0
		.amdhsa_next_free_vgpr 36
		.amdhsa_next_free_sgpr 72
		.amdhsa_reserve_vcc 1
		.amdhsa_reserve_flat_scratch 0
		.amdhsa_float_round_mode_32 0
		.amdhsa_float_round_mode_16_64 0
		.amdhsa_float_denorm_mode_32 3
		.amdhsa_float_denorm_mode_16_64 3
		.amdhsa_dx10_clamp 1
		.amdhsa_ieee_mode 1
		.amdhsa_fp16_overflow 0
		.amdhsa_exception_fp_ieee_invalid_op 0
		.amdhsa_exception_fp_denorm_src 0
		.amdhsa_exception_fp_ieee_div_zero 0
		.amdhsa_exception_fp_ieee_overflow 0
		.amdhsa_exception_fp_ieee_underflow 0
		.amdhsa_exception_fp_ieee_inexact 0
		.amdhsa_exception_int_div_zero 0
	.end_amdhsa_kernel
	.section	.text._ZN9rocsparseL14kernel_freerunILi1024ELi32EfiiEEvT3_S1_T2_PKS2_S4_PKS1_PKT1_21rocsparse_index_base_S4_S4_S6_PS7_SB_SA_S4_S4_S6_SB_SB_SA_SB_SB_,"axG",@progbits,_ZN9rocsparseL14kernel_freerunILi1024ELi32EfiiEEvT3_S1_T2_PKS2_S4_PKS1_PKT1_21rocsparse_index_base_S4_S4_S6_PS7_SB_SA_S4_S4_S6_SB_SB_SA_SB_SB_,comdat
.Lfunc_end5:
	.size	_ZN9rocsparseL14kernel_freerunILi1024ELi32EfiiEEvT3_S1_T2_PKS2_S4_PKS1_PKT1_21rocsparse_index_base_S4_S4_S6_PS7_SB_SA_S4_S4_S6_SB_SB_SA_SB_SB_, .Lfunc_end5-_ZN9rocsparseL14kernel_freerunILi1024ELi32EfiiEEvT3_S1_T2_PKS2_S4_PKS1_PKT1_21rocsparse_index_base_S4_S4_S6_PS7_SB_SA_S4_S4_S6_SB_SB_SA_SB_SB_
                                        ; -- End function
	.set _ZN9rocsparseL14kernel_freerunILi1024ELi32EfiiEEvT3_S1_T2_PKS2_S4_PKS1_PKT1_21rocsparse_index_base_S4_S4_S6_PS7_SB_SA_S4_S4_S6_SB_SB_SA_SB_SB_.num_vgpr, 36
	.set _ZN9rocsparseL14kernel_freerunILi1024ELi32EfiiEEvT3_S1_T2_PKS2_S4_PKS1_PKT1_21rocsparse_index_base_S4_S4_S6_PS7_SB_SA_S4_S4_S6_SB_SB_SA_SB_SB_.num_agpr, 0
	.set _ZN9rocsparseL14kernel_freerunILi1024ELi32EfiiEEvT3_S1_T2_PKS2_S4_PKS1_PKT1_21rocsparse_index_base_S4_S4_S6_PS7_SB_SA_S4_S4_S6_SB_SB_SA_SB_SB_.numbered_sgpr, 72
	.set _ZN9rocsparseL14kernel_freerunILi1024ELi32EfiiEEvT3_S1_T2_PKS2_S4_PKS1_PKT1_21rocsparse_index_base_S4_S4_S6_PS7_SB_SA_S4_S4_S6_SB_SB_SA_SB_SB_.num_named_barrier, 0
	.set _ZN9rocsparseL14kernel_freerunILi1024ELi32EfiiEEvT3_S1_T2_PKS2_S4_PKS1_PKT1_21rocsparse_index_base_S4_S4_S6_PS7_SB_SA_S4_S4_S6_SB_SB_SA_SB_SB_.private_seg_size, 0
	.set _ZN9rocsparseL14kernel_freerunILi1024ELi32EfiiEEvT3_S1_T2_PKS2_S4_PKS1_PKT1_21rocsparse_index_base_S4_S4_S6_PS7_SB_SA_S4_S4_S6_SB_SB_SA_SB_SB_.uses_vcc, 1
	.set _ZN9rocsparseL14kernel_freerunILi1024ELi32EfiiEEvT3_S1_T2_PKS2_S4_PKS1_PKT1_21rocsparse_index_base_S4_S4_S6_PS7_SB_SA_S4_S4_S6_SB_SB_SA_SB_SB_.uses_flat_scratch, 0
	.set _ZN9rocsparseL14kernel_freerunILi1024ELi32EfiiEEvT3_S1_T2_PKS2_S4_PKS1_PKT1_21rocsparse_index_base_S4_S4_S6_PS7_SB_SA_S4_S4_S6_SB_SB_SA_SB_SB_.has_dyn_sized_stack, 0
	.set _ZN9rocsparseL14kernel_freerunILi1024ELi32EfiiEEvT3_S1_T2_PKS2_S4_PKS1_PKT1_21rocsparse_index_base_S4_S4_S6_PS7_SB_SA_S4_S4_S6_SB_SB_SA_SB_SB_.has_recursion, 0
	.set _ZN9rocsparseL14kernel_freerunILi1024ELi32EfiiEEvT3_S1_T2_PKS2_S4_PKS1_PKT1_21rocsparse_index_base_S4_S4_S6_PS7_SB_SA_S4_S4_S6_SB_SB_SA_SB_SB_.has_indirect_call, 0
	.section	.AMDGPU.csdata,"",@progbits
; Kernel info:
; codeLenInByte = 1944
; TotalNumSgprs: 76
; NumVgprs: 36
; ScratchSize: 0
; MemoryBound: 0
; FloatMode: 240
; IeeeMode: 1
; LDSByteSize: 0 bytes/workgroup (compile time only)
; SGPRBlocks: 9
; VGPRBlocks: 8
; NumSGPRsForWavesPerEU: 76
; NumVGPRsForWavesPerEU: 36
; Occupancy: 7
; WaveLimiterHint : 1
; COMPUTE_PGM_RSRC2:SCRATCH_EN: 0
; COMPUTE_PGM_RSRC2:USER_SGPR: 6
; COMPUTE_PGM_RSRC2:TRAP_HANDLER: 0
; COMPUTE_PGM_RSRC2:TGID_X_EN: 1
; COMPUTE_PGM_RSRC2:TGID_Y_EN: 0
; COMPUTE_PGM_RSRC2:TGID_Z_EN: 0
; COMPUTE_PGM_RSRC2:TIDIG_COMP_CNT: 0
	.section	.text._ZN9rocsparseL14kernel_freerunILi1024ELi64EfiiEEvT3_S1_T2_PKS2_S4_PKS1_PKT1_21rocsparse_index_base_S4_S4_S6_PS7_SB_SA_S4_S4_S6_SB_SB_SA_SB_SB_,"axG",@progbits,_ZN9rocsparseL14kernel_freerunILi1024ELi64EfiiEEvT3_S1_T2_PKS2_S4_PKS1_PKT1_21rocsparse_index_base_S4_S4_S6_PS7_SB_SA_S4_S4_S6_SB_SB_SA_SB_SB_,comdat
	.globl	_ZN9rocsparseL14kernel_freerunILi1024ELi64EfiiEEvT3_S1_T2_PKS2_S4_PKS1_PKT1_21rocsparse_index_base_S4_S4_S6_PS7_SB_SA_S4_S4_S6_SB_SB_SA_SB_SB_ ; -- Begin function _ZN9rocsparseL14kernel_freerunILi1024ELi64EfiiEEvT3_S1_T2_PKS2_S4_PKS1_PKT1_21rocsparse_index_base_S4_S4_S6_PS7_SB_SA_S4_S4_S6_SB_SB_SA_SB_SB_
	.p2align	8
	.type	_ZN9rocsparseL14kernel_freerunILi1024ELi64EfiiEEvT3_S1_T2_PKS2_S4_PKS1_PKT1_21rocsparse_index_base_S4_S4_S6_PS7_SB_SA_S4_S4_S6_SB_SB_SA_SB_SB_,@function
_ZN9rocsparseL14kernel_freerunILi1024ELi64EfiiEEvT3_S1_T2_PKS2_S4_PKS1_PKT1_21rocsparse_index_base_S4_S4_S6_PS7_SB_SA_S4_S4_S6_SB_SB_SA_SB_SB_: ; @_ZN9rocsparseL14kernel_freerunILi1024ELi64EfiiEEvT3_S1_T2_PKS2_S4_PKS1_PKT1_21rocsparse_index_base_S4_S4_S6_PS7_SB_SA_S4_S4_S6_SB_SB_SA_SB_SB_
; %bb.0:
	s_load_dwordx2 s[34:35], s[4:5], 0x0
	v_lshrrev_b32_e32 v1, 6, v0
	s_lshl_b32 s67, s6, 10
	v_or_b32_e32 v18, s67, v1
	s_mov_b32 s33, 0
	s_waitcnt lgkmcnt(0)
	s_cmp_gt_i32 s34, 0
	v_cmp_gt_i32_e32 vcc, s35, v18
	s_cselect_b64 s[0:1], -1, 0
	s_and_b64 s[0:1], vcc, s[0:1]
	s_and_saveexec_b64 s[2:3], s[0:1]
	s_cbranch_execz .LBB6_55
; %bb.1:
	s_load_dwordx4 s[36:39], s[4:5], 0x98
	s_load_dwordx8 s[8:15], s[4:5], 0x68
	s_load_dwordx8 s[16:23], s[4:5], 0x38
	;; [unrolled: 1-line block ×3, first 2 shown]
	s_load_dword s64, s[4:5], 0x30
	s_load_dwordx2 s[40:41], s[4:5], 0x58
	s_load_dword s65, s[4:5], 0x60
	s_load_dwordx2 s[42:43], s[4:5], 0x88
	s_load_dword s66, s[4:5], 0x90
	v_and_b32_e32 v0, 63, v0
	s_addk_i32 s67, 0x400
	s_waitcnt lgkmcnt(0)
	v_subrev_u32_e32 v19, s64, v0
	v_cmp_gt_u32_e64 s[0:1], s67, v18
	v_subrev_u32_e32 v20, s65, v0
	v_subrev_u32_e32 v21, s66, v0
	v_cmp_eq_u32_e64 s[2:3], 0, v0
	v_mov_b32_e32 v1, 0
	s_movk_i32 s68, 0x1f8
	s_branch .LBB6_3
.LBB6_2:                                ;   in Loop: Header=BB6_3 Depth=1
	s_or_b64 exec, exec, s[4:5]
	s_add_i32 s33, s33, 1
	s_cmp_eq_u32 s33, s34
	s_cbranch_scc1 .LBB6_55
.LBB6_3:                                ; =>This Loop Header: Depth=1
                                        ;     Child Loop BB6_5 Depth 2
                                        ;       Child Loop BB6_9 Depth 3
                                        ;         Child Loop BB6_13 Depth 4
                                        ;         Child Loop BB6_29 Depth 4
	;; [unrolled: 1-line block ×3, first 2 shown]
                                        ;     Child Loop BB6_46 Depth 2
                                        ;       Child Loop BB6_49 Depth 3
                                        ;       Child Loop BB6_52 Depth 3
	s_mov_b32 s69, 0
	s_branch .LBB6_5
.LBB6_4:                                ;   in Loop: Header=BB6_5 Depth=2
	s_or_b64 exec, exec, s[44:45]
	s_add_i32 s69, s69, 1
	s_cmp_eq_u32 s69, 64
	s_cbranch_scc1 .LBB6_43
.LBB6_5:                                ;   Parent Loop BB6_3 Depth=1
                                        ; =>  This Loop Header: Depth=2
                                        ;       Child Loop BB6_9 Depth 3
                                        ;         Child Loop BB6_13 Depth 4
                                        ;         Child Loop BB6_29 Depth 4
	;; [unrolled: 1-line block ×3, first 2 shown]
	v_lshl_add_u32 v2, s69, 4, v18
	v_cmp_gt_i32_e32 vcc, s35, v2
	s_and_saveexec_b64 s[44:45], vcc
	s_cbranch_execz .LBB6_4
; %bb.6:                                ;   in Loop: Header=BB6_5 Depth=2
	v_ashrrev_i32_e32 v3, 31, v2
	v_lshlrev_b64 v[4:5], 2, v[2:3]
	v_mov_b32_e32 v0, s25
	v_add_co_u32_e32 v6, vcc, s24, v4
	v_addc_co_u32_e32 v7, vcc, v0, v5, vcc
	global_load_dword v0, v[6:7], off
	v_mov_b32_e32 v3, s27
	v_add_co_u32_e32 v6, vcc, s26, v4
	v_addc_co_u32_e32 v7, vcc, v3, v5, vcc
	global_load_dword v6, v[6:7], off
	s_waitcnt vmcnt(1)
	v_add_u32_e32 v3, v19, v0
	s_waitcnt vmcnt(0)
	v_subrev_u32_e32 v22, s64, v6
	v_cmp_lt_i32_e32 vcc, v3, v22
	s_and_b64 exec, exec, vcc
	s_cbranch_execz .LBB6_4
; %bb.7:                                ;   in Loop: Header=BB6_5 Depth=2
	v_mov_b32_e32 v0, s19
	v_add_co_u32_e32 v6, vcc, s18, v4
	v_addc_co_u32_e32 v7, vcc, v0, v5, vcc
	v_mov_b32_e32 v0, s17
	v_add_co_u32_e32 v4, vcc, s16, v4
	v_addc_co_u32_e32 v5, vcc, v0, v5, vcc
	global_load_dword v0, v[4:5], off
	global_load_dword v8, v[6:7], off
	v_mov_b32_e32 v4, s21
	v_mov_b32_e32 v9, s23
	s_mov_b64 s[46:47], 0
	s_waitcnt vmcnt(1)
	v_subrev_u32_e32 v5, s65, v0
	v_ashrrev_i32_e32 v6, 31, v5
	v_lshlrev_b64 v[6:7], 2, v[5:6]
	s_waitcnt vmcnt(0)
	v_sub_u32_e32 v23, v8, v0
	v_add_co_u32_e32 v24, vcc, s20, v6
	v_addc_co_u32_e32 v25, vcc, v4, v7, vcc
	v_add_co_u32_e32 v26, vcc, s22, v6
	v_cmp_lt_i32_e64 s[4:5], 0, v23
	v_addc_co_u32_e32 v27, vcc, v9, v7, vcc
	s_branch .LBB6_9
.LBB6_8:                                ;   in Loop: Header=BB6_9 Depth=3
	s_or_b64 exec, exec, s[48:49]
	v_add_u32_e32 v3, 64, v3
	v_cmp_ge_i32_e32 vcc, v3, v22
	s_or_b64 s[46:47], vcc, s[46:47]
	s_andn2_b64 exec, exec, s[46:47]
	s_cbranch_execz .LBB6_4
.LBB6_9:                                ;   Parent Loop BB6_3 Depth=1
                                        ;     Parent Loop BB6_5 Depth=2
                                        ; =>    This Loop Header: Depth=3
                                        ;         Child Loop BB6_13 Depth 4
                                        ;         Child Loop BB6_29 Depth 4
	;; [unrolled: 1-line block ×3, first 2 shown]
	v_ashrrev_i32_e32 v4, 31, v3
	v_lshlrev_b64 v[12:13], 2, v[3:4]
	v_mov_b32_e32 v0, s29
	v_add_co_u32_e32 v6, vcc, s28, v12
	v_addc_co_u32_e32 v7, vcc, v0, v13, vcc
	global_load_dword v0, v[6:7], off
	v_mov_b32_e32 v4, s9
	v_mov_b32_e32 v9, s11
	;; [unrolled: 1-line block ×3, first 2 shown]
	s_waitcnt vmcnt(0)
	v_subrev_u32_e32 v6, s64, v0
	v_ashrrev_i32_e32 v7, 31, v6
	v_lshlrev_b64 v[10:11], 2, v[6:7]
	v_add_co_u32_e32 v7, vcc, s8, v10
	v_addc_co_u32_e32 v8, vcc, v4, v11, vcc
	v_add_co_u32_e32 v14, vcc, s10, v10
	v_addc_co_u32_e32 v15, vcc, v9, v11, vcc
	global_load_dword v0, v[7:8], off
	global_load_dword v4, v[14:15], off
	v_mov_b32_e32 v8, 0
	s_waitcnt vmcnt(1)
	v_subrev_u32_e32 v7, s66, v0
	s_waitcnt vmcnt(0)
	v_sub_u32_e32 v4, v4, v0
	v_mov_b32_e32 v0, v8
	s_and_saveexec_b64 s[6:7], s[4:5]
	s_cbranch_execz .LBB6_17
; %bb.10:                               ;   in Loop: Header=BB6_9 Depth=3
	v_ashrrev_i32_e32 v8, 31, v7
	v_lshlrev_b64 v[8:9], 2, v[7:8]
	v_mov_b32_e32 v0, s13
	v_add_co_u32_e32 v29, vcc, s12, v8
	v_addc_co_u32_e32 v30, vcc, v0, v9, vcc
	v_mov_b32_e32 v0, s15
	v_add_co_u32_e32 v31, vcc, s14, v8
	v_addc_co_u32_e32 v32, vcc, v0, v9, vcc
	v_mov_b32_e32 v0, 0
	v_mov_b32_e32 v28, 0
	s_mov_b64 s[48:49], 0
	v_mov_b32_e32 v8, v0
                                        ; implicit-def: $sgpr50_sgpr51
	s_branch .LBB6_13
.LBB6_11:                               ;   in Loop: Header=BB6_13 Depth=4
	s_or_b64 exec, exec, s[54:55]
	v_cmp_le_i32_e32 vcc, v9, v33
	v_addc_co_u32_e32 v0, vcc, 0, v0, vcc
	v_cmp_ge_i32_e32 vcc, v9, v33
	v_addc_co_u32_e32 v8, vcc, 0, v8, vcc
	v_cmp_ge_i32_e32 vcc, v0, v23
	s_andn2_b64 s[50:51], s[50:51], exec
	s_and_b64 s[54:55], vcc, exec
	s_or_b64 s[50:51], s[50:51], s[54:55]
.LBB6_12:                               ;   in Loop: Header=BB6_13 Depth=4
	s_or_b64 exec, exec, s[52:53]
	s_and_b64 s[52:53], exec, s[50:51]
	s_or_b64 s[48:49], s[52:53], s[48:49]
	s_andn2_b64 exec, exec, s[48:49]
	s_cbranch_execz .LBB6_16
.LBB6_13:                               ;   Parent Loop BB6_3 Depth=1
                                        ;     Parent Loop BB6_5 Depth=2
                                        ;       Parent Loop BB6_9 Depth=3
                                        ; =>      This Inner Loop Header: Depth=4
	v_cmp_lt_i32_e32 vcc, v8, v4
	s_or_b64 s[50:51], s[50:51], exec
	s_and_saveexec_b64 s[52:53], vcc
	s_cbranch_execz .LBB6_12
; %bb.14:                               ;   in Loop: Header=BB6_13 Depth=4
	v_lshlrev_b64 v[14:15], 2, v[0:1]
	v_mov_b32_e32 v9, v1
	v_add_co_u32_e32 v16, vcc, v24, v14
	v_addc_co_u32_e32 v17, vcc, v25, v15, vcc
	global_load_dword v35, v[16:17], off
	v_lshlrev_b64 v[16:17], 2, v[8:9]
	v_add_co_u32_e32 v33, vcc, v29, v16
	v_addc_co_u32_e32 v34, vcc, v30, v17, vcc
	global_load_dword v33, v[33:34], off
	s_waitcnt vmcnt(1)
	v_subrev_u32_e32 v9, s65, v35
	s_waitcnt vmcnt(0)
	v_subrev_u32_e32 v33, s66, v33
	v_cmp_eq_u32_e32 vcc, v9, v33
	s_and_saveexec_b64 s[54:55], vcc
	s_cbranch_execz .LBB6_11
; %bb.15:                               ;   in Loop: Header=BB6_13 Depth=4
	v_add_co_u32_e32 v14, vcc, v26, v14
	v_addc_co_u32_e32 v15, vcc, v27, v15, vcc
	v_add_co_u32_e32 v16, vcc, v31, v16
	v_addc_co_u32_e32 v17, vcc, v32, v17, vcc
	global_load_dword v14, v[14:15], off
	s_nop 0
	global_load_dword v15, v[16:17], off
	s_waitcnt vmcnt(0)
	v_fmac_f32_e32 v28, v14, v15
	s_branch .LBB6_11
.LBB6_16:                               ;   in Loop: Header=BB6_9 Depth=3
	s_or_b64 exec, exec, s[48:49]
.LBB6_17:                               ;   in Loop: Header=BB6_9 Depth=3
	s_or_b64 exec, exec, s[6:7]
	v_mov_b32_e32 v9, s31
	v_add_co_u32_e32 v12, vcc, s30, v12
	v_addc_co_u32_e32 v13, vcc, v9, v13, vcc
	global_load_dword v9, v[12:13], off
	v_cmp_le_i32_e64 s[6:7], v2, v6
	v_cmp_gt_i32_e32 vcc, v2, v6
	s_waitcnt vmcnt(0)
	v_sub_f32_e32 v12, v9, v28
	s_and_saveexec_b64 s[48:49], vcc
	s_cbranch_execz .LBB6_21
; %bb.18:                               ;   in Loop: Header=BB6_9 Depth=3
	v_mov_b32_e32 v9, s37
	v_add_co_u32_e32 v13, vcc, s36, v10
	v_addc_co_u32_e32 v14, vcc, v9, v11, vcc
	global_load_dword v9, v[13:14], off
	v_mov_b32_e32 v13, 0
	s_waitcnt vmcnt(0)
	v_cmp_lg_f32_e32 vcc, 0, v9
	s_and_saveexec_b64 s[50:51], vcc
	s_cbranch_execz .LBB6_20
; %bb.19:                               ;   in Loop: Header=BB6_9 Depth=3
	v_div_scale_f32 v13, s[52:53], v9, v9, v12
	v_div_scale_f32 v14, vcc, v12, v9, v12
	v_rcp_f32_e32 v15, v13
	v_fma_f32 v16, -v13, v15, 1.0
	v_fmac_f32_e32 v15, v16, v15
	v_mul_f32_e32 v16, v14, v15
	v_fma_f32 v17, -v13, v16, v14
	v_fmac_f32_e32 v16, v17, v15
	v_fma_f32 v13, -v13, v16, v14
	v_div_fmas_f32 v13, v13, v15, v16
	v_div_fixup_f32 v13, v13, v9, v12
.LBB6_20:                               ;   in Loop: Header=BB6_9 Depth=3
	s_or_b64 exec, exec, s[50:51]
	v_mov_b32_e32 v12, v13
.LBB6_21:                               ;   in Loop: Header=BB6_9 Depth=3
	s_or_b64 exec, exec, s[48:49]
	v_cmp_class_f32_e64 s[50:51], v12, s68
	s_and_saveexec_b64 s[48:49], s[50:51]
	s_cbranch_execz .LBB6_8
; %bb.22:                               ;   in Loop: Header=BB6_9 Depth=3
	s_and_saveexec_b64 s[50:51], s[6:7]
	s_xor_b64 s[6:7], exec, s[50:51]
	s_cbranch_execz .LBB6_35
; %bb.23:                               ;   in Loop: Header=BB6_9 Depth=3
	v_cmp_ge_i32_e32 vcc, v2, v6
	s_and_saveexec_b64 s[50:51], vcc
	s_xor_b64 s[50:51], exec, s[50:51]
	s_cbranch_execz .LBB6_25
; %bb.24:                               ;   in Loop: Header=BB6_9 Depth=3
	v_mov_b32_e32 v0, s39
	v_add_co_u32_e32 v6, vcc, s38, v10
	v_addc_co_u32_e32 v7, vcc, v0, v11, vcc
	global_store_dword v[6:7], v12, off
                                        ; implicit-def: $vgpr8
                                        ; implicit-def: $vgpr4
                                        ; implicit-def: $vgpr12
                                        ; implicit-def: $vgpr7
.LBB6_25:                               ;   in Loop: Header=BB6_9 Depth=3
	s_andn2_saveexec_b64 s[50:51], s[50:51]
	s_cbranch_execz .LBB6_34
; %bb.26:                               ;   in Loop: Header=BB6_9 Depth=3
	v_cmp_lt_i32_e32 vcc, v8, v4
	s_and_saveexec_b64 s[52:53], vcc
	s_cbranch_execz .LBB6_33
; %bb.27:                               ;   in Loop: Header=BB6_9 Depth=3
	s_mov_b64 s[54:55], 0
                                        ; implicit-def: $sgpr56_sgpr57
                                        ; implicit-def: $sgpr60_sgpr61
                                        ; implicit-def: $sgpr58_sgpr59
	s_branch .LBB6_29
.LBB6_28:                               ;   in Loop: Header=BB6_29 Depth=4
	s_or_b64 exec, exec, s[62:63]
	s_and_b64 s[62:63], exec, s[60:61]
	s_or_b64 s[54:55], s[62:63], s[54:55]
	s_andn2_b64 s[56:57], s[56:57], exec
	s_and_b64 s[62:63], s[58:59], exec
	s_or_b64 s[56:57], s[56:57], s[62:63]
	s_andn2_b64 exec, exec, s[54:55]
	s_cbranch_execz .LBB6_31
.LBB6_29:                               ;   Parent Loop BB6_3 Depth=1
                                        ;     Parent Loop BB6_5 Depth=2
                                        ;       Parent Loop BB6_9 Depth=3
                                        ; =>      This Inner Loop Header: Depth=4
	v_add_u32_e32 v9, v7, v8
	v_ashrrev_i32_e32 v10, 31, v9
	v_lshlrev_b64 v[9:10], 2, v[9:10]
	v_mov_b32_e32 v0, s13
	v_add_co_u32_e32 v13, vcc, s12, v9
	v_addc_co_u32_e32 v14, vcc, v0, v10, vcc
	global_load_dword v0, v[13:14], off
	s_or_b64 s[58:59], s[58:59], exec
	s_or_b64 s[60:61], s[60:61], exec
	s_waitcnt vmcnt(0)
	v_subrev_u32_e32 v0, s66, v0
	v_cmp_ne_u32_e32 vcc, v0, v2
	s_and_saveexec_b64 s[62:63], vcc
	s_cbranch_execz .LBB6_28
; %bb.30:                               ;   in Loop: Header=BB6_29 Depth=4
	v_add_u32_e32 v8, 1, v8
	v_cmp_ge_i32_e32 vcc, v8, v4
	s_andn2_b64 s[60:61], s[60:61], exec
	s_and_b64 s[70:71], vcc, exec
	s_andn2_b64 s[58:59], s[58:59], exec
	s_or_b64 s[60:61], s[60:61], s[70:71]
	s_branch .LBB6_28
.LBB6_31:                               ;   in Loop: Header=BB6_9 Depth=3
	s_or_b64 exec, exec, s[54:55]
	s_and_saveexec_b64 s[54:55], s[56:57]
	s_xor_b64 s[54:55], exec, s[54:55]
	s_cbranch_execz .LBB6_33
; %bb.32:                               ;   in Loop: Header=BB6_9 Depth=3
	v_mov_b32_e32 v0, s43
	v_add_co_u32_e32 v6, vcc, s42, v9
	v_addc_co_u32_e32 v7, vcc, v0, v10, vcc
	global_store_dword v[6:7], v12, off
.LBB6_33:                               ;   in Loop: Header=BB6_9 Depth=3
	s_or_b64 exec, exec, s[52:53]
.LBB6_34:                               ;   in Loop: Header=BB6_9 Depth=3
	s_or_b64 exec, exec, s[50:51]
                                        ; implicit-def: $vgpr12
                                        ; implicit-def: $vgpr6_vgpr7
.LBB6_35:                               ;   in Loop: Header=BB6_9 Depth=3
	s_andn2_saveexec_b64 s[6:7], s[6:7]
	s_cbranch_execz .LBB6_8
; %bb.36:                               ;   in Loop: Header=BB6_9 Depth=3
	v_cmp_lt_i32_e32 vcc, v0, v23
	s_and_b64 exec, exec, vcc
	s_cbranch_execz .LBB6_8
; %bb.37:                               ;   in Loop: Header=BB6_9 Depth=3
	s_mov_b64 s[6:7], 0
                                        ; implicit-def: $sgpr50_sgpr51
                                        ; implicit-def: $sgpr54_sgpr55
                                        ; implicit-def: $sgpr52_sgpr53
	s_branch .LBB6_39
.LBB6_38:                               ;   in Loop: Header=BB6_39 Depth=4
	s_or_b64 exec, exec, s[56:57]
	s_and_b64 s[56:57], exec, s[54:55]
	s_or_b64 s[6:7], s[56:57], s[6:7]
	s_andn2_b64 s[50:51], s[50:51], exec
	s_and_b64 s[56:57], s[52:53], exec
	s_or_b64 s[50:51], s[50:51], s[56:57]
	s_andn2_b64 exec, exec, s[6:7]
	s_cbranch_execz .LBB6_41
.LBB6_39:                               ;   Parent Loop BB6_3 Depth=1
                                        ;     Parent Loop BB6_5 Depth=2
                                        ;       Parent Loop BB6_9 Depth=3
                                        ; =>      This Inner Loop Header: Depth=4
	v_add_u32_e32 v7, v5, v0
	v_ashrrev_i32_e32 v8, 31, v7
	v_lshlrev_b64 v[7:8], 2, v[7:8]
	v_mov_b32_e32 v4, s21
	v_add_co_u32_e32 v9, vcc, s20, v7
	v_addc_co_u32_e32 v10, vcc, v4, v8, vcc
	global_load_dword v4, v[9:10], off
	s_or_b64 s[52:53], s[52:53], exec
	s_or_b64 s[54:55], s[54:55], exec
	s_waitcnt vmcnt(0)
	v_subrev_u32_e32 v4, s65, v4
	v_cmp_ne_u32_e32 vcc, v4, v6
	s_and_saveexec_b64 s[56:57], vcc
	s_cbranch_execz .LBB6_38
; %bb.40:                               ;   in Loop: Header=BB6_39 Depth=4
	v_add_u32_e32 v0, 1, v0
	v_cmp_ge_i32_e32 vcc, v0, v23
	s_andn2_b64 s[54:55], s[54:55], exec
	s_and_b64 s[58:59], vcc, exec
	s_andn2_b64 s[52:53], s[52:53], exec
	s_or_b64 s[54:55], s[54:55], s[58:59]
	s_branch .LBB6_38
.LBB6_41:                               ;   in Loop: Header=BB6_9 Depth=3
	s_or_b64 exec, exec, s[6:7]
	s_and_saveexec_b64 s[6:7], s[50:51]
	s_xor_b64 s[6:7], exec, s[6:7]
	s_cbranch_execz .LBB6_8
; %bb.42:                               ;   in Loop: Header=BB6_9 Depth=3
	v_mov_b32_e32 v0, s41
	v_add_co_u32_e32 v6, vcc, s40, v7
	v_addc_co_u32_e32 v7, vcc, v0, v8, vcc
	global_store_dword v[6:7], v12, off
	s_branch .LBB6_8
.LBB6_43:                               ;   in Loop: Header=BB6_3 Depth=1
	s_and_saveexec_b64 s[4:5], s[0:1]
	s_cbranch_execz .LBB6_2
; %bb.44:                               ;   in Loop: Header=BB6_3 Depth=1
	s_mov_b64 s[6:7], 0
	v_mov_b32_e32 v2, v18
	s_branch .LBB6_46
.LBB6_45:                               ;   in Loop: Header=BB6_46 Depth=2
	s_or_b64 exec, exec, s[44:45]
	v_add_u32_e32 v2, 16, v2
	v_cmp_le_u32_e32 vcc, s67, v2
	s_or_b64 s[6:7], vcc, s[6:7]
	s_andn2_b64 exec, exec, s[6:7]
	s_cbranch_execz .LBB6_2
.LBB6_46:                               ;   Parent Loop BB6_3 Depth=1
                                        ; =>  This Loop Header: Depth=2
                                        ;       Child Loop BB6_49 Depth 3
                                        ;       Child Loop BB6_52 Depth 3
	v_cmp_gt_i32_e32 vcc, s35, v2
	s_and_saveexec_b64 s[44:45], vcc
	s_cbranch_execz .LBB6_45
; %bb.47:                               ;   in Loop: Header=BB6_46 Depth=2
	v_ashrrev_i32_e32 v3, 31, v2
	v_lshlrev_b64 v[3:4], 2, v[2:3]
	v_mov_b32_e32 v0, s17
	v_add_co_u32_e32 v5, vcc, s16, v3
	v_addc_co_u32_e32 v6, vcc, v0, v4, vcc
	global_load_dword v0, v[5:6], off
	v_mov_b32_e32 v6, s19
	v_add_co_u32_e32 v5, vcc, s18, v3
	v_addc_co_u32_e32 v6, vcc, v6, v4, vcc
	global_load_dword v6, v[5:6], off
	s_waitcnt vmcnt(1)
	v_add_u32_e32 v5, v20, v0
	s_waitcnt vmcnt(0)
	v_subrev_u32_e32 v0, s65, v6
	v_cmp_lt_i32_e32 vcc, v5, v0
	s_and_saveexec_b64 s[46:47], vcc
	s_cbranch_execz .LBB6_50
; %bb.48:                               ;   in Loop: Header=BB6_46 Depth=2
	v_ashrrev_i32_e32 v6, 31, v5
	v_lshlrev_b64 v[8:9], 2, v[5:6]
	v_mov_b32_e32 v7, s41
	v_add_co_u32_e32 v6, vcc, s40, v8
	v_addc_co_u32_e32 v7, vcc, v7, v9, vcc
	v_mov_b32_e32 v10, s23
	v_add_co_u32_e32 v8, vcc, s22, v8
	v_addc_co_u32_e32 v9, vcc, v10, v9, vcc
	s_mov_b64 s[48:49], 0
.LBB6_49:                               ;   Parent Loop BB6_3 Depth=1
                                        ;     Parent Loop BB6_46 Depth=2
                                        ; =>    This Inner Loop Header: Depth=3
	global_load_dword v10, v[6:7], off
	v_add_co_u32_e32 v6, vcc, 0x100, v6
	v_add_u32_e32 v5, 64, v5
	v_addc_co_u32_e32 v7, vcc, 0, v7, vcc
	v_cmp_ge_i32_e32 vcc, v5, v0
	s_or_b64 s[48:49], vcc, s[48:49]
	s_waitcnt vmcnt(0)
	global_store_dword v[8:9], v10, off
	v_add_co_u32_e32 v8, vcc, 0x100, v8
	v_addc_co_u32_e32 v9, vcc, 0, v9, vcc
	s_andn2_b64 exec, exec, s[48:49]
	s_cbranch_execnz .LBB6_49
.LBB6_50:                               ;   in Loop: Header=BB6_46 Depth=2
	s_or_b64 exec, exec, s[46:47]
	v_mov_b32_e32 v0, s9
	v_add_co_u32_e32 v5, vcc, s8, v3
	v_addc_co_u32_e32 v6, vcc, v0, v4, vcc
	global_load_dword v0, v[5:6], off
	v_mov_b32_e32 v6, s11
	v_add_co_u32_e32 v5, vcc, s10, v3
	v_addc_co_u32_e32 v6, vcc, v6, v4, vcc
	global_load_dword v6, v[5:6], off
	s_waitcnt vmcnt(1)
	v_add_u32_e32 v5, v21, v0
	s_waitcnt vmcnt(0)
	v_subrev_u32_e32 v0, s66, v6
	v_cmp_lt_i32_e32 vcc, v5, v0
	s_and_saveexec_b64 s[46:47], vcc
	s_cbranch_execz .LBB6_53
; %bb.51:                               ;   in Loop: Header=BB6_46 Depth=2
	v_ashrrev_i32_e32 v6, 31, v5
	v_lshlrev_b64 v[8:9], 2, v[5:6]
	v_mov_b32_e32 v7, s43
	v_add_co_u32_e32 v6, vcc, s42, v8
	v_addc_co_u32_e32 v7, vcc, v7, v9, vcc
	v_mov_b32_e32 v10, s15
	v_add_co_u32_e32 v8, vcc, s14, v8
	v_addc_co_u32_e32 v9, vcc, v10, v9, vcc
	s_mov_b64 s[48:49], 0
.LBB6_52:                               ;   Parent Loop BB6_3 Depth=1
                                        ;     Parent Loop BB6_46 Depth=2
                                        ; =>    This Inner Loop Header: Depth=3
	global_load_dword v10, v[6:7], off
	v_add_co_u32_e32 v6, vcc, 0x100, v6
	v_add_u32_e32 v5, 64, v5
	v_addc_co_u32_e32 v7, vcc, 0, v7, vcc
	v_cmp_ge_i32_e32 vcc, v5, v0
	s_or_b64 s[48:49], vcc, s[48:49]
	s_waitcnt vmcnt(0)
	global_store_dword v[8:9], v10, off
	v_add_co_u32_e32 v8, vcc, 0x100, v8
	v_addc_co_u32_e32 v9, vcc, 0, v9, vcc
	s_andn2_b64 exec, exec, s[48:49]
	s_cbranch_execnz .LBB6_52
.LBB6_53:                               ;   in Loop: Header=BB6_46 Depth=2
	s_or_b64 exec, exec, s[46:47]
	s_and_b64 exec, exec, s[2:3]
	s_cbranch_execz .LBB6_45
; %bb.54:                               ;   in Loop: Header=BB6_46 Depth=2
	v_mov_b32_e32 v0, s39
	v_add_co_u32_e32 v5, vcc, s38, v3
	v_addc_co_u32_e32 v6, vcc, v0, v4, vcc
	global_load_dword v0, v[5:6], off
	v_mov_b32_e32 v5, s37
	v_add_co_u32_e32 v3, vcc, s36, v3
	v_addc_co_u32_e32 v4, vcc, v5, v4, vcc
	s_waitcnt vmcnt(0)
	global_store_dword v[3:4], v0, off
	s_branch .LBB6_45
.LBB6_55:
	s_endpgm
	.section	.rodata,"a",@progbits
	.p2align	6, 0x0
	.amdhsa_kernel _ZN9rocsparseL14kernel_freerunILi1024ELi64EfiiEEvT3_S1_T2_PKS2_S4_PKS1_PKT1_21rocsparse_index_base_S4_S4_S6_PS7_SB_SA_S4_S4_S6_SB_SB_SA_SB_SB_
		.amdhsa_group_segment_fixed_size 0
		.amdhsa_private_segment_fixed_size 0
		.amdhsa_kernarg_size 168
		.amdhsa_user_sgpr_count 6
		.amdhsa_user_sgpr_private_segment_buffer 1
		.amdhsa_user_sgpr_dispatch_ptr 0
		.amdhsa_user_sgpr_queue_ptr 0
		.amdhsa_user_sgpr_kernarg_segment_ptr 1
		.amdhsa_user_sgpr_dispatch_id 0
		.amdhsa_user_sgpr_flat_scratch_init 0
		.amdhsa_user_sgpr_private_segment_size 0
		.amdhsa_uses_dynamic_stack 0
		.amdhsa_system_sgpr_private_segment_wavefront_offset 0
		.amdhsa_system_sgpr_workgroup_id_x 1
		.amdhsa_system_sgpr_workgroup_id_y 0
		.amdhsa_system_sgpr_workgroup_id_z 0
		.amdhsa_system_sgpr_workgroup_info 0
		.amdhsa_system_vgpr_workitem_id 0
		.amdhsa_next_free_vgpr 36
		.amdhsa_next_free_sgpr 72
		.amdhsa_reserve_vcc 1
		.amdhsa_reserve_flat_scratch 0
		.amdhsa_float_round_mode_32 0
		.amdhsa_float_round_mode_16_64 0
		.amdhsa_float_denorm_mode_32 3
		.amdhsa_float_denorm_mode_16_64 3
		.amdhsa_dx10_clamp 1
		.amdhsa_ieee_mode 1
		.amdhsa_fp16_overflow 0
		.amdhsa_exception_fp_ieee_invalid_op 0
		.amdhsa_exception_fp_denorm_src 0
		.amdhsa_exception_fp_ieee_div_zero 0
		.amdhsa_exception_fp_ieee_overflow 0
		.amdhsa_exception_fp_ieee_underflow 0
		.amdhsa_exception_fp_ieee_inexact 0
		.amdhsa_exception_int_div_zero 0
	.end_amdhsa_kernel
	.section	.text._ZN9rocsparseL14kernel_freerunILi1024ELi64EfiiEEvT3_S1_T2_PKS2_S4_PKS1_PKT1_21rocsparse_index_base_S4_S4_S6_PS7_SB_SA_S4_S4_S6_SB_SB_SA_SB_SB_,"axG",@progbits,_ZN9rocsparseL14kernel_freerunILi1024ELi64EfiiEEvT3_S1_T2_PKS2_S4_PKS1_PKT1_21rocsparse_index_base_S4_S4_S6_PS7_SB_SA_S4_S4_S6_SB_SB_SA_SB_SB_,comdat
.Lfunc_end6:
	.size	_ZN9rocsparseL14kernel_freerunILi1024ELi64EfiiEEvT3_S1_T2_PKS2_S4_PKS1_PKT1_21rocsparse_index_base_S4_S4_S6_PS7_SB_SA_S4_S4_S6_SB_SB_SA_SB_SB_, .Lfunc_end6-_ZN9rocsparseL14kernel_freerunILi1024ELi64EfiiEEvT3_S1_T2_PKS2_S4_PKS1_PKT1_21rocsparse_index_base_S4_S4_S6_PS7_SB_SA_S4_S4_S6_SB_SB_SA_SB_SB_
                                        ; -- End function
	.set _ZN9rocsparseL14kernel_freerunILi1024ELi64EfiiEEvT3_S1_T2_PKS2_S4_PKS1_PKT1_21rocsparse_index_base_S4_S4_S6_PS7_SB_SA_S4_S4_S6_SB_SB_SA_SB_SB_.num_vgpr, 36
	.set _ZN9rocsparseL14kernel_freerunILi1024ELi64EfiiEEvT3_S1_T2_PKS2_S4_PKS1_PKT1_21rocsparse_index_base_S4_S4_S6_PS7_SB_SA_S4_S4_S6_SB_SB_SA_SB_SB_.num_agpr, 0
	.set _ZN9rocsparseL14kernel_freerunILi1024ELi64EfiiEEvT3_S1_T2_PKS2_S4_PKS1_PKT1_21rocsparse_index_base_S4_S4_S6_PS7_SB_SA_S4_S4_S6_SB_SB_SA_SB_SB_.numbered_sgpr, 72
	.set _ZN9rocsparseL14kernel_freerunILi1024ELi64EfiiEEvT3_S1_T2_PKS2_S4_PKS1_PKT1_21rocsparse_index_base_S4_S4_S6_PS7_SB_SA_S4_S4_S6_SB_SB_SA_SB_SB_.num_named_barrier, 0
	.set _ZN9rocsparseL14kernel_freerunILi1024ELi64EfiiEEvT3_S1_T2_PKS2_S4_PKS1_PKT1_21rocsparse_index_base_S4_S4_S6_PS7_SB_SA_S4_S4_S6_SB_SB_SA_SB_SB_.private_seg_size, 0
	.set _ZN9rocsparseL14kernel_freerunILi1024ELi64EfiiEEvT3_S1_T2_PKS2_S4_PKS1_PKT1_21rocsparse_index_base_S4_S4_S6_PS7_SB_SA_S4_S4_S6_SB_SB_SA_SB_SB_.uses_vcc, 1
	.set _ZN9rocsparseL14kernel_freerunILi1024ELi64EfiiEEvT3_S1_T2_PKS2_S4_PKS1_PKT1_21rocsparse_index_base_S4_S4_S6_PS7_SB_SA_S4_S4_S6_SB_SB_SA_SB_SB_.uses_flat_scratch, 0
	.set _ZN9rocsparseL14kernel_freerunILi1024ELi64EfiiEEvT3_S1_T2_PKS2_S4_PKS1_PKT1_21rocsparse_index_base_S4_S4_S6_PS7_SB_SA_S4_S4_S6_SB_SB_SA_SB_SB_.has_dyn_sized_stack, 0
	.set _ZN9rocsparseL14kernel_freerunILi1024ELi64EfiiEEvT3_S1_T2_PKS2_S4_PKS1_PKT1_21rocsparse_index_base_S4_S4_S6_PS7_SB_SA_S4_S4_S6_SB_SB_SA_SB_SB_.has_recursion, 0
	.set _ZN9rocsparseL14kernel_freerunILi1024ELi64EfiiEEvT3_S1_T2_PKS2_S4_PKS1_PKT1_21rocsparse_index_base_S4_S4_S6_PS7_SB_SA_S4_S4_S6_SB_SB_SA_SB_SB_.has_indirect_call, 0
	.section	.AMDGPU.csdata,"",@progbits
; Kernel info:
; codeLenInByte = 1944
; TotalNumSgprs: 76
; NumVgprs: 36
; ScratchSize: 0
; MemoryBound: 0
; FloatMode: 240
; IeeeMode: 1
; LDSByteSize: 0 bytes/workgroup (compile time only)
; SGPRBlocks: 9
; VGPRBlocks: 8
; NumSGPRsForWavesPerEU: 76
; NumVGPRsForWavesPerEU: 36
; Occupancy: 7
; WaveLimiterHint : 1
; COMPUTE_PGM_RSRC2:SCRATCH_EN: 0
; COMPUTE_PGM_RSRC2:USER_SGPR: 6
; COMPUTE_PGM_RSRC2:TRAP_HANDLER: 0
; COMPUTE_PGM_RSRC2:TGID_X_EN: 1
; COMPUTE_PGM_RSRC2:TGID_Y_EN: 0
; COMPUTE_PGM_RSRC2:TGID_Z_EN: 0
; COMPUTE_PGM_RSRC2:TIDIG_COMP_CNT: 0
	.section	.text._ZN9rocsparseL6kernelILi1024ELi1EfiiEEvbbbT3_PS1_NS_15floating_traitsIT1_E6data_tES1_T2_PKS7_S9_PKS1_PKS4_21rocsparse_index_base_S9_S9_SB_PS4_SF_SE_S9_S9_SB_SF_SF_SE_SF_SF_PS6_SG_PKS6_,"axG",@progbits,_ZN9rocsparseL6kernelILi1024ELi1EfiiEEvbbbT3_PS1_NS_15floating_traitsIT1_E6data_tES1_T2_PKS7_S9_PKS1_PKS4_21rocsparse_index_base_S9_S9_SB_PS4_SF_SE_S9_S9_SB_SF_SF_SE_SF_SF_PS6_SG_PKS6_,comdat
	.globl	_ZN9rocsparseL6kernelILi1024ELi1EfiiEEvbbbT3_PS1_NS_15floating_traitsIT1_E6data_tES1_T2_PKS7_S9_PKS1_PKS4_21rocsparse_index_base_S9_S9_SB_PS4_SF_SE_S9_S9_SB_SF_SF_SE_SF_SF_PS6_SG_PKS6_ ; -- Begin function _ZN9rocsparseL6kernelILi1024ELi1EfiiEEvbbbT3_PS1_NS_15floating_traitsIT1_E6data_tES1_T2_PKS7_S9_PKS1_PKS4_21rocsparse_index_base_S9_S9_SB_PS4_SF_SE_S9_S9_SB_SF_SF_SE_SF_SF_PS6_SG_PKS6_
	.p2align	8
	.type	_ZN9rocsparseL6kernelILi1024ELi1EfiiEEvbbbT3_PS1_NS_15floating_traitsIT1_E6data_tES1_T2_PKS7_S9_PKS1_PKS4_21rocsparse_index_base_S9_S9_SB_PS4_SF_SE_S9_S9_SB_SF_SF_SE_SF_SF_PS6_SG_PKS6_,@function
_ZN9rocsparseL6kernelILi1024ELi1EfiiEEvbbbT3_PS1_NS_15floating_traitsIT1_E6data_tES1_T2_PKS7_S9_PKS1_PKS4_21rocsparse_index_base_S9_S9_SB_PS4_SF_SE_S9_S9_SB_SF_SF_SE_SF_SF_PS6_SG_PKS6_: ; @_ZN9rocsparseL6kernelILi1024ELi1EfiiEEvbbbT3_PS1_NS_15floating_traitsIT1_E6data_tES1_T2_PKS7_S9_PKS1_PKS4_21rocsparse_index_base_S9_S9_SB_PS4_SF_SE_S9_S9_SB_SF_SF_SE_SF_SF_PS6_SG_PKS6_
; %bb.0:
	s_load_dword s0, s[4:5], 0x0
	s_load_dwordx2 s[62:63], s[4:5], 0x0
	s_load_dwordx2 s[68:69], s[4:5], 0x10
	s_load_dwordx4 s[8:11], s[4:5], 0xb8
	v_lshlrev_b32_e32 v18, 2, v0
	s_waitcnt lgkmcnt(0)
	s_bitcmp1_b32 s0, 0
	s_cselect_b64 s[64:65], -1, 0
	s_bitcmp1_b32 s0, 8
	s_cselect_b64 s[34:35], -1, 0
	;; [unrolled: 2-line block ×3, first 2 shown]
	s_lshl_b32 s61, s6, 10
	v_or_b32_e32 v1, s61, v0
	s_cmp_gt_i32 s63, 0
	v_cmp_gt_i32_e32 vcc, s69, v1
	s_cselect_b64 s[0:1], -1, 0
	s_mov_b32 s33, 0
	v_mov_b32_e32 v19, 0
	s_and_b64 s[0:1], s[0:1], vcc
	v_mov_b32_e32 v20, 0
	v_mov_b32_e32 v2, 0
	ds_write_b32 v18, v19
	s_waitcnt lgkmcnt(0)
	s_barrier
	s_and_saveexec_b64 s[2:3], s[0:1]
	s_cbranch_execnz .LBB7_3
; %bb.1:
	s_or_b64 exec, exec, s[2:3]
	s_andn2_b64 vcc, exec, s[64:65]
	s_cbranch_vccz .LBB7_149
.LBB7_2:
	v_cmp_eq_u32_e32 vcc, 0, v0
	s_and_b64 s[0:1], vcc, s[34:35]
	s_and_saveexec_b64 s[2:3], s[0:1]
	s_cbranch_execnz .LBB7_173
	s_branch .LBB7_179
.LBB7_3:
	s_load_dwordx8 s[36:43], s[4:5], 0x48
	s_load_dwordx8 s[44:51], s[4:5], 0x20
	v_ashrrev_i32_e32 v2, 31, v1
	v_lshlrev_b64 v[2:3], 2, v[1:2]
	s_load_dwordx2 s[0:1], s[4:5], 0xc8
	s_waitcnt lgkmcnt(0)
	v_mov_b32_e32 v5, s39
	v_add_co_u32_e32 v4, vcc, s38, v2
	v_addc_co_u32_e32 v5, vcc, v5, v3, vcc
	v_mov_b32_e32 v7, s37
	v_add_co_u32_e32 v6, vcc, s36, v2
	v_addc_co_u32_e32 v7, vcc, v7, v3, vcc
	;; [unrolled: 3-line block ×3, first 2 shown]
	v_mov_b32_e32 v10, s47
	v_add_co_u32_e32 v2, vcc, s46, v2
	global_load_dword v11, v[4:5], off
	global_load_dword v12, v[6:7], off
	v_addc_co_u32_e32 v3, vcc, v10, v3, vcc
	global_load_dword v5, v[2:3], off
	global_load_dword v6, v[8:9], off
                                        ; implicit-def: $vgpr37 : SGPR spill to VGPR lane
	s_load_dwordx4 s[44:47], s[4:5], 0xa8
	s_load_dwordx8 s[52:59], s[4:5], 0x78
	s_load_dword s66, s[4:5], 0x40
	s_load_dwordx2 s[76:77], s[4:5], 0x68
	s_load_dword s67, s[4:5], 0x70
	s_load_dwordx2 s[78:79], s[4:5], 0x98
	v_writelane_b32 v37, s2, 0
	v_writelane_b32 v37, s3, 1
	v_writelane_b32 v37, s0, 2
	v_writelane_b32 v37, s1, 3
	s_xor_b64 s[0:1], s[34:35], -1
	v_writelane_b32 v37, s0, 4
	v_writelane_b32 v37, s1, 5
	;; [unrolled: 1-line block ×3, first 2 shown]
	s_load_dword s60, s[4:5], 0xa0
	v_mov_b32_e32 v2, s41
	v_writelane_b32 v37, s5, 7
	s_and_b64 s[4:5], s[34:35], s[30:31]
	s_addk_i32 s61, 0x400
	s_movk_i32 s18, 0x200
	s_movk_i32 s20, 0x100
	s_movk_i32 s22, 0x80
	s_xor_b64 s[4:5], s[4:5], -1
	v_mov_b32_e32 v7, s43
	v_cmp_gt_u32_e64 s[0:1], 64, v0
	v_cmp_gt_u32_e64 s[2:3], 32, v0
	;; [unrolled: 1-line block ×6, first 2 shown]
	v_cmp_eq_u32_e64 s[14:15], 0, v0
	v_mov_b32_e32 v3, 0
	s_mov_b64 s[80:81], 0
	v_mov_b32_e32 v20, 0
	v_mov_b32_e32 v19, 0
	v_cmp_gt_u32_e64 s[16:17], s61, v1
	v_cmp_gt_u32_e64 s[18:19], s18, v0
	;; [unrolled: 1-line block ×4, first 2 shown]
	v_writelane_b32 v37, s4, 8
	s_movk_i32 s62, 0x1f8
	v_writelane_b32 v37, s5, 9
	s_waitcnt vmcnt(2) lgkmcnt(0)
	v_subrev_u32_e32 v4, s67, v12
	v_sub_u32_e32 v21, v11, v12
	s_waitcnt vmcnt(1)
	v_subrev_u32_e32 v22, s66, v5
	s_waitcnt vmcnt(0)
	v_cmp_lt_i32_e64 s[24:25], v6, v5
	v_ashrrev_i32_e32 v5, 31, v4
	v_subrev_u32_e32 v23, s66, v6
	v_lshlrev_b64 v[5:6], 2, v[4:5]
	v_cmp_lt_i32_e64 s[26:27], 0, v21
	v_add_co_u32_e32 v24, vcc, s40, v5
	v_addc_co_u32_e32 v25, vcc, v2, v6, vcc
	v_add_co_u32_e32 v26, vcc, s42, v5
	v_addc_co_u32_e32 v27, vcc, v7, v6, vcc
	s_branch .LBB7_5
.LBB7_4:                                ;   in Loop: Header=BB7_5 Depth=1
	s_or_b64 exec, exec, s[4:5]
	s_and_b64 s[4:5], exec, s[84:85]
	s_or_b64 s[80:81], s[4:5], s[80:81]
	s_andn2_b64 exec, exec, s[80:81]
	s_cbranch_execz .LBB7_148
.LBB7_5:                                ; =>This Loop Header: Depth=1
                                        ;     Child Loop BB7_12 Depth 2
                                        ;       Child Loop BB7_16 Depth 3
                                        ;       Child Loop BB7_37 Depth 3
	;; [unrolled: 1-line block ×5, first 2 shown]
                                        ;     Child Loop BB7_129 Depth 2
                                        ;       Child Loop BB7_132 Depth 3
                                        ;       Child Loop BB7_135 Depth 3
	v_cndmask_b32_e64 v20, v20, 0, s[34:35]
	v_cndmask_b32_e64 v19, v19, 0, s[30:31]
	s_and_saveexec_b64 s[84:85], s[24:25]
	s_cbranch_execnz .LBB7_9
; %bb.6:                                ;   in Loop: Header=BB7_5 Depth=1
	s_or_b64 exec, exec, s[84:85]
	s_andn2_b64 vcc, exec, s[34:35]
	s_cbranch_vccz .LBB7_84
.LBB7_7:                                ;   in Loop: Header=BB7_5 Depth=1
	s_andn2_b64 vcc, exec, s[30:31]
	s_cbranch_vccz .LBB7_105
.LBB7_8:                                ;   in Loop: Header=BB7_5 Depth=1
	s_and_saveexec_b64 s[28:29], s[16:17]
	s_cbranch_execnz .LBB7_126
	s_branch .LBB7_136
.LBB7_9:                                ;   in Loop: Header=BB7_5 Depth=1
	s_mov_b64 s[86:87], 0
	v_mov_b32_e32 v5, v23
	s_branch .LBB7_12
.LBB7_10:                               ;   in Loop: Header=BB7_12 Depth=2
	s_or_b64 exec, exec, s[4:5]
.LBB7_11:                               ;   in Loop: Header=BB7_12 Depth=2
	s_or_b64 exec, exec, s[28:29]
	v_add_u32_e32 v5, 1, v5
	v_cmp_ge_i32_e32 vcc, v5, v22
	s_or_b64 s[86:87], vcc, s[86:87]
	s_andn2_b64 exec, exec, s[86:87]
	s_cbranch_execz .LBB7_83
.LBB7_12:                               ;   Parent Loop BB7_5 Depth=1
                                        ; =>  This Loop Header: Depth=2
                                        ;       Child Loop BB7_16 Depth 3
                                        ;       Child Loop BB7_37 Depth 3
                                        ;       Child Loop BB7_51 Depth 3
                                        ;       Child Loop BB7_70 Depth 3
                                        ;       Child Loop BB7_78 Depth 3
	v_ashrrev_i32_e32 v6, 31, v5
	v_lshlrev_b64 v[12:13], 2, v[5:6]
	v_mov_b32_e32 v2, s49
	v_add_co_u32_e32 v6, vcc, s48, v12
	v_addc_co_u32_e32 v7, vcc, v2, v13, vcc
	global_load_dword v2, v[6:7], off
	v_mov_b32_e32 v10, s53
	v_mov_b32_e32 v11, s55
	;; [unrolled: 1-line block ×3, first 2 shown]
	s_waitcnt vmcnt(0)
	v_subrev_u32_e32 v8, s66, v2
	v_ashrrev_i32_e32 v9, 31, v8
	v_lshlrev_b64 v[6:7], 2, v[8:9]
	v_add_co_u32_e32 v9, vcc, s52, v6
	v_addc_co_u32_e32 v10, vcc, v10, v7, vcc
	v_add_co_u32_e32 v14, vcc, s54, v6
	v_addc_co_u32_e32 v15, vcc, v11, v7, vcc
	global_load_dword v2, v[9:10], off
	global_load_dword v11, v[14:15], off
	v_mov_b32_e32 v10, 0
	s_waitcnt vmcnt(1)
	v_subrev_u32_e32 v9, s60, v2
	s_waitcnt vmcnt(0)
	v_sub_u32_e32 v29, v11, v2
	v_mov_b32_e32 v2, v10
	s_and_saveexec_b64 s[28:29], s[26:27]
	s_cbranch_execz .LBB7_20
; %bb.13:                               ;   in Loop: Header=BB7_12 Depth=2
	v_ashrrev_i32_e32 v10, 31, v9
	v_lshlrev_b64 v[10:11], 2, v[9:10]
	v_mov_b32_e32 v2, s57
	v_add_co_u32_e32 v30, vcc, s56, v10
	v_addc_co_u32_e32 v31, vcc, v2, v11, vcc
	v_mov_b32_e32 v2, s59
	v_add_co_u32_e32 v32, vcc, s58, v10
	v_addc_co_u32_e32 v33, vcc, v2, v11, vcc
	v_mov_b32_e32 v2, 0
	v_mov_b32_e32 v28, 0
	s_mov_b64 s[88:89], 0
	v_mov_b32_e32 v10, v2
                                        ; implicit-def: $sgpr90_sgpr91
	s_branch .LBB7_16
.LBB7_14:                               ;   in Loop: Header=BB7_16 Depth=3
	s_or_b64 exec, exec, s[72:73]
	v_cmp_le_i32_e32 vcc, v11, v34
	v_addc_co_u32_e32 v2, vcc, 0, v2, vcc
	v_cmp_ge_i32_e32 vcc, v11, v34
	v_addc_co_u32_e32 v10, vcc, 0, v10, vcc
	v_cmp_ge_i32_e32 vcc, v2, v21
	s_andn2_b64 s[4:5], s[90:91], exec
	s_and_b64 s[72:73], vcc, exec
	s_or_b64 s[90:91], s[4:5], s[72:73]
.LBB7_15:                               ;   in Loop: Header=BB7_16 Depth=3
	s_or_b64 exec, exec, s[70:71]
	s_and_b64 s[4:5], exec, s[90:91]
	s_or_b64 s[88:89], s[4:5], s[88:89]
	s_andn2_b64 exec, exec, s[88:89]
	s_cbranch_execz .LBB7_19
.LBB7_16:                               ;   Parent Loop BB7_5 Depth=1
                                        ;     Parent Loop BB7_12 Depth=2
                                        ; =>    This Inner Loop Header: Depth=3
	v_cmp_lt_i32_e32 vcc, v10, v29
	s_or_b64 s[90:91], s[90:91], exec
	s_and_saveexec_b64 s[70:71], vcc
	s_cbranch_execz .LBB7_15
; %bb.17:                               ;   in Loop: Header=BB7_16 Depth=3
	v_lshlrev_b64 v[14:15], 2, v[2:3]
	v_mov_b32_e32 v11, v3
	v_add_co_u32_e32 v16, vcc, v24, v14
	v_addc_co_u32_e32 v17, vcc, v25, v15, vcc
	global_load_dword v36, v[16:17], off
	v_lshlrev_b64 v[16:17], 2, v[10:11]
	v_add_co_u32_e32 v34, vcc, v30, v16
	v_addc_co_u32_e32 v35, vcc, v31, v17, vcc
	global_load_dword v34, v[34:35], off
	s_waitcnt vmcnt(1)
	v_subrev_u32_e32 v11, s67, v36
	s_waitcnt vmcnt(0)
	v_subrev_u32_e32 v34, s60, v34
	v_cmp_eq_u32_e32 vcc, v11, v34
	s_and_saveexec_b64 s[72:73], vcc
	s_cbranch_execz .LBB7_14
; %bb.18:                               ;   in Loop: Header=BB7_16 Depth=3
	v_add_co_u32_e32 v14, vcc, v26, v14
	v_addc_co_u32_e32 v15, vcc, v27, v15, vcc
	v_add_co_u32_e32 v16, vcc, v32, v16
	v_addc_co_u32_e32 v17, vcc, v33, v17, vcc
	global_load_dword v14, v[14:15], off
	s_nop 0
	global_load_dword v15, v[16:17], off
	s_waitcnt vmcnt(0)
	v_fmac_f32_e32 v28, v14, v15
	s_branch .LBB7_14
.LBB7_19:                               ;   in Loop: Header=BB7_12 Depth=2
	s_or_b64 exec, exec, s[88:89]
.LBB7_20:                               ;   in Loop: Header=BB7_12 Depth=2
	s_or_b64 exec, exec, s[28:29]
	v_mov_b32_e32 v14, s51
	v_add_co_u32_e32 v11, vcc, s50, v12
	v_addc_co_u32_e32 v12, vcc, v14, v13, vcc
	global_load_dword v13, v[11:12], off
	v_cmp_le_i32_e64 s[28:29], v1, v8
	v_cmp_gt_i32_e32 vcc, v1, v8
	s_waitcnt vmcnt(0)
	v_sub_f32_e32 v14, v13, v28
	s_and_saveexec_b64 s[70:71], vcc
	s_cbranch_execnz .LBB7_23
; %bb.21:                               ;   in Loop: Header=BB7_12 Depth=2
	s_or_b64 exec, exec, s[70:71]
	v_cmp_class_f32_e64 s[88:89], v14, s62
	s_and_saveexec_b64 s[90:91], s[88:89]
	s_cbranch_execnz .LBB7_26
.LBB7_22:                               ;   in Loop: Header=BB7_12 Depth=2
	s_or_b64 exec, exec, s[90:91]
	s_and_b64 s[4:5], s[30:31], s[88:89]
	s_and_saveexec_b64 s[28:29], s[4:5]
	s_cbranch_execz .LBB7_11
	s_branch .LBB7_61
.LBB7_23:                               ;   in Loop: Header=BB7_12 Depth=2
	v_mov_b32_e32 v12, s45
	v_add_co_u32_e32 v11, vcc, s44, v6
	v_addc_co_u32_e32 v12, vcc, v12, v7, vcc
	global_load_dword v11, v[11:12], off
	v_mov_b32_e32 v12, 0
	s_waitcnt vmcnt(0)
	v_cmp_lg_f32_e32 vcc, 0, v11
	s_and_saveexec_b64 s[72:73], vcc
	s_cbranch_execz .LBB7_25
; %bb.24:                               ;   in Loop: Header=BB7_12 Depth=2
	v_div_scale_f32 v12, s[4:5], v11, v11, v14
	v_div_scale_f32 v15, vcc, v14, v11, v14
	v_rcp_f32_e32 v16, v12
	v_fma_f32 v17, -v12, v16, 1.0
	v_fmac_f32_e32 v16, v17, v16
	v_mul_f32_e32 v17, v15, v16
	v_fma_f32 v30, -v12, v17, v15
	v_fmac_f32_e32 v17, v30, v16
	v_fma_f32 v12, -v12, v17, v15
	v_div_fmas_f32 v12, v12, v16, v17
	v_div_fixup_f32 v12, v12, v11, v14
.LBB7_25:                               ;   in Loop: Header=BB7_12 Depth=2
	s_or_b64 exec, exec, s[72:73]
	v_mov_b32_e32 v14, v12
	s_or_b64 exec, exec, s[70:71]
	v_cmp_class_f32_e64 s[88:89], v14, s62
	s_and_saveexec_b64 s[90:91], s[88:89]
	s_cbranch_execz .LBB7_22
.LBB7_26:                               ;   in Loop: Header=BB7_12 Depth=2
	s_and_saveexec_b64 s[4:5], s[28:29]
	s_xor_b64 s[28:29], exec, s[4:5]
	s_cbranch_execz .LBB7_47
; %bb.27:                               ;   in Loop: Header=BB7_12 Depth=2
	v_cmp_ge_i32_e32 vcc, v1, v8
	s_and_saveexec_b64 s[4:5], vcc
	s_xor_b64 s[70:71], exec, s[4:5]
	s_cbranch_execz .LBB7_33
; %bb.28:                               ;   in Loop: Header=BB7_12 Depth=2
	v_mov_b32_e32 v12, s47
	v_add_co_u32_e32 v11, vcc, s46, v6
	v_addc_co_u32_e32 v12, vcc, v12, v7, vcc
	s_andn2_b64 vcc, exec, s[34:35]
	global_store_dword v[11:12], v14, off
	s_cbranch_vccnz .LBB7_32
; %bb.29:                               ;   in Loop: Header=BB7_12 Depth=2
	v_mov_b32_e32 v12, s45
	v_add_co_u32_e32 v11, vcc, s44, v6
	v_addc_co_u32_e32 v12, vcc, v12, v7, vcc
	global_load_dword v11, v[11:12], off
	s_waitcnt vmcnt(0)
	v_sub_f32_e32 v11, v11, v14
	v_cmp_class_f32_e64 s[72:73], v11, s62
	s_and_saveexec_b64 s[4:5], s[72:73]
; %bb.30:                               ;   in Loop: Header=BB7_12 Depth=2
	v_cmp_lt_f32_e64 s[72:73], v20, |v11|
	v_cndmask_b32_e64 v20, v20, |v11|, s[72:73]
; %bb.31:                               ;   in Loop: Header=BB7_12 Depth=2
	s_or_b64 exec, exec, s[4:5]
.LBB7_32:                               ;   in Loop: Header=BB7_12 Depth=2
                                        ; implicit-def: $vgpr14
.LBB7_33:                               ;   in Loop: Header=BB7_12 Depth=2
	s_andn2_saveexec_b64 s[92:93], s[70:71]
	s_cbranch_execz .LBB7_46
; %bb.34:                               ;   in Loop: Header=BB7_12 Depth=2
	v_cmp_lt_i32_e32 vcc, v10, v29
	s_and_saveexec_b64 s[94:95], vcc
	s_cbranch_execz .LBB7_45
; %bb.35:                               ;   in Loop: Header=BB7_12 Depth=2
	s_mov_b64 s[70:71], 0
	v_mov_b32_e32 v15, v10
                                        ; implicit-def: $sgpr74_sgpr75
                                        ; implicit-def: $sgpr82_sgpr83
                                        ; implicit-def: $sgpr72_sgpr73
	s_branch .LBB7_37
.LBB7_36:                               ;   in Loop: Header=BB7_37 Depth=3
	s_or_b64 exec, exec, s[4:5]
	s_and_b64 s[4:5], exec, s[82:83]
	s_or_b64 s[70:71], s[4:5], s[70:71]
	s_andn2_b64 s[4:5], s[74:75], exec
	s_and_b64 s[74:75], s[72:73], exec
	s_or_b64 s[74:75], s[4:5], s[74:75]
	s_andn2_b64 exec, exec, s[70:71]
	s_cbranch_execz .LBB7_39
.LBB7_37:                               ;   Parent Loop BB7_5 Depth=1
                                        ;     Parent Loop BB7_12 Depth=2
                                        ; =>    This Inner Loop Header: Depth=3
	v_add_u32_e32 v11, v9, v15
	v_ashrrev_i32_e32 v12, 31, v11
	v_lshlrev_b64 v[11:12], 2, v[11:12]
	v_mov_b32_e32 v17, s57
	v_add_co_u32_e32 v16, vcc, s56, v11
	v_addc_co_u32_e32 v17, vcc, v17, v12, vcc
	global_load_dword v16, v[16:17], off
	s_or_b64 s[72:73], s[72:73], exec
	s_or_b64 s[82:83], s[82:83], exec
	s_waitcnt vmcnt(0)
	v_subrev_u32_e32 v16, s60, v16
	v_cmp_ne_u32_e32 vcc, v16, v1
	s_and_saveexec_b64 s[4:5], vcc
	s_cbranch_execz .LBB7_36
; %bb.38:                               ;   in Loop: Header=BB7_37 Depth=3
	v_add_u32_e32 v15, 1, v15
	v_cmp_ge_i32_e32 vcc, v15, v29
	s_andn2_b64 s[82:83], s[82:83], exec
	s_and_b64 vcc, vcc, exec
	s_andn2_b64 s[72:73], s[72:73], exec
	s_or_b64 s[82:83], s[82:83], vcc
	s_branch .LBB7_36
.LBB7_39:                               ;   in Loop: Header=BB7_12 Depth=2
	s_or_b64 exec, exec, s[70:71]
	s_and_saveexec_b64 s[4:5], s[74:75]
	s_xor_b64 s[70:71], exec, s[4:5]
	s_cbranch_execz .LBB7_44
; %bb.40:                               ;   in Loop: Header=BB7_12 Depth=2
	v_mov_b32_e32 v16, s79
	v_add_co_u32_e32 v15, vcc, s78, v11
	v_addc_co_u32_e32 v16, vcc, v16, v12, vcc
	s_andn2_b64 vcc, exec, s[34:35]
	global_store_dword v[15:16], v14, off
	s_cbranch_vccnz .LBB7_44
; %bb.41:                               ;   in Loop: Header=BB7_12 Depth=2
	v_mov_b32_e32 v15, s59
	v_add_co_u32_e32 v11, vcc, s58, v11
	v_addc_co_u32_e32 v12, vcc, v15, v12, vcc
	global_load_dword v11, v[11:12], off
	s_waitcnt vmcnt(0)
	v_sub_f32_e32 v11, v11, v14
	v_cmp_class_f32_e64 s[72:73], v11, s62
	s_and_saveexec_b64 s[4:5], s[72:73]
; %bb.42:                               ;   in Loop: Header=BB7_12 Depth=2
	v_cmp_lt_f32_e64 s[72:73], v20, |v11|
	v_cndmask_b32_e64 v20, v20, |v11|, s[72:73]
; %bb.43:                               ;   in Loop: Header=BB7_12 Depth=2
	s_or_b64 exec, exec, s[4:5]
.LBB7_44:                               ;   in Loop: Header=BB7_12 Depth=2
	s_or_b64 exec, exec, s[70:71]
.LBB7_45:                               ;   in Loop: Header=BB7_12 Depth=2
	s_or_b64 exec, exec, s[94:95]
.LBB7_46:                               ;   in Loop: Header=BB7_12 Depth=2
	s_or_b64 exec, exec, s[92:93]
                                        ; implicit-def: $vgpr14
.LBB7_47:                               ;   in Loop: Header=BB7_12 Depth=2
	s_andn2_saveexec_b64 s[28:29], s[28:29]
	s_cbranch_execz .LBB7_60
; %bb.48:                               ;   in Loop: Header=BB7_12 Depth=2
	v_cmp_lt_i32_e32 vcc, v2, v21
	s_and_saveexec_b64 s[92:93], vcc
	s_cbranch_execz .LBB7_59
; %bb.49:                               ;   in Loop: Header=BB7_12 Depth=2
	s_mov_b64 s[94:95], 0
	v_mov_b32_e32 v15, v2
                                        ; implicit-def: $sgpr70_sgpr71
                                        ; implicit-def: $sgpr74_sgpr75
                                        ; implicit-def: $sgpr72_sgpr73
	s_branch .LBB7_51
.LBB7_50:                               ;   in Loop: Header=BB7_51 Depth=3
	s_or_b64 exec, exec, s[82:83]
	s_and_b64 s[4:5], exec, s[74:75]
	s_or_b64 s[94:95], s[4:5], s[94:95]
	s_andn2_b64 s[4:5], s[70:71], exec
	s_and_b64 s[70:71], s[72:73], exec
	s_or_b64 s[70:71], s[4:5], s[70:71]
	s_andn2_b64 exec, exec, s[94:95]
	s_cbranch_execz .LBB7_53
.LBB7_51:                               ;   Parent Loop BB7_5 Depth=1
                                        ;     Parent Loop BB7_12 Depth=2
                                        ; =>    This Inner Loop Header: Depth=3
	v_add_u32_e32 v11, v4, v15
	v_ashrrev_i32_e32 v12, 31, v11
	v_lshlrev_b64 v[11:12], 2, v[11:12]
	v_mov_b32_e32 v17, s41
	v_add_co_u32_e32 v16, vcc, s40, v11
	v_addc_co_u32_e32 v17, vcc, v17, v12, vcc
	global_load_dword v16, v[16:17], off
	s_or_b64 s[72:73], s[72:73], exec
	s_or_b64 s[74:75], s[74:75], exec
	s_waitcnt vmcnt(0)
	v_subrev_u32_e32 v16, s67, v16
	v_cmp_ne_u32_e32 vcc, v16, v8
	s_and_saveexec_b64 s[82:83], vcc
	s_cbranch_execz .LBB7_50
; %bb.52:                               ;   in Loop: Header=BB7_51 Depth=3
	v_add_u32_e32 v15, 1, v15
	v_cmp_ge_i32_e32 vcc, v15, v21
	s_andn2_b64 s[4:5], s[74:75], exec
	s_and_b64 s[74:75], vcc, exec
	s_andn2_b64 s[72:73], s[72:73], exec
	s_or_b64 s[74:75], s[4:5], s[74:75]
	s_branch .LBB7_50
.LBB7_53:                               ;   in Loop: Header=BB7_12 Depth=2
	s_or_b64 exec, exec, s[94:95]
	s_and_saveexec_b64 s[4:5], s[70:71]
	s_xor_b64 s[70:71], exec, s[4:5]
	s_cbranch_execz .LBB7_58
; %bb.54:                               ;   in Loop: Header=BB7_12 Depth=2
	v_mov_b32_e32 v16, s77
	v_add_co_u32_e32 v15, vcc, s76, v11
	v_addc_co_u32_e32 v16, vcc, v16, v12, vcc
	s_andn2_b64 vcc, exec, s[34:35]
	global_store_dword v[15:16], v14, off
	s_cbranch_vccnz .LBB7_58
; %bb.55:                               ;   in Loop: Header=BB7_12 Depth=2
	v_mov_b32_e32 v15, s43
	v_add_co_u32_e32 v11, vcc, s42, v11
	v_addc_co_u32_e32 v12, vcc, v15, v12, vcc
	global_load_dword v11, v[11:12], off
	s_waitcnt vmcnt(0)
	v_sub_f32_e32 v11, v11, v14
	v_cmp_class_f32_e64 s[72:73], v11, s62
	s_and_saveexec_b64 s[4:5], s[72:73]
; %bb.56:                               ;   in Loop: Header=BB7_12 Depth=2
	v_cmp_lt_f32_e64 s[72:73], v20, |v11|
	v_cndmask_b32_e64 v20, v20, |v11|, s[72:73]
; %bb.57:                               ;   in Loop: Header=BB7_12 Depth=2
	s_or_b64 exec, exec, s[4:5]
.LBB7_58:                               ;   in Loop: Header=BB7_12 Depth=2
	s_or_b64 exec, exec, s[70:71]
.LBB7_59:                               ;   in Loop: Header=BB7_12 Depth=2
	s_or_b64 exec, exec, s[92:93]
.LBB7_60:                               ;   in Loop: Header=BB7_12 Depth=2
	s_or_b64 exec, exec, s[28:29]
	s_or_b64 exec, exec, s[90:91]
	s_and_b64 s[4:5], s[30:31], s[88:89]
	s_and_saveexec_b64 s[28:29], s[4:5]
	s_cbranch_execz .LBB7_11
.LBB7_61:                               ;   in Loop: Header=BB7_12 Depth=2
	v_cmp_ge_i32_e32 vcc, v10, v29
	s_and_saveexec_b64 s[4:5], vcc
	s_xor_b64 s[88:89], exec, s[4:5]
	s_cbranch_execnz .LBB7_67
; %bb.62:                               ;   in Loop: Header=BB7_12 Depth=2
	s_andn2_saveexec_b64 s[88:89], s[88:89]
	s_cbranch_execnz .LBB7_76
.LBB7_63:                               ;   in Loop: Header=BB7_12 Depth=2
	s_or_b64 exec, exec, s[88:89]
	v_cmp_eq_u32_e32 vcc, v1, v8
	s_and_saveexec_b64 s[4:5], vcc
	s_cbranch_execz .LBB7_65
.LBB7_64:                               ;   in Loop: Header=BB7_12 Depth=2
	v_mov_b32_e32 v2, s45
	v_add_co_u32_e32 v6, vcc, s44, v6
	v_addc_co_u32_e32 v7, vcc, v2, v7, vcc
	global_load_dword v2, v[6:7], off
	s_waitcnt vmcnt(0)
	v_add_f32_e32 v28, v28, v2
.LBB7_65:                               ;   in Loop: Header=BB7_12 Depth=2
	s_or_b64 exec, exec, s[4:5]
	v_sub_f32_e32 v2, v13, v28
	v_cmp_class_f32_e64 s[70:71], v2, s62
	s_and_saveexec_b64 s[4:5], s[70:71]
	s_cbranch_execz .LBB7_10
; %bb.66:                               ;   in Loop: Header=BB7_12 Depth=2
	v_cmp_lt_f32_e64 s[70:71], v19, |v2|
	v_cndmask_b32_e64 v19, v19, |v2|, s[70:71]
	s_branch .LBB7_10
.LBB7_67:                               ;   in Loop: Header=BB7_12 Depth=2
	v_cmp_lt_i32_e32 vcc, v2, v21
	s_and_saveexec_b64 s[90:91], vcc
	s_cbranch_execz .LBB7_75
; %bb.68:                               ;   in Loop: Header=BB7_12 Depth=2
	s_mov_b64 s[70:71], 0
                                        ; implicit-def: $sgpr74_sgpr75
                                        ; implicit-def: $sgpr82_sgpr83
                                        ; implicit-def: $sgpr72_sgpr73
	s_branch .LBB7_70
.LBB7_69:                               ;   in Loop: Header=BB7_70 Depth=3
	s_or_b64 exec, exec, s[4:5]
	s_and_b64 s[4:5], exec, s[82:83]
	s_or_b64 s[70:71], s[4:5], s[70:71]
	s_andn2_b64 s[4:5], s[74:75], exec
	s_and_b64 s[74:75], s[72:73], exec
	s_or_b64 s[74:75], s[4:5], s[74:75]
	s_andn2_b64 exec, exec, s[70:71]
	s_cbranch_execz .LBB7_72
.LBB7_70:                               ;   Parent Loop BB7_5 Depth=1
                                        ;     Parent Loop BB7_12 Depth=2
                                        ; =>    This Inner Loop Header: Depth=3
	v_add_u32_e32 v9, v4, v2
	v_ashrrev_i32_e32 v10, 31, v9
	v_lshlrev_b64 v[9:10], 2, v[9:10]
	v_mov_b32_e32 v12, s41
	v_add_co_u32_e32 v11, vcc, s40, v9
	v_addc_co_u32_e32 v12, vcc, v12, v10, vcc
	global_load_dword v11, v[11:12], off
	s_or_b64 s[72:73], s[72:73], exec
	s_or_b64 s[82:83], s[82:83], exec
	s_waitcnt vmcnt(0)
	v_subrev_u32_e32 v11, s67, v11
	v_cmp_ne_u32_e32 vcc, v11, v8
	s_and_saveexec_b64 s[4:5], vcc
	s_cbranch_execz .LBB7_69
; %bb.71:                               ;   in Loop: Header=BB7_70 Depth=3
	v_add_u32_e32 v2, 1, v2
	v_cmp_ge_i32_e32 vcc, v2, v21
	s_andn2_b64 s[82:83], s[82:83], exec
	s_and_b64 s[92:93], vcc, exec
	s_andn2_b64 s[72:73], s[72:73], exec
	s_or_b64 s[82:83], s[82:83], s[92:93]
	s_branch .LBB7_69
.LBB7_72:                               ;   in Loop: Header=BB7_12 Depth=2
	s_or_b64 exec, exec, s[70:71]
	s_and_saveexec_b64 s[4:5], s[74:75]
	s_xor_b64 s[70:71], exec, s[4:5]
	s_cbranch_execz .LBB7_74
; %bb.73:                               ;   in Loop: Header=BB7_12 Depth=2
	v_mov_b32_e32 v2, s43
	v_add_co_u32_e32 v9, vcc, s42, v9
	v_addc_co_u32_e32 v10, vcc, v2, v10, vcc
	global_load_dword v2, v[9:10], off
	v_mov_b32_e32 v10, s45
	v_add_co_u32_e32 v9, vcc, s44, v6
	v_addc_co_u32_e32 v10, vcc, v10, v7, vcc
	global_load_dword v9, v[9:10], off
	s_waitcnt vmcnt(0)
	v_fmac_f32_e32 v28, v2, v9
.LBB7_74:                               ;   in Loop: Header=BB7_12 Depth=2
	s_or_b64 exec, exec, s[70:71]
.LBB7_75:                               ;   in Loop: Header=BB7_12 Depth=2
	s_or_b64 exec, exec, s[90:91]
                                        ; implicit-def: $vgpr10
                                        ; implicit-def: $vgpr9
                                        ; implicit-def: $vgpr29
	s_andn2_saveexec_b64 s[88:89], s[88:89]
	s_cbranch_execz .LBB7_63
.LBB7_76:                               ;   in Loop: Header=BB7_12 Depth=2
	s_mov_b64 s[70:71], 0
                                        ; implicit-def: $sgpr74_sgpr75
                                        ; implicit-def: $sgpr82_sgpr83
                                        ; implicit-def: $sgpr72_sgpr73
	s_branch .LBB7_78
.LBB7_77:                               ;   in Loop: Header=BB7_78 Depth=3
	s_or_b64 exec, exec, s[4:5]
	s_and_b64 s[4:5], exec, s[82:83]
	s_or_b64 s[70:71], s[4:5], s[70:71]
	s_andn2_b64 s[4:5], s[74:75], exec
	s_and_b64 s[74:75], s[72:73], exec
	s_or_b64 s[74:75], s[4:5], s[74:75]
	s_andn2_b64 exec, exec, s[70:71]
	s_cbranch_execz .LBB7_80
.LBB7_78:                               ;   Parent Loop BB7_5 Depth=1
                                        ;     Parent Loop BB7_12 Depth=2
                                        ; =>    This Inner Loop Header: Depth=3
	v_add_u32_e32 v11, v9, v10
	v_ashrrev_i32_e32 v12, 31, v11
	v_lshlrev_b64 v[11:12], 2, v[11:12]
	v_mov_b32_e32 v2, s57
	v_add_co_u32_e32 v14, vcc, s56, v11
	v_addc_co_u32_e32 v15, vcc, v2, v12, vcc
	global_load_dword v2, v[14:15], off
	s_or_b64 s[72:73], s[72:73], exec
	s_or_b64 s[82:83], s[82:83], exec
	s_waitcnt vmcnt(0)
	v_subrev_u32_e32 v2, s60, v2
	v_cmp_ne_u32_e32 vcc, v2, v1
	s_and_saveexec_b64 s[4:5], vcc
	s_cbranch_execz .LBB7_77
; %bb.79:                               ;   in Loop: Header=BB7_78 Depth=3
	v_add_u32_e32 v10, 1, v10
	v_cmp_ge_i32_e32 vcc, v10, v29
	s_andn2_b64 s[82:83], s[82:83], exec
	s_and_b64 s[90:91], vcc, exec
	s_andn2_b64 s[72:73], s[72:73], exec
	s_or_b64 s[82:83], s[82:83], s[90:91]
	s_branch .LBB7_77
.LBB7_80:                               ;   in Loop: Header=BB7_12 Depth=2
	s_or_b64 exec, exec, s[70:71]
	s_and_saveexec_b64 s[4:5], s[74:75]
	s_xor_b64 s[4:5], exec, s[4:5]
	s_cbranch_execz .LBB7_82
; %bb.81:                               ;   in Loop: Header=BB7_12 Depth=2
	v_mov_b32_e32 v2, s59
	v_add_co_u32_e32 v9, vcc, s58, v11
	v_addc_co_u32_e32 v10, vcc, v2, v12, vcc
	global_load_dword v2, v[9:10], off
	s_waitcnt vmcnt(0)
	v_add_f32_e32 v28, v28, v2
.LBB7_82:                               ;   in Loop: Header=BB7_12 Depth=2
	s_or_b64 exec, exec, s[4:5]
	s_or_b64 exec, exec, s[88:89]
	v_cmp_eq_u32_e32 vcc, v1, v8
	s_and_saveexec_b64 s[4:5], vcc
	s_cbranch_execnz .LBB7_64
	s_branch .LBB7_65
.LBB7_83:                               ;   in Loop: Header=BB7_5 Depth=1
	s_or_b64 exec, exec, s[86:87]
	s_or_b64 exec, exec, s[84:85]
	s_andn2_b64 vcc, exec, s[34:35]
	s_cbranch_vccnz .LBB7_7
.LBB7_84:                               ;   in Loop: Header=BB7_5 Depth=1
	ds_write_b32 v18, v20
	s_waitcnt vmcnt(0) lgkmcnt(0)
	s_barrier
	s_and_saveexec_b64 s[4:5], s[18:19]
	s_cbranch_execz .LBB7_86
; %bb.85:                               ;   in Loop: Header=BB7_5 Depth=1
	ds_read2st64_b32 v[5:6], v18 offset1:8
	s_waitcnt lgkmcnt(0)
	v_cmp_lt_f32_e32 vcc, v5, v6
	v_cndmask_b32_e32 v2, v5, v6, vcc
	ds_write_b32 v18, v2
.LBB7_86:                               ;   in Loop: Header=BB7_5 Depth=1
	s_or_b64 exec, exec, s[4:5]
	s_waitcnt lgkmcnt(0)
	s_barrier
	s_and_saveexec_b64 s[4:5], s[20:21]
	s_cbranch_execz .LBB7_88
; %bb.87:                               ;   in Loop: Header=BB7_5 Depth=1
	ds_read2st64_b32 v[5:6], v18 offset1:4
	s_waitcnt lgkmcnt(0)
	v_cmp_lt_f32_e32 vcc, v5, v6
	v_cndmask_b32_e32 v2, v5, v6, vcc
	ds_write_b32 v18, v2
.LBB7_88:                               ;   in Loop: Header=BB7_5 Depth=1
	s_or_b64 exec, exec, s[4:5]
	s_waitcnt lgkmcnt(0)
	;; [unrolled: 12-line block ×4, first 2 shown]
	s_barrier
	s_and_saveexec_b64 s[4:5], s[2:3]
	s_cbranch_execz .LBB7_94
; %bb.93:                               ;   in Loop: Header=BB7_5 Depth=1
	ds_read2_b32 v[5:6], v18 offset1:32
	s_waitcnt lgkmcnt(0)
	v_cmp_lt_f32_e32 vcc, v5, v6
	v_cndmask_b32_e32 v2, v5, v6, vcc
	ds_write_b32 v18, v2
.LBB7_94:                               ;   in Loop: Header=BB7_5 Depth=1
	s_or_b64 exec, exec, s[4:5]
	s_waitcnt lgkmcnt(0)
	s_barrier
	s_and_saveexec_b64 s[4:5], s[6:7]
	s_cbranch_execz .LBB7_96
; %bb.95:                               ;   in Loop: Header=BB7_5 Depth=1
	ds_read2_b32 v[5:6], v18 offset1:16
	s_waitcnt lgkmcnt(0)
	v_cmp_lt_f32_e32 vcc, v5, v6
	v_cndmask_b32_e32 v2, v5, v6, vcc
	ds_write_b32 v18, v2
.LBB7_96:                               ;   in Loop: Header=BB7_5 Depth=1
	s_or_b64 exec, exec, s[4:5]
	s_waitcnt lgkmcnt(0)
	;; [unrolled: 12-line block ×3, first 2 shown]
	s_barrier
	s_and_saveexec_b64 s[4:5], s[10:11]
	s_cbranch_execz .LBB7_100
; %bb.99:                               ;   in Loop: Header=BB7_5 Depth=1
	ds_read2_b32 v[5:6], v18 offset1:4
	s_waitcnt lgkmcnt(0)
	v_cmp_lt_f32_e32 vcc, v5, v6
	v_cndmask_b32_e32 v2, v5, v6, vcc
	ds_write_b32 v18, v2
.LBB7_100:                              ;   in Loop: Header=BB7_5 Depth=1
	s_or_b64 exec, exec, s[4:5]
	s_waitcnt lgkmcnt(0)
	s_barrier
	s_and_saveexec_b64 s[4:5], s[12:13]
	s_cbranch_execz .LBB7_102
; %bb.101:                              ;   in Loop: Header=BB7_5 Depth=1
	ds_read2_b32 v[5:6], v18 offset1:2
	s_waitcnt lgkmcnt(0)
	v_cmp_lt_f32_e32 vcc, v5, v6
	v_cndmask_b32_e32 v2, v5, v6, vcc
	ds_write_b32 v18, v2
.LBB7_102:                              ;   in Loop: Header=BB7_5 Depth=1
	s_or_b64 exec, exec, s[4:5]
	s_waitcnt lgkmcnt(0)
	s_barrier
	s_and_saveexec_b64 s[4:5], s[14:15]
	s_cbranch_execz .LBB7_104
; %bb.103:                              ;   in Loop: Header=BB7_5 Depth=1
	ds_read_b64 v[5:6], v3
	s_waitcnt lgkmcnt(0)
	v_cmp_lt_f32_e32 vcc, v5, v6
	v_cndmask_b32_e32 v2, v5, v6, vcc
	ds_write_b32 v3, v2
.LBB7_104:                              ;   in Loop: Header=BB7_5 Depth=1
	s_or_b64 exec, exec, s[4:5]
	v_readlane_b32 s4, v37, 2
	v_readlane_b32 s5, v37, 3
	s_waitcnt lgkmcnt(0)
	s_barrier
	ds_read_b32 v2, v3
	s_load_dword s28, s[4:5], 0x0
	s_waitcnt lgkmcnt(0)
	v_div_scale_f32 v5, s[4:5], s28, s28, v2
	v_div_scale_f32 v6, vcc, v2, s28, v2
	v_rcp_f32_e32 v7, v5
	v_fma_f32 v8, -v5, v7, 1.0
	v_fmac_f32_e32 v7, v8, v7
	v_mul_f32_e32 v8, v6, v7
	v_fma_f32 v9, -v5, v8, v6
	v_fmac_f32_e32 v8, v9, v7
	v_fma_f32 v5, -v5, v8, v6
	v_div_fmas_f32 v5, v5, v7, v8
	v_div_fixup_f32 v20, v5, s28, v2
	s_andn2_b64 vcc, exec, s[30:31]
	s_cbranch_vccnz .LBB7_8
.LBB7_105:                              ;   in Loop: Header=BB7_5 Depth=1
	ds_write_b32 v18, v19
	s_waitcnt vmcnt(0) lgkmcnt(0)
	s_barrier
	s_and_saveexec_b64 s[4:5], s[18:19]
	s_cbranch_execz .LBB7_107
; %bb.106:                              ;   in Loop: Header=BB7_5 Depth=1
	ds_read2st64_b32 v[5:6], v18 offset1:8
	s_waitcnt lgkmcnt(0)
	v_cmp_lt_f32_e32 vcc, v5, v6
	v_cndmask_b32_e32 v2, v5, v6, vcc
	ds_write_b32 v18, v2
.LBB7_107:                              ;   in Loop: Header=BB7_5 Depth=1
	s_or_b64 exec, exec, s[4:5]
	s_waitcnt lgkmcnt(0)
	s_barrier
	s_and_saveexec_b64 s[4:5], s[20:21]
	s_cbranch_execz .LBB7_109
; %bb.108:                              ;   in Loop: Header=BB7_5 Depth=1
	ds_read2st64_b32 v[5:6], v18 offset1:4
	s_waitcnt lgkmcnt(0)
	v_cmp_lt_f32_e32 vcc, v5, v6
	v_cndmask_b32_e32 v2, v5, v6, vcc
	ds_write_b32 v18, v2
.LBB7_109:                              ;   in Loop: Header=BB7_5 Depth=1
	s_or_b64 exec, exec, s[4:5]
	s_waitcnt lgkmcnt(0)
	;; [unrolled: 12-line block ×4, first 2 shown]
	s_barrier
	s_and_saveexec_b64 s[4:5], s[2:3]
	s_cbranch_execz .LBB7_115
; %bb.114:                              ;   in Loop: Header=BB7_5 Depth=1
	ds_read2_b32 v[5:6], v18 offset1:32
	s_waitcnt lgkmcnt(0)
	v_cmp_lt_f32_e32 vcc, v5, v6
	v_cndmask_b32_e32 v2, v5, v6, vcc
	ds_write_b32 v18, v2
.LBB7_115:                              ;   in Loop: Header=BB7_5 Depth=1
	s_or_b64 exec, exec, s[4:5]
	s_waitcnt lgkmcnt(0)
	s_barrier
	s_and_saveexec_b64 s[4:5], s[6:7]
	s_cbranch_execz .LBB7_117
; %bb.116:                              ;   in Loop: Header=BB7_5 Depth=1
	ds_read2_b32 v[5:6], v18 offset1:16
	s_waitcnt lgkmcnt(0)
	v_cmp_lt_f32_e32 vcc, v5, v6
	v_cndmask_b32_e32 v2, v5, v6, vcc
	ds_write_b32 v18, v2
.LBB7_117:                              ;   in Loop: Header=BB7_5 Depth=1
	s_or_b64 exec, exec, s[4:5]
	s_waitcnt lgkmcnt(0)
	;; [unrolled: 12-line block ×5, first 2 shown]
	s_barrier
	s_and_saveexec_b64 s[4:5], s[14:15]
	s_cbranch_execz .LBB7_125
; %bb.124:                              ;   in Loop: Header=BB7_5 Depth=1
	ds_read_b64 v[5:6], v3
	s_waitcnt lgkmcnt(0)
	v_cmp_lt_f32_e32 vcc, v5, v6
	v_cndmask_b32_e32 v2, v5, v6, vcc
	ds_write_b32 v3, v2
.LBB7_125:                              ;   in Loop: Header=BB7_5 Depth=1
	s_or_b64 exec, exec, s[4:5]
	v_readlane_b32 s4, v37, 2
	v_readlane_b32 s5, v37, 3
	s_waitcnt lgkmcnt(0)
	s_barrier
	ds_read_b32 v2, v3
	s_load_dword s28, s[4:5], 0x0
	s_waitcnt lgkmcnt(0)
	v_div_scale_f32 v5, s[4:5], s28, s28, v2
	v_div_scale_f32 v6, vcc, v2, s28, v2
	v_rcp_f32_e32 v7, v5
	v_fma_f32 v8, -v5, v7, 1.0
	v_fmac_f32_e32 v7, v8, v7
	v_mul_f32_e32 v8, v6, v7
	v_fma_f32 v9, -v5, v8, v6
	v_fmac_f32_e32 v8, v9, v7
	v_fma_f32 v5, -v5, v8, v6
	v_div_fmas_f32 v5, v5, v7, v8
	v_div_fixup_f32 v19, v5, s28, v2
	s_and_saveexec_b64 s[28:29], s[16:17]
	s_cbranch_execz .LBB7_136
.LBB7_126:                              ;   in Loop: Header=BB7_5 Depth=1
	s_mov_b64 s[84:85], 0
	v_mov_b32_e32 v5, v1
	s_branch .LBB7_129
.LBB7_127:                              ;   in Loop: Header=BB7_129 Depth=2
	s_or_b64 exec, exec, s[70:71]
	v_mov_b32_e32 v2, s47
	v_add_co_u32_e32 v8, vcc, s46, v6
	v_addc_co_u32_e32 v9, vcc, v2, v7, vcc
	global_load_dword v2, v[8:9], off
	v_mov_b32_e32 v8, s45
	v_add_co_u32_e32 v6, vcc, s44, v6
	v_addc_co_u32_e32 v7, vcc, v8, v7, vcc
	s_waitcnt vmcnt(0)
	global_store_dword v[6:7], v2, off
.LBB7_128:                              ;   in Loop: Header=BB7_129 Depth=2
	s_or_b64 exec, exec, s[86:87]
	v_add_u32_e32 v5, 0x400, v5
	v_cmp_le_u32_e32 vcc, s61, v5
	s_or_b64 s[84:85], vcc, s[84:85]
	s_andn2_b64 exec, exec, s[84:85]
	s_cbranch_execz .LBB7_136
.LBB7_129:                              ;   Parent Loop BB7_5 Depth=1
                                        ; =>  This Loop Header: Depth=2
                                        ;       Child Loop BB7_132 Depth 3
                                        ;       Child Loop BB7_135 Depth 3
	v_cmp_gt_i32_e32 vcc, s69, v5
	s_and_saveexec_b64 s[86:87], vcc
	s_cbranch_execz .LBB7_128
; %bb.130:                              ;   in Loop: Header=BB7_129 Depth=2
	v_ashrrev_i32_e32 v6, 31, v5
	v_lshlrev_b64 v[6:7], 2, v[5:6]
	v_mov_b32_e32 v2, s37
	v_add_co_u32_e32 v8, vcc, s36, v6
	v_addc_co_u32_e32 v9, vcc, v2, v7, vcc
	global_load_dword v8, v[8:9], off
	v_mov_b32_e32 v2, s39
	v_add_co_u32_e32 v9, vcc, s38, v6
	v_addc_co_u32_e32 v10, vcc, v2, v7, vcc
	global_load_dword v2, v[9:10], off
	s_waitcnt vmcnt(0)
	v_cmp_lt_i32_e32 vcc, v8, v2
	s_and_saveexec_b64 s[70:71], vcc
	s_cbranch_execz .LBB7_133
; %bb.131:                              ;   in Loop: Header=BB7_129 Depth=2
	v_subrev_u32_e32 v8, s67, v8
	v_ashrrev_i32_e32 v9, 31, v8
	v_lshlrev_b64 v[11:12], 2, v[8:9]
	v_mov_b32_e32 v10, s77
	v_add_co_u32_e32 v9, vcc, s76, v11
	v_addc_co_u32_e32 v10, vcc, v10, v12, vcc
	v_mov_b32_e32 v13, s43
	v_add_co_u32_e32 v11, vcc, s42, v11
	v_subrev_u32_e32 v2, s67, v2
	v_addc_co_u32_e32 v12, vcc, v13, v12, vcc
	s_mov_b64 s[72:73], 0
.LBB7_132:                              ;   Parent Loop BB7_5 Depth=1
                                        ;     Parent Loop BB7_129 Depth=2
                                        ; =>    This Inner Loop Header: Depth=3
	global_load_dword v13, v[9:10], off
	v_add_co_u32_e32 v9, vcc, 4, v9
	v_add_u32_e32 v8, 1, v8
	v_addc_co_u32_e32 v10, vcc, 0, v10, vcc
	v_cmp_ge_i32_e32 vcc, v8, v2
	s_or_b64 s[72:73], vcc, s[72:73]
	s_waitcnt vmcnt(0)
	global_store_dword v[11:12], v13, off
	v_add_co_u32_e32 v11, vcc, 4, v11
	v_addc_co_u32_e32 v12, vcc, 0, v12, vcc
	s_andn2_b64 exec, exec, s[72:73]
	s_cbranch_execnz .LBB7_132
.LBB7_133:                              ;   in Loop: Header=BB7_129 Depth=2
	s_or_b64 exec, exec, s[70:71]
	v_mov_b32_e32 v2, s53
	v_add_co_u32_e32 v8, vcc, s52, v6
	v_addc_co_u32_e32 v9, vcc, v2, v7, vcc
	global_load_dword v8, v[8:9], off
	v_mov_b32_e32 v2, s55
	v_add_co_u32_e32 v9, vcc, s54, v6
	v_addc_co_u32_e32 v10, vcc, v2, v7, vcc
	global_load_dword v2, v[9:10], off
	s_waitcnt vmcnt(0)
	v_cmp_lt_i32_e32 vcc, v8, v2
	s_and_saveexec_b64 s[70:71], vcc
	s_cbranch_execz .LBB7_127
; %bb.134:                              ;   in Loop: Header=BB7_129 Depth=2
	v_subrev_u32_e32 v8, s60, v8
	v_ashrrev_i32_e32 v9, 31, v8
	v_lshlrev_b64 v[11:12], 2, v[8:9]
	v_mov_b32_e32 v10, s79
	v_add_co_u32_e32 v9, vcc, s78, v11
	v_addc_co_u32_e32 v10, vcc, v10, v12, vcc
	v_mov_b32_e32 v13, s59
	v_add_co_u32_e32 v11, vcc, s58, v11
	v_subrev_u32_e32 v2, s60, v2
	v_addc_co_u32_e32 v12, vcc, v13, v12, vcc
	s_mov_b64 s[72:73], 0
.LBB7_135:                              ;   Parent Loop BB7_5 Depth=1
                                        ;     Parent Loop BB7_129 Depth=2
                                        ; =>    This Inner Loop Header: Depth=3
	global_load_dword v13, v[9:10], off
	v_add_co_u32_e32 v9, vcc, 4, v9
	v_add_u32_e32 v8, 1, v8
	v_addc_co_u32_e32 v10, vcc, 0, v10, vcc
	v_cmp_ge_i32_e32 vcc, v8, v2
	s_or_b64 s[72:73], vcc, s[72:73]
	s_waitcnt vmcnt(0)
	global_store_dword v[11:12], v13, off
	v_add_co_u32_e32 v11, vcc, 4, v11
	v_addc_co_u32_e32 v12, vcc, 0, v12, vcc
	s_andn2_b64 exec, exec, s[72:73]
	s_cbranch_execnz .LBB7_135
	s_branch .LBB7_127
.LBB7_136:                              ;   in Loop: Header=BB7_5 Depth=1
	s_or_b64 exec, exec, s[28:29]
	s_mov_b64 s[84:85], -1
	s_and_b64 vcc, exec, s[64:65]
	s_mov_b64 s[28:29], -1
	s_cbranch_vccz .LBB7_146
; %bb.137:                              ;   in Loop: Header=BB7_5 Depth=1
	v_readlane_b32 s28, v37, 8
	v_readlane_b32 s29, v37, 9
	s_mov_b64 s[4:5], -1
	s_and_b64 vcc, exec, s[28:29]
                                        ; implicit-def: $sgpr70_sgpr71
	s_cbranch_vccz .LBB7_143
; %bb.138:                              ;   in Loop: Header=BB7_5 Depth=1
	v_readlane_b32 s28, v37, 4
	v_readlane_b32 s29, v37, 5
	s_and_b64 vcc, exec, s[28:29]
                                        ; implicit-def: $sgpr70_sgpr71
	s_cbranch_vccz .LBB7_140
; %bb.139:                              ;   in Loop: Header=BB7_5 Depth=1
	v_cmp_ge_f32_e64 s[70:71], s68, v19
	s_mov_b64 s[4:5], 0
.LBB7_140:                              ;   in Loop: Header=BB7_5 Depth=1
	s_andn2_b64 vcc, exec, s[4:5]
	s_cbranch_vccnz .LBB7_142
; %bb.141:                              ;   in Loop: Header=BB7_5 Depth=1
	v_cmp_ge_f32_e32 vcc, s68, v20
	s_andn2_b64 s[4:5], s[70:71], exec
	s_and_b64 s[28:29], vcc, exec
	s_or_b64 s[70:71], s[4:5], s[28:29]
.LBB7_142:                              ;   in Loop: Header=BB7_5 Depth=1
	s_mov_b64 s[4:5], 0
.LBB7_143:                              ;   in Loop: Header=BB7_5 Depth=1
	s_andn2_b64 vcc, exec, s[4:5]
	s_cbranch_vccnz .LBB7_145
; %bb.144:                              ;   in Loop: Header=BB7_5 Depth=1
	v_cmp_ge_f32_e32 vcc, s68, v20
	v_cmp_ge_f32_e64 s[28:29], s68, v19
	s_and_b64 s[4:5], vcc, s[28:29]
	s_andn2_b64 s[28:29], s[70:71], exec
	s_and_b64 s[4:5], s[4:5], exec
	s_or_b64 s[70:71], s[28:29], s[4:5]
.LBB7_145:                              ;   in Loop: Header=BB7_5 Depth=1
	s_xor_b64 s[28:29], s[70:71], -1
.LBB7_146:                              ;   in Loop: Header=BB7_5 Depth=1
	v_mov_b32_e32 v2, s33
	s_and_saveexec_b64 s[4:5], s[28:29]
	s_cbranch_execz .LBB7_4
; %bb.147:                              ;   in Loop: Header=BB7_5 Depth=1
	s_add_i32 s33, s33, 1
	s_cmp_eq_u32 s33, s63
	s_cselect_b64 s[28:29], -1, 0
	v_mov_b32_e32 v2, s63
	s_orn2_b64 s[84:85], s[28:29], exec
	s_branch .LBB7_4
.LBB7_148:
	s_or_b64 exec, exec, s[80:81]
	v_readlane_b32 s4, v37, 6
	v_readlane_b32 s5, v37, 7
	s_load_dwordx4 s[8:11], s[4:5], 0xb8
	v_readlane_b32 s2, v37, 0
	v_readlane_b32 s3, v37, 1
	s_or_b64 exec, exec, s[2:3]
	s_andn2_b64 vcc, exec, s[64:65]
	s_cbranch_vccnz .LBB7_2
.LBB7_149:
	s_movk_i32 s0, 0x200
	v_or_b32_e32 v1, 0x1000, v18
	v_cmp_gt_u32_e32 vcc, s0, v0
	ds_write_b32 v18, v2 offset:4096
	s_waitcnt vmcnt(0) lgkmcnt(0)
	s_barrier
	s_and_saveexec_b64 s[0:1], vcc
	s_cbranch_execz .LBB7_151
; %bb.150:
	ds_read2st64_b32 v[2:3], v1 offset1:8
	s_waitcnt lgkmcnt(0)
	v_max_i32_e32 v2, v2, v3
	ds_write_b32 v1, v2
.LBB7_151:
	s_or_b64 exec, exec, s[0:1]
	s_movk_i32 s0, 0x100
	v_cmp_gt_u32_e32 vcc, s0, v0
	s_waitcnt lgkmcnt(0)
	s_barrier
	s_and_saveexec_b64 s[0:1], vcc
	s_cbranch_execz .LBB7_153
; %bb.152:
	ds_read2st64_b32 v[2:3], v1 offset1:4
	s_waitcnt lgkmcnt(0)
	v_max_i32_e32 v2, v2, v3
	ds_write_b32 v1, v2
.LBB7_153:
	s_or_b64 exec, exec, s[0:1]
	s_movk_i32 s0, 0x80
	v_cmp_gt_u32_e32 vcc, s0, v0
	s_waitcnt lgkmcnt(0)
	s_barrier
	s_and_saveexec_b64 s[0:1], vcc
	s_cbranch_execz .LBB7_155
; %bb.154:
	ds_read2st64_b32 v[2:3], v1 offset1:2
	s_waitcnt lgkmcnt(0)
	v_max_i32_e32 v2, v2, v3
	ds_write_b32 v1, v2
.LBB7_155:
	s_or_b64 exec, exec, s[0:1]
	v_cmp_gt_u32_e32 vcc, 64, v0
	s_waitcnt lgkmcnt(0)
	s_barrier
	s_and_saveexec_b64 s[0:1], vcc
	s_cbranch_execz .LBB7_157
; %bb.156:
	ds_read2st64_b32 v[2:3], v1 offset1:1
	s_waitcnt lgkmcnt(0)
	v_max_i32_e32 v2, v2, v3
	ds_write_b32 v1, v2
.LBB7_157:
	s_or_b64 exec, exec, s[0:1]
	v_cmp_gt_u32_e32 vcc, 32, v0
	s_waitcnt lgkmcnt(0)
	s_barrier
	s_and_saveexec_b64 s[0:1], vcc
	s_cbranch_execz .LBB7_159
; %bb.158:
	ds_read2_b32 v[2:3], v1 offset1:32
	s_waitcnt lgkmcnt(0)
	v_max_i32_e32 v2, v2, v3
	ds_write_b32 v1, v2
.LBB7_159:
	s_or_b64 exec, exec, s[0:1]
	v_cmp_gt_u32_e32 vcc, 16, v0
	s_waitcnt lgkmcnt(0)
	s_barrier
	s_and_saveexec_b64 s[0:1], vcc
	s_cbranch_execz .LBB7_161
; %bb.160:
	ds_read2_b32 v[2:3], v1 offset1:16
	s_waitcnt lgkmcnt(0)
	v_max_i32_e32 v2, v2, v3
	ds_write_b32 v1, v2
.LBB7_161:
	;; [unrolled: 12-line block ×5, first 2 shown]
	s_or_b64 exec, exec, s[0:1]
	v_cmp_eq_u32_e32 vcc, 0, v0
	s_waitcnt lgkmcnt(0)
	s_barrier
	s_and_saveexec_b64 s[0:1], vcc
	s_cbranch_execz .LBB7_169
; %bb.168:
	v_mov_b32_e32 v3, 0
	ds_read_b64 v[1:2], v3 offset:4096
	s_waitcnt lgkmcnt(0)
	v_max_i32_e32 v1, v1, v2
	ds_write_b32 v3, v1 offset:4096
.LBB7_169:
	s_or_b64 exec, exec, s[0:1]
	s_waitcnt lgkmcnt(0)
	s_barrier
	s_and_saveexec_b64 s[0:1], vcc
	s_cbranch_execz .LBB7_172
; %bb.170:
	v_mbcnt_lo_u32_b32 v1, exec_lo, 0
	v_mbcnt_hi_u32_b32 v1, exec_hi, v1
	v_cmp_eq_u32_e32 vcc, 0, v1
	s_and_b64 exec, exec, vcc
	s_cbranch_execz .LBB7_172
; %bb.171:
	v_mov_b32_e32 v1, 0
	ds_read_b32 v2, v1 offset:4096
	s_load_dwordx2 s[2:3], s[4:5], 0x8
	s_waitcnt lgkmcnt(0)
	v_add_u32_e32 v2, 1, v2
	global_atomic_smax v1, v2, s[2:3]
.LBB7_172:
	s_or_b64 exec, exec, s[0:1]
	v_cmp_eq_u32_e32 vcc, 0, v0
	s_and_b64 s[0:1], vcc, s[34:35]
	s_and_saveexec_b64 s[2:3], s[0:1]
	s_cbranch_execz .LBB7_179
.LBB7_173:
	s_mov_b64 s[0:1], exec
	v_mov_b32_e32 v0, 0x7fc00000
.LBB7_174:                              ; =>This Inner Loop Header: Depth=1
	s_ff1_i32_b64 s4, s[0:1]
	v_readlane_b32 s6, v20, s4
	s_lshl_b64 s[4:5], 1, s4
	v_max_f32_e32 v0, v0, v0
	v_max_f32_e64 v1, s6, s6
	s_andn2_b64 s[0:1], s[0:1], s[4:5]
	s_cmp_lg_u64 s[0:1], 0
	v_max_f32_e32 v0, v0, v1
	s_cbranch_scc1 .LBB7_174
; %bb.175:
	v_mbcnt_lo_u32_b32 v1, exec_lo, 0
	v_mbcnt_hi_u32_b32 v1, exec_hi, v1
	v_cmp_eq_u32_e64 s[0:1], 0, v1
	s_and_saveexec_b64 s[4:5], s[0:1]
	s_xor_b64 s[4:5], exec, s[4:5]
	s_cbranch_execz .LBB7_179
; %bb.176:
	v_mov_b32_e32 v2, 0
	s_waitcnt lgkmcnt(0)
	global_load_dword v1, v2, s[8:9]
	s_mov_b64 s[4:5], 0
	v_max_f32_e32 v3, v0, v0
.LBB7_177:                              ; =>This Inner Loop Header: Depth=1
	s_waitcnt vmcnt(0)
	v_max_f32_e32 v0, v1, v1
	v_max_f32_e32 v0, v0, v3
	global_atomic_cmpswap v0, v2, v[0:1], s[8:9] glc
	s_waitcnt vmcnt(0)
	v_cmp_eq_u32_e64 s[0:1], v0, v1
	s_or_b64 s[4:5], s[0:1], s[4:5]
	v_mov_b32_e32 v1, v0
	s_andn2_b64 exec, exec, s[4:5]
	s_cbranch_execnz .LBB7_177
; %bb.178:
	s_or_b64 exec, exec, s[4:5]
.LBB7_179:
	s_or_b64 exec, exec, s[2:3]
	s_and_b64 s[0:1], vcc, s[30:31]
	s_and_saveexec_b64 s[2:3], s[0:1]
	s_cbranch_execz .LBB7_185
; %bb.180:
	s_mov_b64 s[0:1], exec
	v_mov_b32_e32 v0, 0x7fc00000
.LBB7_181:                              ; =>This Inner Loop Header: Depth=1
	s_ff1_i32_b64 s2, s[0:1]
	v_readlane_b32 s4, v19, s2
	s_lshl_b64 s[2:3], 1, s2
	v_max_f32_e32 v0, v0, v0
	v_max_f32_e64 v1, s4, s4
	s_andn2_b64 s[0:1], s[0:1], s[2:3]
	s_cmp_lg_u64 s[0:1], 0
	v_max_f32_e32 v0, v0, v1
	s_cbranch_scc1 .LBB7_181
; %bb.182:
	v_mbcnt_lo_u32_b32 v1, exec_lo, 0
	v_mbcnt_hi_u32_b32 v1, exec_hi, v1
	v_cmp_eq_u32_e32 vcc, 0, v1
	s_and_saveexec_b64 s[0:1], vcc
	s_xor_b64 s[0:1], exec, s[0:1]
	s_cbranch_execz .LBB7_185
; %bb.183:
	v_mov_b32_e32 v2, 0
	s_waitcnt lgkmcnt(0)
	global_load_dword v1, v2, s[10:11]
	s_mov_b64 s[0:1], 0
	v_max_f32_e32 v3, v0, v0
.LBB7_184:                              ; =>This Inner Loop Header: Depth=1
	s_waitcnt vmcnt(0)
	v_max_f32_e32 v0, v1, v1
	v_max_f32_e32 v0, v0, v3
	global_atomic_cmpswap v0, v2, v[0:1], s[10:11] glc
	s_waitcnt vmcnt(0)
	v_cmp_eq_u32_e32 vcc, v0, v1
	s_or_b64 s[0:1], vcc, s[0:1]
	v_mov_b32_e32 v1, v0
	s_andn2_b64 exec, exec, s[0:1]
	s_cbranch_execnz .LBB7_184
.LBB7_185:
	s_endpgm
	.section	.rodata,"a",@progbits
	.p2align	6, 0x0
	.amdhsa_kernel _ZN9rocsparseL6kernelILi1024ELi1EfiiEEvbbbT3_PS1_NS_15floating_traitsIT1_E6data_tES1_T2_PKS7_S9_PKS1_PKS4_21rocsparse_index_base_S9_S9_SB_PS4_SF_SE_S9_S9_SB_SF_SF_SE_SF_SF_PS6_SG_PKS6_
		.amdhsa_group_segment_fixed_size 8192
		.amdhsa_private_segment_fixed_size 0
		.amdhsa_kernarg_size 208
		.amdhsa_user_sgpr_count 6
		.amdhsa_user_sgpr_private_segment_buffer 1
		.amdhsa_user_sgpr_dispatch_ptr 0
		.amdhsa_user_sgpr_queue_ptr 0
		.amdhsa_user_sgpr_kernarg_segment_ptr 1
		.amdhsa_user_sgpr_dispatch_id 0
		.amdhsa_user_sgpr_flat_scratch_init 0
		.amdhsa_user_sgpr_private_segment_size 0
		.amdhsa_uses_dynamic_stack 0
		.amdhsa_system_sgpr_private_segment_wavefront_offset 0
		.amdhsa_system_sgpr_workgroup_id_x 1
		.amdhsa_system_sgpr_workgroup_id_y 0
		.amdhsa_system_sgpr_workgroup_id_z 0
		.amdhsa_system_sgpr_workgroup_info 0
		.amdhsa_system_vgpr_workitem_id 0
		.amdhsa_next_free_vgpr 38
		.amdhsa_next_free_sgpr 96
		.amdhsa_reserve_vcc 1
		.amdhsa_reserve_flat_scratch 0
		.amdhsa_float_round_mode_32 0
		.amdhsa_float_round_mode_16_64 0
		.amdhsa_float_denorm_mode_32 3
		.amdhsa_float_denorm_mode_16_64 3
		.amdhsa_dx10_clamp 1
		.amdhsa_ieee_mode 1
		.amdhsa_fp16_overflow 0
		.amdhsa_exception_fp_ieee_invalid_op 0
		.amdhsa_exception_fp_denorm_src 0
		.amdhsa_exception_fp_ieee_div_zero 0
		.amdhsa_exception_fp_ieee_overflow 0
		.amdhsa_exception_fp_ieee_underflow 0
		.amdhsa_exception_fp_ieee_inexact 0
		.amdhsa_exception_int_div_zero 0
	.end_amdhsa_kernel
	.section	.text._ZN9rocsparseL6kernelILi1024ELi1EfiiEEvbbbT3_PS1_NS_15floating_traitsIT1_E6data_tES1_T2_PKS7_S9_PKS1_PKS4_21rocsparse_index_base_S9_S9_SB_PS4_SF_SE_S9_S9_SB_SF_SF_SE_SF_SF_PS6_SG_PKS6_,"axG",@progbits,_ZN9rocsparseL6kernelILi1024ELi1EfiiEEvbbbT3_PS1_NS_15floating_traitsIT1_E6data_tES1_T2_PKS7_S9_PKS1_PKS4_21rocsparse_index_base_S9_S9_SB_PS4_SF_SE_S9_S9_SB_SF_SF_SE_SF_SF_PS6_SG_PKS6_,comdat
.Lfunc_end7:
	.size	_ZN9rocsparseL6kernelILi1024ELi1EfiiEEvbbbT3_PS1_NS_15floating_traitsIT1_E6data_tES1_T2_PKS7_S9_PKS1_PKS4_21rocsparse_index_base_S9_S9_SB_PS4_SF_SE_S9_S9_SB_SF_SF_SE_SF_SF_PS6_SG_PKS6_, .Lfunc_end7-_ZN9rocsparseL6kernelILi1024ELi1EfiiEEvbbbT3_PS1_NS_15floating_traitsIT1_E6data_tES1_T2_PKS7_S9_PKS1_PKS4_21rocsparse_index_base_S9_S9_SB_PS4_SF_SE_S9_S9_SB_SF_SF_SE_SF_SF_PS6_SG_PKS6_
                                        ; -- End function
	.set _ZN9rocsparseL6kernelILi1024ELi1EfiiEEvbbbT3_PS1_NS_15floating_traitsIT1_E6data_tES1_T2_PKS7_S9_PKS1_PKS4_21rocsparse_index_base_S9_S9_SB_PS4_SF_SE_S9_S9_SB_SF_SF_SE_SF_SF_PS6_SG_PKS6_.num_vgpr, 38
	.set _ZN9rocsparseL6kernelILi1024ELi1EfiiEEvbbbT3_PS1_NS_15floating_traitsIT1_E6data_tES1_T2_PKS7_S9_PKS1_PKS4_21rocsparse_index_base_S9_S9_SB_PS4_SF_SE_S9_S9_SB_SF_SF_SE_SF_SF_PS6_SG_PKS6_.num_agpr, 0
	.set _ZN9rocsparseL6kernelILi1024ELi1EfiiEEvbbbT3_PS1_NS_15floating_traitsIT1_E6data_tES1_T2_PKS7_S9_PKS1_PKS4_21rocsparse_index_base_S9_S9_SB_PS4_SF_SE_S9_S9_SB_SF_SF_SE_SF_SF_PS6_SG_PKS6_.numbered_sgpr, 96
	.set _ZN9rocsparseL6kernelILi1024ELi1EfiiEEvbbbT3_PS1_NS_15floating_traitsIT1_E6data_tES1_T2_PKS7_S9_PKS1_PKS4_21rocsparse_index_base_S9_S9_SB_PS4_SF_SE_S9_S9_SB_SF_SF_SE_SF_SF_PS6_SG_PKS6_.num_named_barrier, 0
	.set _ZN9rocsparseL6kernelILi1024ELi1EfiiEEvbbbT3_PS1_NS_15floating_traitsIT1_E6data_tES1_T2_PKS7_S9_PKS1_PKS4_21rocsparse_index_base_S9_S9_SB_PS4_SF_SE_S9_S9_SB_SF_SF_SE_SF_SF_PS6_SG_PKS6_.private_seg_size, 0
	.set _ZN9rocsparseL6kernelILi1024ELi1EfiiEEvbbbT3_PS1_NS_15floating_traitsIT1_E6data_tES1_T2_PKS7_S9_PKS1_PKS4_21rocsparse_index_base_S9_S9_SB_PS4_SF_SE_S9_S9_SB_SF_SF_SE_SF_SF_PS6_SG_PKS6_.uses_vcc, 1
	.set _ZN9rocsparseL6kernelILi1024ELi1EfiiEEvbbbT3_PS1_NS_15floating_traitsIT1_E6data_tES1_T2_PKS7_S9_PKS1_PKS4_21rocsparse_index_base_S9_S9_SB_PS4_SF_SE_S9_S9_SB_SF_SF_SE_SF_SF_PS6_SG_PKS6_.uses_flat_scratch, 0
	.set _ZN9rocsparseL6kernelILi1024ELi1EfiiEEvbbbT3_PS1_NS_15floating_traitsIT1_E6data_tES1_T2_PKS7_S9_PKS1_PKS4_21rocsparse_index_base_S9_S9_SB_PS4_SF_SE_S9_S9_SB_SF_SF_SE_SF_SF_PS6_SG_PKS6_.has_dyn_sized_stack, 0
	.set _ZN9rocsparseL6kernelILi1024ELi1EfiiEEvbbbT3_PS1_NS_15floating_traitsIT1_E6data_tES1_T2_PKS7_S9_PKS1_PKS4_21rocsparse_index_base_S9_S9_SB_PS4_SF_SE_S9_S9_SB_SF_SF_SE_SF_SF_PS6_SG_PKS6_.has_recursion, 0
	.set _ZN9rocsparseL6kernelILi1024ELi1EfiiEEvbbbT3_PS1_NS_15floating_traitsIT1_E6data_tES1_T2_PKS7_S9_PKS1_PKS4_21rocsparse_index_base_S9_S9_SB_PS4_SF_SE_S9_S9_SB_SF_SF_SE_SF_SF_PS6_SG_PKS6_.has_indirect_call, 0
	.section	.AMDGPU.csdata,"",@progbits
; Kernel info:
; codeLenInByte = 5464
; TotalNumSgprs: 100
; NumVgprs: 38
; ScratchSize: 0
; MemoryBound: 0
; FloatMode: 240
; IeeeMode: 1
; LDSByteSize: 8192 bytes/workgroup (compile time only)
; SGPRBlocks: 12
; VGPRBlocks: 9
; NumSGPRsForWavesPerEU: 100
; NumVGPRsForWavesPerEU: 38
; Occupancy: 6
; WaveLimiterHint : 1
; COMPUTE_PGM_RSRC2:SCRATCH_EN: 0
; COMPUTE_PGM_RSRC2:USER_SGPR: 6
; COMPUTE_PGM_RSRC2:TRAP_HANDLER: 0
; COMPUTE_PGM_RSRC2:TGID_X_EN: 1
; COMPUTE_PGM_RSRC2:TGID_Y_EN: 0
; COMPUTE_PGM_RSRC2:TGID_Z_EN: 0
; COMPUTE_PGM_RSRC2:TIDIG_COMP_CNT: 0
	.section	.text._ZN9rocsparseL6kernelILi1024ELi2EfiiEEvbbbT3_PS1_NS_15floating_traitsIT1_E6data_tES1_T2_PKS7_S9_PKS1_PKS4_21rocsparse_index_base_S9_S9_SB_PS4_SF_SE_S9_S9_SB_SF_SF_SE_SF_SF_PS6_SG_PKS6_,"axG",@progbits,_ZN9rocsparseL6kernelILi1024ELi2EfiiEEvbbbT3_PS1_NS_15floating_traitsIT1_E6data_tES1_T2_PKS7_S9_PKS1_PKS4_21rocsparse_index_base_S9_S9_SB_PS4_SF_SE_S9_S9_SB_SF_SF_SE_SF_SF_PS6_SG_PKS6_,comdat
	.globl	_ZN9rocsparseL6kernelILi1024ELi2EfiiEEvbbbT3_PS1_NS_15floating_traitsIT1_E6data_tES1_T2_PKS7_S9_PKS1_PKS4_21rocsparse_index_base_S9_S9_SB_PS4_SF_SE_S9_S9_SB_SF_SF_SE_SF_SF_PS6_SG_PKS6_ ; -- Begin function _ZN9rocsparseL6kernelILi1024ELi2EfiiEEvbbbT3_PS1_NS_15floating_traitsIT1_E6data_tES1_T2_PKS7_S9_PKS1_PKS4_21rocsparse_index_base_S9_S9_SB_PS4_SF_SE_S9_S9_SB_SF_SF_SE_SF_SF_PS6_SG_PKS6_
	.p2align	8
	.type	_ZN9rocsparseL6kernelILi1024ELi2EfiiEEvbbbT3_PS1_NS_15floating_traitsIT1_E6data_tES1_T2_PKS7_S9_PKS1_PKS4_21rocsparse_index_base_S9_S9_SB_PS4_SF_SE_S9_S9_SB_SF_SF_SE_SF_SF_PS6_SG_PKS6_,@function
_ZN9rocsparseL6kernelILi1024ELi2EfiiEEvbbbT3_PS1_NS_15floating_traitsIT1_E6data_tES1_T2_PKS7_S9_PKS1_PKS4_21rocsparse_index_base_S9_S9_SB_PS4_SF_SE_S9_S9_SB_SF_SF_SE_SF_SF_PS6_SG_PKS6_: ; @_ZN9rocsparseL6kernelILi1024ELi2EfiiEEvbbbT3_PS1_NS_15floating_traitsIT1_E6data_tES1_T2_PKS7_S9_PKS1_PKS4_21rocsparse_index_base_S9_S9_SB_PS4_SF_SE_S9_S9_SB_SF_SF_SE_SF_SF_PS6_SG_PKS6_
; %bb.0:
	s_load_dword s0, s[4:5], 0x0
	s_load_dwordx2 s[10:11], s[4:5], 0x0
	s_load_dwordx2 s[72:73], s[4:5], 0x10
	s_load_dwordx4 s[12:15], s[4:5], 0xb8
	v_lshrrev_b32_e32 v21, 1, v0
	s_waitcnt lgkmcnt(0)
	s_bitcmp1_b32 s0, 0
	s_cselect_b64 s[68:69], -1, 0
	s_bitcmp1_b32 s0, 8
	s_cselect_b64 s[34:35], -1, 0
	;; [unrolled: 2-line block ×3, first 2 shown]
	s_lshl_b32 s9, s6, 10
	v_or_b32_e32 v23, s9, v21
	s_cmp_gt_i32 s11, 0
	v_cmp_gt_i32_e32 vcc, s73, v23
	s_cselect_b64 s[0:1], -1, 0
	v_and_b32_e32 v22, 1, v0
	v_lshlrev_b32_e32 v19, 2, v0
	s_mov_b32 s33, 0
	v_mov_b32_e32 v20, 0
	s_and_b64 s[0:1], s[0:1], vcc
	v_mov_b32_e32 v24, 0
	v_mov_b32_e32 v1, 0
	ds_write_b32 v19, v20
	s_waitcnt lgkmcnt(0)
	s_barrier
	s_and_saveexec_b64 s[2:3], s[0:1]
	s_cbranch_execnz .LBB8_3
; %bb.1:
	s_or_b64 exec, exec, s[2:3]
	s_andn2_b64 vcc, exec, s[68:69]
	s_cbranch_vccz .LBB8_154
.LBB8_2:
	v_cmp_eq_u32_e32 vcc, 0, v0
	s_and_b64 s[0:1], vcc, s[34:35]
	s_and_saveexec_b64 s[2:3], s[0:1]
	s_cbranch_execnz .LBB8_178
	s_branch .LBB8_184
.LBB8_3:
	s_load_dwordx2 s[0:1], s[4:5], 0xc8
                                        ; implicit-def: $vgpr43 : SGPR spill to VGPR lane
	s_load_dwordx4 s[64:67], s[4:5], 0xa8
	s_load_dwordx8 s[36:43], s[4:5], 0x78
	s_load_dwordx8 s[44:51], s[4:5], 0x48
	;; [unrolled: 1-line block ×3, first 2 shown]
	v_writelane_b32 v43, s2, 0
	v_writelane_b32 v43, s3, 1
	s_load_dword s6, s[4:5], 0x40
	s_load_dwordx2 s[80:81], s[4:5], 0x68
	s_load_dword s7, s[4:5], 0x70
	s_load_dwordx2 s[82:83], s[4:5], 0x98
	s_waitcnt lgkmcnt(0)
	v_writelane_b32 v43, s0, 2
	v_writelane_b32 v43, s1, 3
	s_xor_b64 s[0:1], s[34:35], -1
	v_writelane_b32 v43, s0, 4
	v_writelane_b32 v43, s1, 5
	;; [unrolled: 1-line block ×3, first 2 shown]
	s_addk_i32 s9, 0x400
	v_writelane_b32 v43, s5, 7
	v_cmp_gt_u32_e64 s[0:1], s9, v23
	v_writelane_b32 v43, s0, 8
	v_writelane_b32 v43, s1, 9
	v_cmp_ne_u32_e64 s[0:1], 0, v22
	v_writelane_b32 v43, s0, 10
	v_writelane_b32 v43, s1, 11
	s_movk_i32 s0, 0x100
	v_cmp_gt_u32_e64 s[0:1], s0, v0
	v_writelane_b32 v43, s0, 12
	s_load_dword s8, s[4:5], 0xa0
	v_writelane_b32 v43, s1, 13
	s_movk_i32 s0, 0x80
	v_cmp_gt_u32_e64 s[0:1], s0, v0
	v_writelane_b32 v43, s0, 14
	v_writelane_b32 v43, s1, 15
	s_and_b64 s[0:1], s[34:35], s[30:31]
	s_xor_b64 s[0:1], s[0:1], -1
	v_subrev_u32_e32 v25, s6, v22
	v_cmp_eq_u32_e64 s[2:3], 0, v22
	v_lshlrev_b32_e32 v26, 2, v21
	v_cmp_gt_u32_e64 s[12:13], 64, v0
	v_cmp_gt_u32_e64 s[14:15], 32, v0
	;; [unrolled: 1-line block ×6, first 2 shown]
	v_cmp_eq_u32_e64 s[24:25], 0, v0
	v_subrev_u32_e32 v27, s7, v22
	s_waitcnt lgkmcnt(0)
	v_subrev_u32_e32 v28, s8, v22
	v_writelane_b32 v43, s0, 16
	v_mov_b32_e32 v2, 0
	s_mov_b64 s[86:87], 0
	s_movk_i32 s10, 0x1f8
	v_mov_b32_e32 v24, 0
	v_mov_b32_e32 v20, 0
	v_writelane_b32 v43, s1, 17
	s_branch .LBB8_5
.LBB8_4:                                ;   in Loop: Header=BB8_5 Depth=1
	s_or_b64 exec, exec, s[0:1]
	s_and_b64 s[0:1], exec, s[28:29]
	s_or_b64 s[86:87], s[0:1], s[86:87]
	s_andn2_b64 exec, exec, s[86:87]
	s_cbranch_execz .LBB8_153
.LBB8_5:                                ; =>This Loop Header: Depth=1
                                        ;     Child Loop BB8_9 Depth 2
                                        ;       Child Loop BB8_14 Depth 3
                                        ;         Child Loop BB8_18 Depth 4
                                        ;         Child Loop BB8_39 Depth 4
	;; [unrolled: 1-line block ×5, first 2 shown]
                                        ;     Child Loop BB8_132 Depth 2
                                        ;       Child Loop BB8_135 Depth 3
                                        ;       Child Loop BB8_138 Depth 3
	v_cndmask_b32_e64 v24, v24, 0, s[34:35]
	v_cndmask_b32_e64 v20, v20, 0, s[30:31]
	s_mov_b32 s0, 0
	s_mov_b64 s[88:89], -1
	s_branch .LBB8_9
.LBB8_6:                                ;   in Loop: Header=BB8_9 Depth=2
	s_or_b64 exec, exec, s[94:95]
.LBB8_7:                                ;   in Loop: Header=BB8_9 Depth=2
	s_or_b64 exec, exec, s[92:93]
.LBB8_8:                                ;   in Loop: Header=BB8_9 Depth=2
	s_or_b64 exec, exec, s[90:91]
	s_xor_b64 s[4:5], s[88:89], -1
	s_movk_i32 s0, 0x200
	s_mov_b64 s[88:89], 0
	s_and_b64 vcc, exec, s[4:5]
	s_cbranch_vccnz .LBB8_85
.LBB8_9:                                ;   Parent Loop BB8_5 Depth=1
                                        ; =>  This Loop Header: Depth=2
                                        ;       Child Loop BB8_14 Depth 3
                                        ;         Child Loop BB8_18 Depth 4
                                        ;         Child Loop BB8_39 Depth 4
	;; [unrolled: 1-line block ×5, first 2 shown]
	v_or_b32_e32 v3, s0, v23
	v_cmp_gt_i32_e32 vcc, s73, v3
	s_and_saveexec_b64 s[90:91], vcc
	s_cbranch_execz .LBB8_8
; %bb.10:                               ;   in Loop: Header=BB8_9 Depth=2
	v_ashrrev_i32_e32 v4, 31, v3
	v_lshlrev_b64 v[5:6], 2, v[3:4]
	v_mov_b32_e32 v1, s53
	v_add_co_u32_e32 v7, vcc, s52, v5
	v_addc_co_u32_e32 v8, vcc, v1, v6, vcc
	global_load_dword v1, v[7:8], off
	v_mov_b32_e32 v4, s55
	v_add_co_u32_e32 v7, vcc, s54, v5
	v_addc_co_u32_e32 v8, vcc, v4, v6, vcc
	global_load_dword v7, v[7:8], off
	s_waitcnt vmcnt(1)
	v_add_u32_e32 v4, v25, v1
	s_waitcnt vmcnt(0)
	v_subrev_u32_e32 v29, s6, v7
	v_cmp_lt_i32_e32 vcc, v4, v29
	s_and_saveexec_b64 s[92:93], vcc
	s_cbranch_execz .LBB8_7
; %bb.11:                               ;   in Loop: Header=BB8_9 Depth=2
	v_mov_b32_e32 v1, s47
	v_add_co_u32_e32 v7, vcc, s46, v5
	v_addc_co_u32_e32 v8, vcc, v1, v6, vcc
	v_mov_b32_e32 v1, s45
	v_add_co_u32_e32 v5, vcc, s44, v5
	v_addc_co_u32_e32 v6, vcc, v1, v6, vcc
	global_load_dword v1, v[5:6], off
	s_nop 0
	global_load_dword v5, v[7:8], off
	v_mov_b32_e32 v9, s49
	v_mov_b32_e32 v10, s51
	s_mov_b64 s[94:95], 0
	s_waitcnt vmcnt(1)
	v_subrev_u32_e32 v6, s7, v1
	v_ashrrev_i32_e32 v7, 31, v6
	v_lshlrev_b64 v[7:8], 2, v[6:7]
	s_waitcnt vmcnt(0)
	v_sub_u32_e32 v30, v5, v1
	v_add_co_u32_e32 v31, vcc, s48, v7
	v_addc_co_u32_e32 v32, vcc, v9, v8, vcc
	v_add_co_u32_e32 v33, vcc, s50, v7
	v_cmp_lt_i32_e64 s[26:27], 0, v30
	v_addc_co_u32_e32 v34, vcc, v10, v8, vcc
	s_branch .LBB8_14
.LBB8_12:                               ;   in Loop: Header=BB8_14 Depth=3
	s_or_b64 exec, exec, s[0:1]
.LBB8_13:                               ;   in Loop: Header=BB8_14 Depth=3
	s_or_b64 exec, exec, s[28:29]
	v_add_u32_e32 v4, 2, v4
	v_cmp_ge_i32_e32 vcc, v4, v29
	s_or_b64 s[94:95], vcc, s[94:95]
	s_andn2_b64 exec, exec, s[94:95]
	s_cbranch_execz .LBB8_6
.LBB8_14:                               ;   Parent Loop BB8_5 Depth=1
                                        ;     Parent Loop BB8_9 Depth=2
                                        ; =>    This Loop Header: Depth=3
                                        ;         Child Loop BB8_18 Depth 4
                                        ;         Child Loop BB8_39 Depth 4
	;; [unrolled: 1-line block ×5, first 2 shown]
	v_ashrrev_i32_e32 v5, 31, v4
	v_lshlrev_b64 v[13:14], 2, v[4:5]
	v_mov_b32_e32 v1, s57
	v_add_co_u32_e32 v7, vcc, s56, v13
	v_addc_co_u32_e32 v8, vcc, v1, v14, vcc
	global_load_dword v1, v[7:8], off
	v_mov_b32_e32 v5, s37
	v_mov_b32_e32 v12, s39
	s_waitcnt vmcnt(0)
	v_subrev_u32_e32 v9, s6, v1
	v_ashrrev_i32_e32 v10, 31, v9
	v_lshlrev_b64 v[7:8], 2, v[9:10]
	v_add_co_u32_e32 v10, vcc, s36, v7
	v_addc_co_u32_e32 v11, vcc, v5, v8, vcc
	v_add_co_u32_e32 v15, vcc, s38, v7
	v_addc_co_u32_e32 v16, vcc, v12, v8, vcc
	global_load_dword v1, v[10:11], off
	global_load_dword v12, v[15:16], off
	v_mov_b32_e32 v11, 0
	v_mov_b32_e32 v5, 0
	s_waitcnt vmcnt(1)
	v_subrev_u32_e32 v10, s8, v1
	s_waitcnt vmcnt(0)
	v_sub_u32_e32 v35, v12, v1
	v_mov_b32_e32 v1, v11
	s_and_saveexec_b64 s[28:29], s[26:27]
	s_cbranch_execz .LBB8_22
; %bb.15:                               ;   in Loop: Header=BB8_14 Depth=3
	v_ashrrev_i32_e32 v11, 31, v10
	v_lshlrev_b64 v[11:12], 2, v[10:11]
	v_mov_b32_e32 v1, s41
	v_add_co_u32_e32 v36, vcc, s40, v11
	v_addc_co_u32_e32 v37, vcc, v1, v12, vcc
	v_mov_b32_e32 v1, s43
	v_add_co_u32_e32 v38, vcc, s42, v11
	v_addc_co_u32_e32 v39, vcc, v1, v12, vcc
	v_mov_b32_e32 v1, 0
	v_mov_b32_e32 v5, 0
	s_mov_b64 s[74:75], 0
	v_mov_b32_e32 v11, v1
                                        ; implicit-def: $sgpr76_sgpr77
	s_branch .LBB8_18
.LBB8_16:                               ;   in Loop: Header=BB8_18 Depth=4
	s_or_b64 exec, exec, s[60:61]
	v_cmp_le_i32_e32 vcc, v12, v40
	v_addc_co_u32_e32 v1, vcc, 0, v1, vcc
	v_cmp_ge_i32_e32 vcc, v12, v40
	v_addc_co_u32_e32 v11, vcc, 0, v11, vcc
	v_cmp_ge_i32_e32 vcc, v1, v30
	s_andn2_b64 s[0:1], s[76:77], exec
	s_and_b64 s[60:61], vcc, exec
	s_or_b64 s[76:77], s[0:1], s[60:61]
.LBB8_17:                               ;   in Loop: Header=BB8_18 Depth=4
	s_or_b64 exec, exec, s[4:5]
	s_and_b64 s[0:1], exec, s[76:77]
	s_or_b64 s[74:75], s[0:1], s[74:75]
	s_andn2_b64 exec, exec, s[74:75]
	s_cbranch_execz .LBB8_21
.LBB8_18:                               ;   Parent Loop BB8_5 Depth=1
                                        ;     Parent Loop BB8_9 Depth=2
                                        ;       Parent Loop BB8_14 Depth=3
                                        ; =>      This Inner Loop Header: Depth=4
	v_cmp_lt_i32_e32 vcc, v11, v35
	s_or_b64 s[76:77], s[76:77], exec
	s_and_saveexec_b64 s[4:5], vcc
	s_cbranch_execz .LBB8_17
; %bb.19:                               ;   in Loop: Header=BB8_18 Depth=4
	v_lshlrev_b64 v[15:16], 2, v[1:2]
	v_mov_b32_e32 v12, v2
	v_add_co_u32_e32 v17, vcc, v31, v15
	v_addc_co_u32_e32 v18, vcc, v32, v16, vcc
	global_load_dword v42, v[17:18], off
	v_lshlrev_b64 v[17:18], 2, v[11:12]
	v_add_co_u32_e32 v40, vcc, v36, v17
	v_addc_co_u32_e32 v41, vcc, v37, v18, vcc
	global_load_dword v40, v[40:41], off
	s_waitcnt vmcnt(1)
	v_subrev_u32_e32 v12, s7, v42
	s_waitcnt vmcnt(0)
	v_subrev_u32_e32 v40, s8, v40
	v_cmp_eq_u32_e32 vcc, v12, v40
	s_and_saveexec_b64 s[60:61], vcc
	s_cbranch_execz .LBB8_16
; %bb.20:                               ;   in Loop: Header=BB8_18 Depth=4
	v_add_co_u32_e32 v15, vcc, v33, v15
	v_addc_co_u32_e32 v16, vcc, v34, v16, vcc
	v_add_co_u32_e32 v17, vcc, v38, v17
	v_addc_co_u32_e32 v18, vcc, v39, v18, vcc
	global_load_dword v15, v[15:16], off
	s_nop 0
	global_load_dword v16, v[17:18], off
	s_waitcnt vmcnt(0)
	v_fmac_f32_e32 v5, v15, v16
	s_branch .LBB8_16
.LBB8_21:                               ;   in Loop: Header=BB8_14 Depth=3
	s_or_b64 exec, exec, s[74:75]
.LBB8_22:                               ;   in Loop: Header=BB8_14 Depth=3
	s_or_b64 exec, exec, s[28:29]
	v_mov_b32_e32 v15, s59
	v_add_co_u32_e32 v12, vcc, s58, v13
	v_addc_co_u32_e32 v13, vcc, v15, v14, vcc
	global_load_dword v14, v[12:13], off
	v_cmp_le_i32_e64 s[28:29], v3, v9
	v_cmp_gt_i32_e32 vcc, v3, v9
	s_waitcnt vmcnt(0)
	v_sub_f32_e32 v15, v14, v5
	s_and_saveexec_b64 s[4:5], vcc
	s_cbranch_execnz .LBB8_25
; %bb.23:                               ;   in Loop: Header=BB8_14 Depth=3
	s_or_b64 exec, exec, s[4:5]
	v_cmp_class_f32_e64 s[74:75], v15, s10
	s_and_saveexec_b64 s[78:79], s[74:75]
	s_cbranch_execnz .LBB8_28
.LBB8_24:                               ;   in Loop: Header=BB8_14 Depth=3
	s_or_b64 exec, exec, s[78:79]
	s_and_b64 s[0:1], s[30:31], s[74:75]
	s_and_saveexec_b64 s[28:29], s[0:1]
	s_cbranch_execz .LBB8_13
	s_branch .LBB8_63
.LBB8_25:                               ;   in Loop: Header=BB8_14 Depth=3
	v_mov_b32_e32 v13, s65
	v_add_co_u32_e32 v12, vcc, s64, v7
	v_addc_co_u32_e32 v13, vcc, v13, v8, vcc
	global_load_dword v12, v[12:13], off
	v_mov_b32_e32 v13, 0
	s_waitcnt vmcnt(0)
	v_cmp_lg_f32_e32 vcc, 0, v12
	s_and_saveexec_b64 s[60:61], vcc
	s_cbranch_execz .LBB8_27
; %bb.26:                               ;   in Loop: Header=BB8_14 Depth=3
	v_div_scale_f32 v13, s[0:1], v12, v12, v15
	v_div_scale_f32 v16, vcc, v15, v12, v15
	v_rcp_f32_e32 v17, v13
	v_fma_f32 v18, -v13, v17, 1.0
	v_fmac_f32_e32 v17, v18, v17
	v_mul_f32_e32 v18, v16, v17
	v_fma_f32 v36, -v13, v18, v16
	v_fmac_f32_e32 v18, v36, v17
	v_fma_f32 v13, -v13, v18, v16
	v_div_fmas_f32 v13, v13, v17, v18
	v_div_fixup_f32 v13, v13, v12, v15
.LBB8_27:                               ;   in Loop: Header=BB8_14 Depth=3
	s_or_b64 exec, exec, s[60:61]
	v_mov_b32_e32 v15, v13
	s_or_b64 exec, exec, s[4:5]
	v_cmp_class_f32_e64 s[74:75], v15, s10
	s_and_saveexec_b64 s[78:79], s[74:75]
	s_cbranch_execz .LBB8_24
.LBB8_28:                               ;   in Loop: Header=BB8_14 Depth=3
	s_and_saveexec_b64 s[0:1], s[28:29]
	s_xor_b64 s[28:29], exec, s[0:1]
	s_cbranch_execz .LBB8_49
; %bb.29:                               ;   in Loop: Header=BB8_14 Depth=3
	v_cmp_ge_i32_e32 vcc, v3, v9
	s_and_saveexec_b64 s[0:1], vcc
	s_xor_b64 s[4:5], exec, s[0:1]
	s_cbranch_execz .LBB8_35
; %bb.30:                               ;   in Loop: Header=BB8_14 Depth=3
	v_mov_b32_e32 v13, s67
	v_add_co_u32_e32 v12, vcc, s66, v7
	v_addc_co_u32_e32 v13, vcc, v13, v8, vcc
	s_andn2_b64 vcc, exec, s[34:35]
	global_store_dword v[12:13], v15, off
	s_cbranch_vccnz .LBB8_34
; %bb.31:                               ;   in Loop: Header=BB8_14 Depth=3
	v_mov_b32_e32 v13, s65
	v_add_co_u32_e32 v12, vcc, s64, v7
	v_addc_co_u32_e32 v13, vcc, v13, v8, vcc
	global_load_dword v12, v[12:13], off
	s_waitcnt vmcnt(0)
	v_sub_f32_e32 v12, v12, v15
	v_cmp_class_f32_e64 s[60:61], v12, s10
	s_and_saveexec_b64 s[0:1], s[60:61]
; %bb.32:                               ;   in Loop: Header=BB8_14 Depth=3
	v_cmp_lt_f32_e64 s[60:61], v24, |v12|
	v_cndmask_b32_e64 v24, v24, |v12|, s[60:61]
; %bb.33:                               ;   in Loop: Header=BB8_14 Depth=3
	s_or_b64 exec, exec, s[0:1]
.LBB8_34:                               ;   in Loop: Header=BB8_14 Depth=3
                                        ; implicit-def: $vgpr15
.LBB8_35:                               ;   in Loop: Header=BB8_14 Depth=3
	s_andn2_saveexec_b64 s[76:77], s[4:5]
	s_cbranch_execz .LBB8_48
; %bb.36:                               ;   in Loop: Header=BB8_14 Depth=3
	v_cmp_lt_i32_e32 vcc, v11, v35
	s_and_saveexec_b64 s[84:85], vcc
	s_cbranch_execz .LBB8_47
; %bb.37:                               ;   in Loop: Header=BB8_14 Depth=3
	s_mov_b64 s[70:71], 0
	v_mov_b32_e32 v16, v11
                                        ; implicit-def: $sgpr4_sgpr5
                                        ; implicit-def: $sgpr62_sgpr63
                                        ; implicit-def: $sgpr60_sgpr61
	s_branch .LBB8_39
.LBB8_38:                               ;   in Loop: Header=BB8_39 Depth=4
	s_or_b64 exec, exec, s[0:1]
	s_and_b64 s[0:1], exec, s[62:63]
	s_or_b64 s[70:71], s[0:1], s[70:71]
	s_andn2_b64 s[0:1], s[4:5], exec
	s_and_b64 s[4:5], s[60:61], exec
	s_or_b64 s[4:5], s[0:1], s[4:5]
	s_andn2_b64 exec, exec, s[70:71]
	s_cbranch_execz .LBB8_41
.LBB8_39:                               ;   Parent Loop BB8_5 Depth=1
                                        ;     Parent Loop BB8_9 Depth=2
                                        ;       Parent Loop BB8_14 Depth=3
                                        ; =>      This Inner Loop Header: Depth=4
	v_add_u32_e32 v12, v10, v16
	v_ashrrev_i32_e32 v13, 31, v12
	v_lshlrev_b64 v[12:13], 2, v[12:13]
	v_mov_b32_e32 v18, s41
	v_add_co_u32_e32 v17, vcc, s40, v12
	v_addc_co_u32_e32 v18, vcc, v18, v13, vcc
	global_load_dword v17, v[17:18], off
	s_or_b64 s[60:61], s[60:61], exec
	s_or_b64 s[62:63], s[62:63], exec
	s_waitcnt vmcnt(0)
	v_subrev_u32_e32 v17, s8, v17
	v_cmp_ne_u32_e32 vcc, v17, v3
	s_and_saveexec_b64 s[0:1], vcc
	s_cbranch_execz .LBB8_38
; %bb.40:                               ;   in Loop: Header=BB8_39 Depth=4
	v_add_u32_e32 v16, 1, v16
	v_cmp_ge_i32_e32 vcc, v16, v35
	s_andn2_b64 s[62:63], s[62:63], exec
	s_and_b64 vcc, vcc, exec
	s_andn2_b64 s[60:61], s[60:61], exec
	s_or_b64 s[62:63], s[62:63], vcc
	s_branch .LBB8_38
.LBB8_41:                               ;   in Loop: Header=BB8_14 Depth=3
	s_or_b64 exec, exec, s[70:71]
	s_and_saveexec_b64 s[0:1], s[4:5]
	s_xor_b64 s[4:5], exec, s[0:1]
	s_cbranch_execz .LBB8_46
; %bb.42:                               ;   in Loop: Header=BB8_14 Depth=3
	v_mov_b32_e32 v17, s83
	v_add_co_u32_e32 v16, vcc, s82, v12
	v_addc_co_u32_e32 v17, vcc, v17, v13, vcc
	s_andn2_b64 vcc, exec, s[34:35]
	global_store_dword v[16:17], v15, off
	s_cbranch_vccnz .LBB8_46
; %bb.43:                               ;   in Loop: Header=BB8_14 Depth=3
	v_mov_b32_e32 v16, s43
	v_add_co_u32_e32 v12, vcc, s42, v12
	v_addc_co_u32_e32 v13, vcc, v16, v13, vcc
	global_load_dword v12, v[12:13], off
	s_waitcnt vmcnt(0)
	v_sub_f32_e32 v12, v12, v15
	v_cmp_class_f32_e64 s[60:61], v12, s10
	s_and_saveexec_b64 s[0:1], s[60:61]
; %bb.44:                               ;   in Loop: Header=BB8_14 Depth=3
	v_cmp_lt_f32_e64 s[60:61], v24, |v12|
	v_cndmask_b32_e64 v24, v24, |v12|, s[60:61]
; %bb.45:                               ;   in Loop: Header=BB8_14 Depth=3
	s_or_b64 exec, exec, s[0:1]
.LBB8_46:                               ;   in Loop: Header=BB8_14 Depth=3
	s_or_b64 exec, exec, s[4:5]
.LBB8_47:                               ;   in Loop: Header=BB8_14 Depth=3
	s_or_b64 exec, exec, s[84:85]
.LBB8_48:                               ;   in Loop: Header=BB8_14 Depth=3
	s_or_b64 exec, exec, s[76:77]
                                        ; implicit-def: $vgpr15
.LBB8_49:                               ;   in Loop: Header=BB8_14 Depth=3
	s_andn2_saveexec_b64 s[28:29], s[28:29]
	s_cbranch_execz .LBB8_62
; %bb.50:                               ;   in Loop: Header=BB8_14 Depth=3
	v_cmp_lt_i32_e32 vcc, v1, v30
	s_and_saveexec_b64 s[76:77], vcc
	s_cbranch_execz .LBB8_61
; %bb.51:                               ;   in Loop: Header=BB8_14 Depth=3
	s_mov_b64 s[84:85], 0
	v_mov_b32_e32 v16, v1
                                        ; implicit-def: $sgpr4_sgpr5
                                        ; implicit-def: $sgpr62_sgpr63
                                        ; implicit-def: $sgpr60_sgpr61
	s_branch .LBB8_53
.LBB8_52:                               ;   in Loop: Header=BB8_53 Depth=4
	s_or_b64 exec, exec, s[70:71]
	s_and_b64 s[0:1], exec, s[62:63]
	s_or_b64 s[84:85], s[0:1], s[84:85]
	s_andn2_b64 s[0:1], s[4:5], exec
	s_and_b64 s[4:5], s[60:61], exec
	s_or_b64 s[4:5], s[0:1], s[4:5]
	s_andn2_b64 exec, exec, s[84:85]
	s_cbranch_execz .LBB8_55
.LBB8_53:                               ;   Parent Loop BB8_5 Depth=1
                                        ;     Parent Loop BB8_9 Depth=2
                                        ;       Parent Loop BB8_14 Depth=3
                                        ; =>      This Inner Loop Header: Depth=4
	v_add_u32_e32 v12, v6, v16
	v_ashrrev_i32_e32 v13, 31, v12
	v_lshlrev_b64 v[12:13], 2, v[12:13]
	v_mov_b32_e32 v18, s49
	v_add_co_u32_e32 v17, vcc, s48, v12
	v_addc_co_u32_e32 v18, vcc, v18, v13, vcc
	global_load_dword v17, v[17:18], off
	s_or_b64 s[60:61], s[60:61], exec
	s_or_b64 s[62:63], s[62:63], exec
	s_waitcnt vmcnt(0)
	v_subrev_u32_e32 v17, s7, v17
	v_cmp_ne_u32_e32 vcc, v17, v9
	s_and_saveexec_b64 s[70:71], vcc
	s_cbranch_execz .LBB8_52
; %bb.54:                               ;   in Loop: Header=BB8_53 Depth=4
	v_add_u32_e32 v16, 1, v16
	v_cmp_ge_i32_e32 vcc, v16, v30
	s_andn2_b64 s[0:1], s[62:63], exec
	s_and_b64 s[62:63], vcc, exec
	s_andn2_b64 s[60:61], s[60:61], exec
	s_or_b64 s[62:63], s[0:1], s[62:63]
	s_branch .LBB8_52
.LBB8_55:                               ;   in Loop: Header=BB8_14 Depth=3
	s_or_b64 exec, exec, s[84:85]
	s_and_saveexec_b64 s[0:1], s[4:5]
	s_xor_b64 s[4:5], exec, s[0:1]
	s_cbranch_execz .LBB8_60
; %bb.56:                               ;   in Loop: Header=BB8_14 Depth=3
	v_mov_b32_e32 v17, s81
	v_add_co_u32_e32 v16, vcc, s80, v12
	v_addc_co_u32_e32 v17, vcc, v17, v13, vcc
	s_andn2_b64 vcc, exec, s[34:35]
	global_store_dword v[16:17], v15, off
	s_cbranch_vccnz .LBB8_60
; %bb.57:                               ;   in Loop: Header=BB8_14 Depth=3
	v_mov_b32_e32 v16, s51
	v_add_co_u32_e32 v12, vcc, s50, v12
	v_addc_co_u32_e32 v13, vcc, v16, v13, vcc
	global_load_dword v12, v[12:13], off
	s_waitcnt vmcnt(0)
	v_sub_f32_e32 v12, v12, v15
	v_cmp_class_f32_e64 s[60:61], v12, s10
	s_and_saveexec_b64 s[0:1], s[60:61]
; %bb.58:                               ;   in Loop: Header=BB8_14 Depth=3
	v_cmp_lt_f32_e64 s[60:61], v24, |v12|
	v_cndmask_b32_e64 v24, v24, |v12|, s[60:61]
; %bb.59:                               ;   in Loop: Header=BB8_14 Depth=3
	s_or_b64 exec, exec, s[0:1]
.LBB8_60:                               ;   in Loop: Header=BB8_14 Depth=3
	s_or_b64 exec, exec, s[4:5]
.LBB8_61:                               ;   in Loop: Header=BB8_14 Depth=3
	s_or_b64 exec, exec, s[76:77]
.LBB8_62:                               ;   in Loop: Header=BB8_14 Depth=3
	s_or_b64 exec, exec, s[28:29]
	s_or_b64 exec, exec, s[78:79]
	s_and_b64 s[0:1], s[30:31], s[74:75]
	s_and_saveexec_b64 s[28:29], s[0:1]
	s_cbranch_execz .LBB8_13
.LBB8_63:                               ;   in Loop: Header=BB8_14 Depth=3
	v_cmp_ge_i32_e32 vcc, v11, v35
	s_and_saveexec_b64 s[0:1], vcc
	s_xor_b64 s[74:75], exec, s[0:1]
	s_cbranch_execnz .LBB8_69
; %bb.64:                               ;   in Loop: Header=BB8_14 Depth=3
	s_andn2_saveexec_b64 s[74:75], s[74:75]
	s_cbranch_execnz .LBB8_78
.LBB8_65:                               ;   in Loop: Header=BB8_14 Depth=3
	s_or_b64 exec, exec, s[74:75]
	v_cmp_eq_u32_e32 vcc, v3, v9
	s_and_saveexec_b64 s[0:1], vcc
	s_cbranch_execz .LBB8_67
.LBB8_66:                               ;   in Loop: Header=BB8_14 Depth=3
	v_mov_b32_e32 v1, s65
	v_add_co_u32_e32 v7, vcc, s64, v7
	v_addc_co_u32_e32 v8, vcc, v1, v8, vcc
	global_load_dword v1, v[7:8], off
	s_waitcnt vmcnt(0)
	v_add_f32_e32 v5, v5, v1
.LBB8_67:                               ;   in Loop: Header=BB8_14 Depth=3
	s_or_b64 exec, exec, s[0:1]
	v_sub_f32_e32 v1, v14, v5
	v_cmp_class_f32_e64 s[4:5], v1, s10
	s_and_saveexec_b64 s[0:1], s[4:5]
	s_cbranch_execz .LBB8_12
; %bb.68:                               ;   in Loop: Header=BB8_14 Depth=3
	v_cmp_lt_f32_e64 s[4:5], v20, |v1|
	v_cndmask_b32_e64 v20, v20, |v1|, s[4:5]
	s_branch .LBB8_12
.LBB8_69:                               ;   in Loop: Header=BB8_14 Depth=3
	v_cmp_lt_i32_e32 vcc, v1, v30
	s_and_saveexec_b64 s[76:77], vcc
	s_cbranch_execz .LBB8_77
; %bb.70:                               ;   in Loop: Header=BB8_14 Depth=3
	s_mov_b64 s[70:71], 0
                                        ; implicit-def: $sgpr4_sgpr5
                                        ; implicit-def: $sgpr62_sgpr63
                                        ; implicit-def: $sgpr60_sgpr61
	s_branch .LBB8_72
.LBB8_71:                               ;   in Loop: Header=BB8_72 Depth=4
	s_or_b64 exec, exec, s[0:1]
	s_and_b64 s[0:1], exec, s[62:63]
	s_or_b64 s[70:71], s[0:1], s[70:71]
	s_andn2_b64 s[0:1], s[4:5], exec
	s_and_b64 s[4:5], s[60:61], exec
	s_or_b64 s[4:5], s[0:1], s[4:5]
	s_andn2_b64 exec, exec, s[70:71]
	s_cbranch_execz .LBB8_74
.LBB8_72:                               ;   Parent Loop BB8_5 Depth=1
                                        ;     Parent Loop BB8_9 Depth=2
                                        ;       Parent Loop BB8_14 Depth=3
                                        ; =>      This Inner Loop Header: Depth=4
	v_add_u32_e32 v10, v6, v1
	v_ashrrev_i32_e32 v11, 31, v10
	v_lshlrev_b64 v[10:11], 2, v[10:11]
	v_mov_b32_e32 v13, s49
	v_add_co_u32_e32 v12, vcc, s48, v10
	v_addc_co_u32_e32 v13, vcc, v13, v11, vcc
	global_load_dword v12, v[12:13], off
	s_or_b64 s[60:61], s[60:61], exec
	s_or_b64 s[62:63], s[62:63], exec
	s_waitcnt vmcnt(0)
	v_subrev_u32_e32 v12, s7, v12
	v_cmp_ne_u32_e32 vcc, v12, v9
	s_and_saveexec_b64 s[0:1], vcc
	s_cbranch_execz .LBB8_71
; %bb.73:                               ;   in Loop: Header=BB8_72 Depth=4
	v_add_u32_e32 v1, 1, v1
	v_cmp_ge_i32_e32 vcc, v1, v30
	s_andn2_b64 s[62:63], s[62:63], exec
	s_and_b64 s[78:79], vcc, exec
	s_andn2_b64 s[60:61], s[60:61], exec
	s_or_b64 s[62:63], s[62:63], s[78:79]
	s_branch .LBB8_71
.LBB8_74:                               ;   in Loop: Header=BB8_14 Depth=3
	s_or_b64 exec, exec, s[70:71]
	s_and_saveexec_b64 s[0:1], s[4:5]
	s_xor_b64 s[4:5], exec, s[0:1]
	s_cbranch_execz .LBB8_76
; %bb.75:                               ;   in Loop: Header=BB8_14 Depth=3
	v_mov_b32_e32 v1, s51
	v_add_co_u32_e32 v10, vcc, s50, v10
	v_addc_co_u32_e32 v11, vcc, v1, v11, vcc
	global_load_dword v1, v[10:11], off
	v_mov_b32_e32 v11, s65
	v_add_co_u32_e32 v10, vcc, s64, v7
	v_addc_co_u32_e32 v11, vcc, v11, v8, vcc
	global_load_dword v10, v[10:11], off
	s_waitcnt vmcnt(0)
	v_fmac_f32_e32 v5, v1, v10
.LBB8_76:                               ;   in Loop: Header=BB8_14 Depth=3
	s_or_b64 exec, exec, s[4:5]
.LBB8_77:                               ;   in Loop: Header=BB8_14 Depth=3
	s_or_b64 exec, exec, s[76:77]
                                        ; implicit-def: $vgpr11
                                        ; implicit-def: $vgpr10
                                        ; implicit-def: $vgpr35
	s_andn2_saveexec_b64 s[74:75], s[74:75]
	s_cbranch_execz .LBB8_65
.LBB8_78:                               ;   in Loop: Header=BB8_14 Depth=3
	s_mov_b64 s[70:71], 0
                                        ; implicit-def: $sgpr4_sgpr5
                                        ; implicit-def: $sgpr62_sgpr63
                                        ; implicit-def: $sgpr60_sgpr61
	s_branch .LBB8_80
.LBB8_79:                               ;   in Loop: Header=BB8_80 Depth=4
	s_or_b64 exec, exec, s[0:1]
	s_and_b64 s[0:1], exec, s[62:63]
	s_or_b64 s[70:71], s[0:1], s[70:71]
	s_andn2_b64 s[0:1], s[4:5], exec
	s_and_b64 s[4:5], s[60:61], exec
	s_or_b64 s[4:5], s[0:1], s[4:5]
	s_andn2_b64 exec, exec, s[70:71]
	s_cbranch_execz .LBB8_82
.LBB8_80:                               ;   Parent Loop BB8_5 Depth=1
                                        ;     Parent Loop BB8_9 Depth=2
                                        ;       Parent Loop BB8_14 Depth=3
                                        ; =>      This Inner Loop Header: Depth=4
	v_add_u32_e32 v12, v10, v11
	v_ashrrev_i32_e32 v13, 31, v12
	v_lshlrev_b64 v[12:13], 2, v[12:13]
	v_mov_b32_e32 v1, s41
	v_add_co_u32_e32 v15, vcc, s40, v12
	v_addc_co_u32_e32 v16, vcc, v1, v13, vcc
	global_load_dword v1, v[15:16], off
	s_or_b64 s[60:61], s[60:61], exec
	s_or_b64 s[62:63], s[62:63], exec
	s_waitcnt vmcnt(0)
	v_subrev_u32_e32 v1, s8, v1
	v_cmp_ne_u32_e32 vcc, v1, v3
	s_and_saveexec_b64 s[0:1], vcc
	s_cbranch_execz .LBB8_79
; %bb.81:                               ;   in Loop: Header=BB8_80 Depth=4
	v_add_u32_e32 v11, 1, v11
	v_cmp_ge_i32_e32 vcc, v11, v35
	s_andn2_b64 s[62:63], s[62:63], exec
	s_and_b64 s[76:77], vcc, exec
	s_andn2_b64 s[60:61], s[60:61], exec
	s_or_b64 s[62:63], s[62:63], s[76:77]
	s_branch .LBB8_79
.LBB8_82:                               ;   in Loop: Header=BB8_14 Depth=3
	s_or_b64 exec, exec, s[70:71]
	s_and_saveexec_b64 s[0:1], s[4:5]
	s_xor_b64 s[0:1], exec, s[0:1]
	s_cbranch_execz .LBB8_84
; %bb.83:                               ;   in Loop: Header=BB8_14 Depth=3
	v_mov_b32_e32 v1, s43
	v_add_co_u32_e32 v10, vcc, s42, v12
	v_addc_co_u32_e32 v11, vcc, v1, v13, vcc
	global_load_dword v1, v[10:11], off
	s_waitcnt vmcnt(0)
	v_add_f32_e32 v5, v5, v1
.LBB8_84:                               ;   in Loop: Header=BB8_14 Depth=3
	s_or_b64 exec, exec, s[0:1]
	s_or_b64 exec, exec, s[74:75]
	v_cmp_eq_u32_e32 vcc, v3, v9
	s_and_saveexec_b64 s[0:1], vcc
	s_cbranch_execnz .LBB8_66
	s_branch .LBB8_67
.LBB8_85:                               ;   in Loop: Header=BB8_5 Depth=1
	s_and_b64 vcc, exec, s[34:35]
	s_cbranch_vccz .LBB8_107
; %bb.86:                               ;   in Loop: Header=BB8_5 Depth=1
	v_mov_b32_dpp v1, v24 row_shr:1 row_mask:0xf bank_mask:0xf
	s_mov_b64 s[0:1], exec
	v_readlane_b32 s4, v43, 10
	v_readlane_b32 s5, v43, 11
	s_and_b64 s[4:5], s[0:1], s[4:5]
	s_mov_b64 exec, s[4:5]
; %bb.87:                               ;   in Loop: Header=BB8_5 Depth=1
	v_cmp_lt_f32_e32 vcc, v24, v1
	v_cndmask_b32_e32 v1, v24, v1, vcc
	ds_write_b32 v26, v1
; %bb.88:                               ;   in Loop: Header=BB8_5 Depth=1
	s_or_b64 exec, exec, s[0:1]
	s_waitcnt vmcnt(0) lgkmcnt(0)
	s_barrier
	s_mov_b64 s[0:1], exec
	v_readlane_b32 s4, v43, 12
	v_readlane_b32 s5, v43, 13
	s_and_b64 s[4:5], s[0:1], s[4:5]
	s_mov_b64 exec, s[4:5]
	s_cbranch_execz .LBB8_90
; %bb.89:                               ;   in Loop: Header=BB8_5 Depth=1
	ds_read2st64_b32 v[3:4], v19 offset1:4
	s_waitcnt lgkmcnt(0)
	v_cmp_lt_f32_e32 vcc, v3, v4
	v_cndmask_b32_e32 v1, v3, v4, vcc
	ds_write_b32 v19, v1
.LBB8_90:                               ;   in Loop: Header=BB8_5 Depth=1
	s_or_b64 exec, exec, s[0:1]
	s_waitcnt lgkmcnt(0)
	s_barrier
	s_mov_b64 s[0:1], exec
	v_readlane_b32 s4, v43, 14
	v_readlane_b32 s5, v43, 15
	s_and_b64 s[4:5], s[0:1], s[4:5]
	s_mov_b64 exec, s[4:5]
	s_cbranch_execz .LBB8_92
; %bb.91:                               ;   in Loop: Header=BB8_5 Depth=1
	ds_read2st64_b32 v[3:4], v19 offset1:2
	s_waitcnt lgkmcnt(0)
	v_cmp_lt_f32_e32 vcc, v3, v4
	v_cndmask_b32_e32 v1, v3, v4, vcc
	ds_write_b32 v19, v1
.LBB8_92:                               ;   in Loop: Header=BB8_5 Depth=1
	s_or_b64 exec, exec, s[0:1]
	s_waitcnt lgkmcnt(0)
	s_barrier
	s_and_saveexec_b64 s[0:1], s[12:13]
	s_cbranch_execz .LBB8_94
; %bb.93:                               ;   in Loop: Header=BB8_5 Depth=1
	ds_read2st64_b32 v[3:4], v19 offset1:1
	s_waitcnt lgkmcnt(0)
	v_cmp_lt_f32_e32 vcc, v3, v4
	v_cndmask_b32_e32 v1, v3, v4, vcc
	ds_write_b32 v19, v1
.LBB8_94:                               ;   in Loop: Header=BB8_5 Depth=1
	s_or_b64 exec, exec, s[0:1]
	s_waitcnt lgkmcnt(0)
	s_barrier
	s_and_saveexec_b64 s[0:1], s[14:15]
	s_cbranch_execz .LBB8_96
; %bb.95:                               ;   in Loop: Header=BB8_5 Depth=1
	ds_read2_b32 v[3:4], v19 offset1:32
	s_waitcnt lgkmcnt(0)
	v_cmp_lt_f32_e32 vcc, v3, v4
	v_cndmask_b32_e32 v1, v3, v4, vcc
	ds_write_b32 v19, v1
.LBB8_96:                               ;   in Loop: Header=BB8_5 Depth=1
	s_or_b64 exec, exec, s[0:1]
	s_waitcnt lgkmcnt(0)
	s_barrier
	s_and_saveexec_b64 s[0:1], s[16:17]
	s_cbranch_execz .LBB8_98
; %bb.97:                               ;   in Loop: Header=BB8_5 Depth=1
	ds_read2_b32 v[3:4], v19 offset1:16
	s_waitcnt lgkmcnt(0)
	v_cmp_lt_f32_e32 vcc, v3, v4
	v_cndmask_b32_e32 v1, v3, v4, vcc
	ds_write_b32 v19, v1
.LBB8_98:                               ;   in Loop: Header=BB8_5 Depth=1
	s_or_b64 exec, exec, s[0:1]
	s_waitcnt lgkmcnt(0)
	s_barrier
	s_and_saveexec_b64 s[0:1], s[18:19]
	s_cbranch_execz .LBB8_100
; %bb.99:                               ;   in Loop: Header=BB8_5 Depth=1
	ds_read2_b32 v[3:4], v19 offset1:8
	s_waitcnt lgkmcnt(0)
	v_cmp_lt_f32_e32 vcc, v3, v4
	v_cndmask_b32_e32 v1, v3, v4, vcc
	ds_write_b32 v19, v1
.LBB8_100:                              ;   in Loop: Header=BB8_5 Depth=1
	s_or_b64 exec, exec, s[0:1]
	s_waitcnt lgkmcnt(0)
	s_barrier
	s_and_saveexec_b64 s[0:1], s[20:21]
	s_cbranch_execz .LBB8_102
; %bb.101:                              ;   in Loop: Header=BB8_5 Depth=1
	ds_read2_b32 v[3:4], v19 offset1:4
	s_waitcnt lgkmcnt(0)
	v_cmp_lt_f32_e32 vcc, v3, v4
	v_cndmask_b32_e32 v1, v3, v4, vcc
	ds_write_b32 v19, v1
.LBB8_102:                              ;   in Loop: Header=BB8_5 Depth=1
	s_or_b64 exec, exec, s[0:1]
	s_waitcnt lgkmcnt(0)
	s_barrier
	s_and_saveexec_b64 s[0:1], s[22:23]
	s_cbranch_execz .LBB8_104
; %bb.103:                              ;   in Loop: Header=BB8_5 Depth=1
	ds_read2_b32 v[3:4], v19 offset1:2
	s_waitcnt lgkmcnt(0)
	v_cmp_lt_f32_e32 vcc, v3, v4
	v_cndmask_b32_e32 v1, v3, v4, vcc
	ds_write_b32 v19, v1
.LBB8_104:                              ;   in Loop: Header=BB8_5 Depth=1
	s_or_b64 exec, exec, s[0:1]
	s_waitcnt lgkmcnt(0)
	s_barrier
	s_and_saveexec_b64 s[0:1], s[24:25]
	s_cbranch_execz .LBB8_106
; %bb.105:                              ;   in Loop: Header=BB8_5 Depth=1
	ds_read_b64 v[3:4], v2
	s_waitcnt lgkmcnt(0)
	v_cmp_lt_f32_e32 vcc, v3, v4
	v_cndmask_b32_e32 v1, v3, v4, vcc
	ds_write_b32 v2, v1
.LBB8_106:                              ;   in Loop: Header=BB8_5 Depth=1
	s_or_b64 exec, exec, s[0:1]
	v_readlane_b32 s0, v43, 2
	v_readlane_b32 s1, v43, 3
	s_waitcnt lgkmcnt(0)
	s_barrier
	ds_read_b32 v1, v2
	s_load_dword s4, s[0:1], 0x0
	s_waitcnt lgkmcnt(0)
	v_div_scale_f32 v3, s[0:1], s4, s4, v1
	v_div_scale_f32 v4, vcc, v1, s4, v1
	v_rcp_f32_e32 v5, v3
	v_fma_f32 v6, -v3, v5, 1.0
	v_fmac_f32_e32 v5, v6, v5
	v_mul_f32_e32 v6, v4, v5
	v_fma_f32 v7, -v3, v6, v4
	v_fmac_f32_e32 v6, v7, v5
	v_fma_f32 v3, -v3, v6, v4
	v_div_fmas_f32 v3, v3, v5, v6
	v_div_fixup_f32 v24, v3, s4, v1
.LBB8_107:                              ;   in Loop: Header=BB8_5 Depth=1
	s_andn2_b64 vcc, exec, s[30:31]
	s_cbranch_vccnz .LBB8_129
; %bb.108:                              ;   in Loop: Header=BB8_5 Depth=1
	v_mov_b32_dpp v1, v20 row_shr:1 row_mask:0xf bank_mask:0xf
	s_mov_b64 s[0:1], exec
	v_readlane_b32 s4, v43, 10
	v_readlane_b32 s5, v43, 11
	s_and_b64 s[4:5], s[0:1], s[4:5]
	s_mov_b64 exec, s[4:5]
; %bb.109:                              ;   in Loop: Header=BB8_5 Depth=1
	v_cmp_lt_f32_e32 vcc, v20, v1
	v_cndmask_b32_e32 v1, v20, v1, vcc
	ds_write_b32 v26, v1
; %bb.110:                              ;   in Loop: Header=BB8_5 Depth=1
	s_or_b64 exec, exec, s[0:1]
	s_waitcnt vmcnt(0) lgkmcnt(0)
	s_barrier
	s_mov_b64 s[0:1], exec
	v_readlane_b32 s4, v43, 12
	v_readlane_b32 s5, v43, 13
	s_and_b64 s[4:5], s[0:1], s[4:5]
	s_mov_b64 exec, s[4:5]
	s_cbranch_execz .LBB8_112
; %bb.111:                              ;   in Loop: Header=BB8_5 Depth=1
	ds_read2st64_b32 v[3:4], v19 offset1:4
	s_waitcnt lgkmcnt(0)
	v_cmp_lt_f32_e32 vcc, v3, v4
	v_cndmask_b32_e32 v1, v3, v4, vcc
	ds_write_b32 v19, v1
.LBB8_112:                              ;   in Loop: Header=BB8_5 Depth=1
	s_or_b64 exec, exec, s[0:1]
	s_waitcnt lgkmcnt(0)
	s_barrier
	s_mov_b64 s[0:1], exec
	v_readlane_b32 s4, v43, 14
	v_readlane_b32 s5, v43, 15
	s_and_b64 s[4:5], s[0:1], s[4:5]
	s_mov_b64 exec, s[4:5]
	s_cbranch_execz .LBB8_114
; %bb.113:                              ;   in Loop: Header=BB8_5 Depth=1
	ds_read2st64_b32 v[3:4], v19 offset1:2
	s_waitcnt lgkmcnt(0)
	v_cmp_lt_f32_e32 vcc, v3, v4
	v_cndmask_b32_e32 v1, v3, v4, vcc
	ds_write_b32 v19, v1
.LBB8_114:                              ;   in Loop: Header=BB8_5 Depth=1
	s_or_b64 exec, exec, s[0:1]
	s_waitcnt lgkmcnt(0)
	s_barrier
	s_and_saveexec_b64 s[0:1], s[12:13]
	s_cbranch_execz .LBB8_116
; %bb.115:                              ;   in Loop: Header=BB8_5 Depth=1
	ds_read2st64_b32 v[3:4], v19 offset1:1
	s_waitcnt lgkmcnt(0)
	v_cmp_lt_f32_e32 vcc, v3, v4
	v_cndmask_b32_e32 v1, v3, v4, vcc
	ds_write_b32 v19, v1
.LBB8_116:                              ;   in Loop: Header=BB8_5 Depth=1
	s_or_b64 exec, exec, s[0:1]
	s_waitcnt lgkmcnt(0)
	s_barrier
	s_and_saveexec_b64 s[0:1], s[14:15]
	s_cbranch_execz .LBB8_118
; %bb.117:                              ;   in Loop: Header=BB8_5 Depth=1
	ds_read2_b32 v[3:4], v19 offset1:32
	s_waitcnt lgkmcnt(0)
	v_cmp_lt_f32_e32 vcc, v3, v4
	v_cndmask_b32_e32 v1, v3, v4, vcc
	ds_write_b32 v19, v1
.LBB8_118:                              ;   in Loop: Header=BB8_5 Depth=1
	s_or_b64 exec, exec, s[0:1]
	s_waitcnt lgkmcnt(0)
	s_barrier
	s_and_saveexec_b64 s[0:1], s[16:17]
	s_cbranch_execz .LBB8_120
; %bb.119:                              ;   in Loop: Header=BB8_5 Depth=1
	ds_read2_b32 v[3:4], v19 offset1:16
	s_waitcnt lgkmcnt(0)
	v_cmp_lt_f32_e32 vcc, v3, v4
	v_cndmask_b32_e32 v1, v3, v4, vcc
	ds_write_b32 v19, v1
.LBB8_120:                              ;   in Loop: Header=BB8_5 Depth=1
	;; [unrolled: 12-line block ×5, first 2 shown]
	s_or_b64 exec, exec, s[0:1]
	s_waitcnt lgkmcnt(0)
	s_barrier
	s_and_saveexec_b64 s[0:1], s[24:25]
	s_cbranch_execz .LBB8_128
; %bb.127:                              ;   in Loop: Header=BB8_5 Depth=1
	ds_read_b64 v[3:4], v2
	s_waitcnt lgkmcnt(0)
	v_cmp_lt_f32_e32 vcc, v3, v4
	v_cndmask_b32_e32 v1, v3, v4, vcc
	ds_write_b32 v2, v1
.LBB8_128:                              ;   in Loop: Header=BB8_5 Depth=1
	s_or_b64 exec, exec, s[0:1]
	v_readlane_b32 s0, v43, 2
	v_readlane_b32 s1, v43, 3
	s_waitcnt lgkmcnt(0)
	s_barrier
	ds_read_b32 v1, v2
	s_load_dword s4, s[0:1], 0x0
	s_waitcnt lgkmcnt(0)
	v_div_scale_f32 v3, s[0:1], s4, s4, v1
	v_div_scale_f32 v4, vcc, v1, s4, v1
	v_rcp_f32_e32 v5, v3
	v_fma_f32 v6, -v3, v5, 1.0
	v_fmac_f32_e32 v5, v6, v5
	v_mul_f32_e32 v6, v4, v5
	v_fma_f32 v7, -v3, v6, v4
	v_fmac_f32_e32 v6, v7, v5
	v_fma_f32 v3, -v3, v6, v4
	v_div_fmas_f32 v3, v3, v5, v6
	v_div_fixup_f32 v20, v3, s4, v1
.LBB8_129:                              ;   in Loop: Header=BB8_5 Depth=1
	s_mov_b64 s[26:27], exec
	v_readlane_b32 s0, v43, 8
	v_readlane_b32 s1, v43, 9
	s_and_b64 s[0:1], s[26:27], s[0:1]
	s_mov_b64 exec, s[0:1]
	s_cbranch_execz .LBB8_141
; %bb.130:                              ;   in Loop: Header=BB8_5 Depth=1
	s_mov_b64 s[28:29], 0
	v_mov_b32_e32 v3, v23
	s_branch .LBB8_132
.LBB8_131:                              ;   in Loop: Header=BB8_132 Depth=2
	s_or_b64 exec, exec, s[74:75]
	v_add_u32_e32 v3, 0x200, v3
	v_cmp_le_u32_e32 vcc, s9, v3
	s_or_b64 s[28:29], vcc, s[28:29]
	s_andn2_b64 exec, exec, s[28:29]
	s_cbranch_execz .LBB8_141
.LBB8_132:                              ;   Parent Loop BB8_5 Depth=1
                                        ; =>  This Loop Header: Depth=2
                                        ;       Child Loop BB8_135 Depth 3
                                        ;       Child Loop BB8_138 Depth 3
	v_cmp_gt_i32_e32 vcc, s73, v3
	s_and_saveexec_b64 s[74:75], vcc
	s_cbranch_execz .LBB8_131
; %bb.133:                              ;   in Loop: Header=BB8_132 Depth=2
	v_ashrrev_i32_e32 v4, 31, v3
	v_lshlrev_b64 v[4:5], 2, v[3:4]
	v_mov_b32_e32 v1, s45
	v_add_co_u32_e32 v6, vcc, s44, v4
	v_addc_co_u32_e32 v7, vcc, v1, v5, vcc
	global_load_dword v1, v[6:7], off
	v_mov_b32_e32 v7, s47
	v_add_co_u32_e32 v6, vcc, s46, v4
	v_addc_co_u32_e32 v7, vcc, v7, v5, vcc
	global_load_dword v7, v[6:7], off
	s_waitcnt vmcnt(1)
	v_add_u32_e32 v6, v27, v1
	s_waitcnt vmcnt(0)
	v_subrev_u32_e32 v1, s7, v7
	v_cmp_lt_i32_e32 vcc, v6, v1
	s_and_saveexec_b64 s[4:5], vcc
	s_cbranch_execz .LBB8_136
; %bb.134:                              ;   in Loop: Header=BB8_132 Depth=2
	v_ashrrev_i32_e32 v7, 31, v6
	v_lshlrev_b64 v[9:10], 2, v[6:7]
	v_mov_b32_e32 v8, s81
	v_add_co_u32_e32 v7, vcc, s80, v9
	v_addc_co_u32_e32 v8, vcc, v8, v10, vcc
	v_mov_b32_e32 v11, s51
	v_add_co_u32_e32 v9, vcc, s50, v9
	v_addc_co_u32_e32 v10, vcc, v11, v10, vcc
	s_mov_b64 s[60:61], 0
.LBB8_135:                              ;   Parent Loop BB8_5 Depth=1
                                        ;     Parent Loop BB8_132 Depth=2
                                        ; =>    This Inner Loop Header: Depth=3
	global_load_dword v11, v[7:8], off
	v_add_co_u32_e32 v7, vcc, 8, v7
	v_add_u32_e32 v6, 2, v6
	v_addc_co_u32_e32 v8, vcc, 0, v8, vcc
	v_cmp_ge_i32_e32 vcc, v6, v1
	s_or_b64 s[60:61], vcc, s[60:61]
	s_waitcnt vmcnt(0)
	global_store_dword v[9:10], v11, off
	v_add_co_u32_e32 v9, vcc, 8, v9
	v_addc_co_u32_e32 v10, vcc, 0, v10, vcc
	s_andn2_b64 exec, exec, s[60:61]
	s_cbranch_execnz .LBB8_135
.LBB8_136:                              ;   in Loop: Header=BB8_132 Depth=2
	s_or_b64 exec, exec, s[4:5]
	v_mov_b32_e32 v1, s37
	v_add_co_u32_e32 v6, vcc, s36, v4
	v_addc_co_u32_e32 v7, vcc, v1, v5, vcc
	global_load_dword v1, v[6:7], off
	v_mov_b32_e32 v7, s39
	v_add_co_u32_e32 v6, vcc, s38, v4
	v_addc_co_u32_e32 v7, vcc, v7, v5, vcc
	global_load_dword v7, v[6:7], off
	s_waitcnt vmcnt(1)
	v_add_u32_e32 v6, v28, v1
	s_waitcnt vmcnt(0)
	v_subrev_u32_e32 v1, s8, v7
	v_cmp_lt_i32_e32 vcc, v6, v1
	s_and_saveexec_b64 s[4:5], vcc
	s_cbranch_execz .LBB8_139
; %bb.137:                              ;   in Loop: Header=BB8_132 Depth=2
	v_ashrrev_i32_e32 v7, 31, v6
	v_lshlrev_b64 v[9:10], 2, v[6:7]
	v_mov_b32_e32 v8, s83
	v_add_co_u32_e32 v7, vcc, s82, v9
	v_addc_co_u32_e32 v8, vcc, v8, v10, vcc
	v_mov_b32_e32 v11, s43
	v_add_co_u32_e32 v9, vcc, s42, v9
	v_addc_co_u32_e32 v10, vcc, v11, v10, vcc
	s_mov_b64 s[60:61], 0
.LBB8_138:                              ;   Parent Loop BB8_5 Depth=1
                                        ;     Parent Loop BB8_132 Depth=2
                                        ; =>    This Inner Loop Header: Depth=3
	global_load_dword v11, v[7:8], off
	v_add_co_u32_e32 v7, vcc, 8, v7
	v_add_u32_e32 v6, 2, v6
	v_addc_co_u32_e32 v8, vcc, 0, v8, vcc
	v_cmp_ge_i32_e32 vcc, v6, v1
	s_or_b64 s[60:61], vcc, s[60:61]
	s_waitcnt vmcnt(0)
	global_store_dword v[9:10], v11, off
	v_add_co_u32_e32 v9, vcc, 8, v9
	v_addc_co_u32_e32 v10, vcc, 0, v10, vcc
	s_andn2_b64 exec, exec, s[60:61]
	s_cbranch_execnz .LBB8_138
.LBB8_139:                              ;   in Loop: Header=BB8_132 Depth=2
	s_or_b64 exec, exec, s[4:5]
	s_and_b64 exec, exec, s[2:3]
	s_cbranch_execz .LBB8_131
; %bb.140:                              ;   in Loop: Header=BB8_132 Depth=2
	v_mov_b32_e32 v1, s67
	v_add_co_u32_e32 v6, vcc, s66, v4
	v_addc_co_u32_e32 v7, vcc, v1, v5, vcc
	global_load_dword v1, v[6:7], off
	v_mov_b32_e32 v6, s65
	v_add_co_u32_e32 v4, vcc, s64, v4
	v_addc_co_u32_e32 v5, vcc, v6, v5, vcc
	s_waitcnt vmcnt(0)
	global_store_dword v[4:5], v1, off
	s_branch .LBB8_131
.LBB8_141:                              ;   in Loop: Header=BB8_5 Depth=1
	s_or_b64 exec, exec, s[26:27]
	s_mov_b64 s[28:29], -1
	s_and_b64 vcc, exec, s[68:69]
	s_mov_b64 s[4:5], -1
	s_cbranch_vccz .LBB8_151
; %bb.142:                              ;   in Loop: Header=BB8_5 Depth=1
	v_readlane_b32 s4, v43, 16
	v_readlane_b32 s5, v43, 17
	s_mov_b64 s[0:1], -1
	s_and_b64 vcc, exec, s[4:5]
                                        ; implicit-def: $sgpr4_sgpr5
	s_cbranch_vccz .LBB8_148
; %bb.143:                              ;   in Loop: Header=BB8_5 Depth=1
	v_readlane_b32 s4, v43, 4
	v_readlane_b32 s5, v43, 5
	s_and_b64 vcc, exec, s[4:5]
                                        ; implicit-def: $sgpr4_sgpr5
	s_cbranch_vccz .LBB8_145
; %bb.144:                              ;   in Loop: Header=BB8_5 Depth=1
	v_cmp_ge_f32_e64 s[4:5], s72, v20
	s_mov_b64 s[0:1], 0
.LBB8_145:                              ;   in Loop: Header=BB8_5 Depth=1
	s_andn2_b64 vcc, exec, s[0:1]
	s_cbranch_vccnz .LBB8_147
; %bb.146:                              ;   in Loop: Header=BB8_5 Depth=1
	v_cmp_ge_f32_e32 vcc, s72, v24
	s_andn2_b64 s[0:1], s[4:5], exec
	s_and_b64 s[4:5], vcc, exec
	s_or_b64 s[4:5], s[0:1], s[4:5]
.LBB8_147:                              ;   in Loop: Header=BB8_5 Depth=1
	s_mov_b64 s[0:1], 0
.LBB8_148:                              ;   in Loop: Header=BB8_5 Depth=1
	s_andn2_b64 vcc, exec, s[0:1]
	s_cbranch_vccnz .LBB8_150
; %bb.149:                              ;   in Loop: Header=BB8_5 Depth=1
	v_cmp_ge_f32_e32 vcc, s72, v24
	v_cmp_ge_f32_e64 s[26:27], s72, v20
	s_and_b64 s[0:1], vcc, s[26:27]
	s_andn2_b64 s[4:5], s[4:5], exec
	s_and_b64 s[0:1], s[0:1], exec
	s_or_b64 s[4:5], s[4:5], s[0:1]
.LBB8_150:                              ;   in Loop: Header=BB8_5 Depth=1
	s_xor_b64 s[4:5], s[4:5], -1
.LBB8_151:                              ;   in Loop: Header=BB8_5 Depth=1
	v_mov_b32_e32 v1, s33
	s_and_saveexec_b64 s[0:1], s[4:5]
	s_cbranch_execz .LBB8_4
; %bb.152:                              ;   in Loop: Header=BB8_5 Depth=1
	s_add_i32 s33, s33, 1
	s_cmp_eq_u32 s33, s11
	s_cselect_b64 s[4:5], -1, 0
	v_mov_b32_e32 v1, s11
	s_orn2_b64 s[28:29], s[4:5], exec
	s_branch .LBB8_4
.LBB8_153:
	s_or_b64 exec, exec, s[86:87]
	v_readlane_b32 s4, v43, 6
	v_readlane_b32 s5, v43, 7
	s_load_dwordx4 s[12:15], s[4:5], 0xb8
	v_readlane_b32 s2, v43, 0
	v_readlane_b32 s3, v43, 1
	s_or_b64 exec, exec, s[2:3]
	s_andn2_b64 vcc, exec, s[68:69]
	s_cbranch_vccnz .LBB8_2
.LBB8_154:
	v_mov_b32_dpp v2, v1 row_shr:1 row_mask:0xf bank_mask:0xf
	v_cmp_ne_u32_e32 vcc, 0, v22
	s_and_saveexec_b64 s[0:1], vcc
; %bb.155:
	v_lshlrev_b32_e32 v3, 2, v21
	v_max_i32_e32 v1, v1, v2
	ds_write_b32 v3, v1 offset:2048
; %bb.156:
	s_or_b64 exec, exec, s[0:1]
	s_movk_i32 s0, 0x100
	v_cmp_gt_u32_e32 vcc, s0, v0
	s_waitcnt vmcnt(0) lgkmcnt(0)
	s_barrier
	s_and_saveexec_b64 s[0:1], vcc
	s_cbranch_execz .LBB8_158
; %bb.157:
	ds_read2st64_b32 v[1:2], v19 offset0:8 offset1:12
	s_waitcnt lgkmcnt(0)
	v_max_i32_e32 v1, v1, v2
	ds_write_b32 v19, v1 offset:2048
.LBB8_158:
	s_or_b64 exec, exec, s[0:1]
	s_movk_i32 s0, 0x80
	v_cmp_gt_u32_e32 vcc, s0, v0
	s_waitcnt lgkmcnt(0)
	s_barrier
	s_and_saveexec_b64 s[0:1], vcc
	s_cbranch_execz .LBB8_160
; %bb.159:
	ds_read2st64_b32 v[1:2], v19 offset0:8 offset1:10
	s_waitcnt lgkmcnt(0)
	v_max_i32_e32 v1, v1, v2
	ds_write_b32 v19, v1 offset:2048
.LBB8_160:
	s_or_b64 exec, exec, s[0:1]
	v_cmp_gt_u32_e32 vcc, 64, v0
	s_waitcnt lgkmcnt(0)
	s_barrier
	s_and_saveexec_b64 s[0:1], vcc
	s_cbranch_execz .LBB8_162
; %bb.161:
	ds_read2st64_b32 v[1:2], v19 offset0:8 offset1:9
	s_waitcnt lgkmcnt(0)
	v_max_i32_e32 v1, v1, v2
	ds_write_b32 v19, v1 offset:2048
.LBB8_162:
	s_or_b64 exec, exec, s[0:1]
	v_cmp_gt_u32_e32 vcc, 32, v0
	s_waitcnt lgkmcnt(0)
	s_barrier
	s_and_saveexec_b64 s[0:1], vcc
	s_cbranch_execz .LBB8_164
; %bb.163:
	v_add_u32_e32 v1, 0x800, v19
	ds_read2_b32 v[1:2], v1 offset1:32
	s_waitcnt lgkmcnt(0)
	v_max_i32_e32 v1, v1, v2
	ds_write_b32 v19, v1 offset:2048
.LBB8_164:
	s_or_b64 exec, exec, s[0:1]
	v_cmp_gt_u32_e32 vcc, 16, v0
	s_waitcnt lgkmcnt(0)
	s_barrier
	s_and_saveexec_b64 s[0:1], vcc
	s_cbranch_execz .LBB8_166
; %bb.165:
	v_add_u32_e32 v1, 0x800, v19
	ds_read2_b32 v[1:2], v1 offset1:16
	s_waitcnt lgkmcnt(0)
	v_max_i32_e32 v1, v1, v2
	ds_write_b32 v19, v1 offset:2048
.LBB8_166:
	;; [unrolled: 13-line block ×5, first 2 shown]
	s_or_b64 exec, exec, s[0:1]
	v_cmp_eq_u32_e32 vcc, 0, v0
	s_waitcnt lgkmcnt(0)
	s_barrier
	s_and_saveexec_b64 s[0:1], vcc
	s_cbranch_execz .LBB8_174
; %bb.173:
	v_mov_b32_e32 v3, 0
	ds_read_b64 v[1:2], v3 offset:2048
	s_waitcnt lgkmcnt(0)
	v_max_i32_e32 v1, v1, v2
	ds_write_b32 v3, v1 offset:2048
.LBB8_174:
	s_or_b64 exec, exec, s[0:1]
	s_waitcnt lgkmcnt(0)
	s_barrier
	s_and_saveexec_b64 s[0:1], vcc
	s_cbranch_execz .LBB8_177
; %bb.175:
	v_mbcnt_lo_u32_b32 v1, exec_lo, 0
	v_mbcnt_hi_u32_b32 v1, exec_hi, v1
	v_cmp_eq_u32_e32 vcc, 0, v1
	s_and_b64 exec, exec, vcc
	s_cbranch_execz .LBB8_177
; %bb.176:
	v_mov_b32_e32 v1, 0
	ds_read_b32 v2, v1 offset:2048
	s_load_dwordx2 s[2:3], s[4:5], 0x8
	s_waitcnt lgkmcnt(0)
	v_add_u32_e32 v2, 1, v2
	global_atomic_smax v1, v2, s[2:3]
.LBB8_177:
	s_or_b64 exec, exec, s[0:1]
	v_cmp_eq_u32_e32 vcc, 0, v0
	s_and_b64 s[0:1], vcc, s[34:35]
	s_and_saveexec_b64 s[2:3], s[0:1]
	s_cbranch_execz .LBB8_184
.LBB8_178:
	s_mov_b64 s[0:1], exec
	v_mov_b32_e32 v0, 0x7fc00000
.LBB8_179:                              ; =>This Inner Loop Header: Depth=1
	s_ff1_i32_b64 s4, s[0:1]
	v_readlane_b32 s6, v24, s4
	s_lshl_b64 s[4:5], 1, s4
	v_max_f32_e32 v0, v0, v0
	v_max_f32_e64 v1, s6, s6
	s_andn2_b64 s[0:1], s[0:1], s[4:5]
	s_cmp_lg_u64 s[0:1], 0
	v_max_f32_e32 v0, v0, v1
	s_cbranch_scc1 .LBB8_179
; %bb.180:
	v_mbcnt_lo_u32_b32 v1, exec_lo, 0
	v_mbcnt_hi_u32_b32 v1, exec_hi, v1
	v_cmp_eq_u32_e64 s[0:1], 0, v1
	s_and_saveexec_b64 s[4:5], s[0:1]
	s_xor_b64 s[4:5], exec, s[4:5]
	s_cbranch_execz .LBB8_184
; %bb.181:
	v_mov_b32_e32 v2, 0
	s_waitcnt lgkmcnt(0)
	global_load_dword v1, v2, s[12:13]
	s_mov_b64 s[4:5], 0
	v_max_f32_e32 v3, v0, v0
.LBB8_182:                              ; =>This Inner Loop Header: Depth=1
	s_waitcnt vmcnt(0)
	v_max_f32_e32 v0, v1, v1
	v_max_f32_e32 v0, v0, v3
	global_atomic_cmpswap v0, v2, v[0:1], s[12:13] glc
	s_waitcnt vmcnt(0)
	v_cmp_eq_u32_e64 s[0:1], v0, v1
	s_or_b64 s[4:5], s[0:1], s[4:5]
	v_mov_b32_e32 v1, v0
	s_andn2_b64 exec, exec, s[4:5]
	s_cbranch_execnz .LBB8_182
; %bb.183:
	s_or_b64 exec, exec, s[4:5]
.LBB8_184:
	s_or_b64 exec, exec, s[2:3]
	s_and_b64 s[0:1], vcc, s[30:31]
	s_and_saveexec_b64 s[2:3], s[0:1]
	s_cbranch_execz .LBB8_190
; %bb.185:
	s_mov_b64 s[0:1], exec
	v_mov_b32_e32 v0, 0x7fc00000
.LBB8_186:                              ; =>This Inner Loop Header: Depth=1
	s_ff1_i32_b64 s2, s[0:1]
	v_readlane_b32 s4, v20, s2
	s_lshl_b64 s[2:3], 1, s2
	v_max_f32_e32 v0, v0, v0
	v_max_f32_e64 v1, s4, s4
	s_andn2_b64 s[0:1], s[0:1], s[2:3]
	s_cmp_lg_u64 s[0:1], 0
	v_max_f32_e32 v0, v0, v1
	s_cbranch_scc1 .LBB8_186
; %bb.187:
	v_mbcnt_lo_u32_b32 v1, exec_lo, 0
	v_mbcnt_hi_u32_b32 v1, exec_hi, v1
	v_cmp_eq_u32_e32 vcc, 0, v1
	s_and_saveexec_b64 s[0:1], vcc
	s_xor_b64 s[0:1], exec, s[0:1]
	s_cbranch_execz .LBB8_190
; %bb.188:
	v_mov_b32_e32 v2, 0
	s_waitcnt lgkmcnt(0)
	global_load_dword v1, v2, s[14:15]
	s_mov_b64 s[0:1], 0
	v_max_f32_e32 v3, v0, v0
.LBB8_189:                              ; =>This Inner Loop Header: Depth=1
	s_waitcnt vmcnt(0)
	v_max_f32_e32 v0, v1, v1
	v_max_f32_e32 v0, v0, v3
	global_atomic_cmpswap v0, v2, v[0:1], s[14:15] glc
	s_waitcnt vmcnt(0)
	v_cmp_eq_u32_e32 vcc, v0, v1
	s_or_b64 s[0:1], vcc, s[0:1]
	v_mov_b32_e32 v1, v0
	s_andn2_b64 exec, exec, s[0:1]
	s_cbranch_execnz .LBB8_189
.LBB8_190:
	s_endpgm
	.section	.rodata,"a",@progbits
	.p2align	6, 0x0
	.amdhsa_kernel _ZN9rocsparseL6kernelILi1024ELi2EfiiEEvbbbT3_PS1_NS_15floating_traitsIT1_E6data_tES1_T2_PKS7_S9_PKS1_PKS4_21rocsparse_index_base_S9_S9_SB_PS4_SF_SE_S9_S9_SB_SF_SF_SE_SF_SF_PS6_SG_PKS6_
		.amdhsa_group_segment_fixed_size 4096
		.amdhsa_private_segment_fixed_size 0
		.amdhsa_kernarg_size 208
		.amdhsa_user_sgpr_count 6
		.amdhsa_user_sgpr_private_segment_buffer 1
		.amdhsa_user_sgpr_dispatch_ptr 0
		.amdhsa_user_sgpr_queue_ptr 0
		.amdhsa_user_sgpr_kernarg_segment_ptr 1
		.amdhsa_user_sgpr_dispatch_id 0
		.amdhsa_user_sgpr_flat_scratch_init 0
		.amdhsa_user_sgpr_private_segment_size 0
		.amdhsa_uses_dynamic_stack 0
		.amdhsa_system_sgpr_private_segment_wavefront_offset 0
		.amdhsa_system_sgpr_workgroup_id_x 1
		.amdhsa_system_sgpr_workgroup_id_y 0
		.amdhsa_system_sgpr_workgroup_id_z 0
		.amdhsa_system_sgpr_workgroup_info 0
		.amdhsa_system_vgpr_workitem_id 0
		.amdhsa_next_free_vgpr 44
		.amdhsa_next_free_sgpr 96
		.amdhsa_reserve_vcc 1
		.amdhsa_reserve_flat_scratch 0
		.amdhsa_float_round_mode_32 0
		.amdhsa_float_round_mode_16_64 0
		.amdhsa_float_denorm_mode_32 3
		.amdhsa_float_denorm_mode_16_64 3
		.amdhsa_dx10_clamp 1
		.amdhsa_ieee_mode 1
		.amdhsa_fp16_overflow 0
		.amdhsa_exception_fp_ieee_invalid_op 0
		.amdhsa_exception_fp_denorm_src 0
		.amdhsa_exception_fp_ieee_div_zero 0
		.amdhsa_exception_fp_ieee_overflow 0
		.amdhsa_exception_fp_ieee_underflow 0
		.amdhsa_exception_fp_ieee_inexact 0
		.amdhsa_exception_int_div_zero 0
	.end_amdhsa_kernel
	.section	.text._ZN9rocsparseL6kernelILi1024ELi2EfiiEEvbbbT3_PS1_NS_15floating_traitsIT1_E6data_tES1_T2_PKS7_S9_PKS1_PKS4_21rocsparse_index_base_S9_S9_SB_PS4_SF_SE_S9_S9_SB_SF_SF_SE_SF_SF_PS6_SG_PKS6_,"axG",@progbits,_ZN9rocsparseL6kernelILi1024ELi2EfiiEEvbbbT3_PS1_NS_15floating_traitsIT1_E6data_tES1_T2_PKS7_S9_PKS1_PKS4_21rocsparse_index_base_S9_S9_SB_PS4_SF_SE_S9_S9_SB_SF_SF_SE_SF_SF_PS6_SG_PKS6_,comdat
.Lfunc_end8:
	.size	_ZN9rocsparseL6kernelILi1024ELi2EfiiEEvbbbT3_PS1_NS_15floating_traitsIT1_E6data_tES1_T2_PKS7_S9_PKS1_PKS4_21rocsparse_index_base_S9_S9_SB_PS4_SF_SE_S9_S9_SB_SF_SF_SE_SF_SF_PS6_SG_PKS6_, .Lfunc_end8-_ZN9rocsparseL6kernelILi1024ELi2EfiiEEvbbbT3_PS1_NS_15floating_traitsIT1_E6data_tES1_T2_PKS7_S9_PKS1_PKS4_21rocsparse_index_base_S9_S9_SB_PS4_SF_SE_S9_S9_SB_SF_SF_SE_SF_SF_PS6_SG_PKS6_
                                        ; -- End function
	.set _ZN9rocsparseL6kernelILi1024ELi2EfiiEEvbbbT3_PS1_NS_15floating_traitsIT1_E6data_tES1_T2_PKS7_S9_PKS1_PKS4_21rocsparse_index_base_S9_S9_SB_PS4_SF_SE_S9_S9_SB_SF_SF_SE_SF_SF_PS6_SG_PKS6_.num_vgpr, 44
	.set _ZN9rocsparseL6kernelILi1024ELi2EfiiEEvbbbT3_PS1_NS_15floating_traitsIT1_E6data_tES1_T2_PKS7_S9_PKS1_PKS4_21rocsparse_index_base_S9_S9_SB_PS4_SF_SE_S9_S9_SB_SF_SF_SE_SF_SF_PS6_SG_PKS6_.num_agpr, 0
	.set _ZN9rocsparseL6kernelILi1024ELi2EfiiEEvbbbT3_PS1_NS_15floating_traitsIT1_E6data_tES1_T2_PKS7_S9_PKS1_PKS4_21rocsparse_index_base_S9_S9_SB_PS4_SF_SE_S9_S9_SB_SF_SF_SE_SF_SF_PS6_SG_PKS6_.numbered_sgpr, 96
	.set _ZN9rocsparseL6kernelILi1024ELi2EfiiEEvbbbT3_PS1_NS_15floating_traitsIT1_E6data_tES1_T2_PKS7_S9_PKS1_PKS4_21rocsparse_index_base_S9_S9_SB_PS4_SF_SE_S9_S9_SB_SF_SF_SE_SF_SF_PS6_SG_PKS6_.num_named_barrier, 0
	.set _ZN9rocsparseL6kernelILi1024ELi2EfiiEEvbbbT3_PS1_NS_15floating_traitsIT1_E6data_tES1_T2_PKS7_S9_PKS1_PKS4_21rocsparse_index_base_S9_S9_SB_PS4_SF_SE_S9_S9_SB_SF_SF_SE_SF_SF_PS6_SG_PKS6_.private_seg_size, 0
	.set _ZN9rocsparseL6kernelILi1024ELi2EfiiEEvbbbT3_PS1_NS_15floating_traitsIT1_E6data_tES1_T2_PKS7_S9_PKS1_PKS4_21rocsparse_index_base_S9_S9_SB_PS4_SF_SE_S9_S9_SB_SF_SF_SE_SF_SF_PS6_SG_PKS6_.uses_vcc, 1
	.set _ZN9rocsparseL6kernelILi1024ELi2EfiiEEvbbbT3_PS1_NS_15floating_traitsIT1_E6data_tES1_T2_PKS7_S9_PKS1_PKS4_21rocsparse_index_base_S9_S9_SB_PS4_SF_SE_S9_S9_SB_SF_SF_SE_SF_SF_PS6_SG_PKS6_.uses_flat_scratch, 0
	.set _ZN9rocsparseL6kernelILi1024ELi2EfiiEEvbbbT3_PS1_NS_15floating_traitsIT1_E6data_tES1_T2_PKS7_S9_PKS1_PKS4_21rocsparse_index_base_S9_S9_SB_PS4_SF_SE_S9_S9_SB_SF_SF_SE_SF_SF_PS6_SG_PKS6_.has_dyn_sized_stack, 0
	.set _ZN9rocsparseL6kernelILi1024ELi2EfiiEEvbbbT3_PS1_NS_15floating_traitsIT1_E6data_tES1_T2_PKS7_S9_PKS1_PKS4_21rocsparse_index_base_S9_S9_SB_PS4_SF_SE_S9_S9_SB_SF_SF_SE_SF_SF_PS6_SG_PKS6_.has_recursion, 0
	.set _ZN9rocsparseL6kernelILi1024ELi2EfiiEEvbbbT3_PS1_NS_15floating_traitsIT1_E6data_tES1_T2_PKS7_S9_PKS1_PKS4_21rocsparse_index_base_S9_S9_SB_PS4_SF_SE_S9_S9_SB_SF_SF_SE_SF_SF_PS6_SG_PKS6_.has_indirect_call, 0
	.section	.AMDGPU.csdata,"",@progbits
; Kernel info:
; codeLenInByte = 5724
; TotalNumSgprs: 100
; NumVgprs: 44
; ScratchSize: 0
; MemoryBound: 0
; FloatMode: 240
; IeeeMode: 1
; LDSByteSize: 4096 bytes/workgroup (compile time only)
; SGPRBlocks: 12
; VGPRBlocks: 10
; NumSGPRsForWavesPerEU: 100
; NumVGPRsForWavesPerEU: 44
; Occupancy: 5
; WaveLimiterHint : 1
; COMPUTE_PGM_RSRC2:SCRATCH_EN: 0
; COMPUTE_PGM_RSRC2:USER_SGPR: 6
; COMPUTE_PGM_RSRC2:TRAP_HANDLER: 0
; COMPUTE_PGM_RSRC2:TGID_X_EN: 1
; COMPUTE_PGM_RSRC2:TGID_Y_EN: 0
; COMPUTE_PGM_RSRC2:TGID_Z_EN: 0
; COMPUTE_PGM_RSRC2:TIDIG_COMP_CNT: 0
	.section	.text._ZN9rocsparseL6kernelILi1024ELi4EfiiEEvbbbT3_PS1_NS_15floating_traitsIT1_E6data_tES1_T2_PKS7_S9_PKS1_PKS4_21rocsparse_index_base_S9_S9_SB_PS4_SF_SE_S9_S9_SB_SF_SF_SE_SF_SF_PS6_SG_PKS6_,"axG",@progbits,_ZN9rocsparseL6kernelILi1024ELi4EfiiEEvbbbT3_PS1_NS_15floating_traitsIT1_E6data_tES1_T2_PKS7_S9_PKS1_PKS4_21rocsparse_index_base_S9_S9_SB_PS4_SF_SE_S9_S9_SB_SF_SF_SE_SF_SF_PS6_SG_PKS6_,comdat
	.globl	_ZN9rocsparseL6kernelILi1024ELi4EfiiEEvbbbT3_PS1_NS_15floating_traitsIT1_E6data_tES1_T2_PKS7_S9_PKS1_PKS4_21rocsparse_index_base_S9_S9_SB_PS4_SF_SE_S9_S9_SB_SF_SF_SE_SF_SF_PS6_SG_PKS6_ ; -- Begin function _ZN9rocsparseL6kernelILi1024ELi4EfiiEEvbbbT3_PS1_NS_15floating_traitsIT1_E6data_tES1_T2_PKS7_S9_PKS1_PKS4_21rocsparse_index_base_S9_S9_SB_PS4_SF_SE_S9_S9_SB_SF_SF_SE_SF_SF_PS6_SG_PKS6_
	.p2align	8
	.type	_ZN9rocsparseL6kernelILi1024ELi4EfiiEEvbbbT3_PS1_NS_15floating_traitsIT1_E6data_tES1_T2_PKS7_S9_PKS1_PKS4_21rocsparse_index_base_S9_S9_SB_PS4_SF_SE_S9_S9_SB_SF_SF_SE_SF_SF_PS6_SG_PKS6_,@function
_ZN9rocsparseL6kernelILi1024ELi4EfiiEEvbbbT3_PS1_NS_15floating_traitsIT1_E6data_tES1_T2_PKS7_S9_PKS1_PKS4_21rocsparse_index_base_S9_S9_SB_PS4_SF_SE_S9_S9_SB_SF_SF_SE_SF_SF_PS6_SG_PKS6_: ; @_ZN9rocsparseL6kernelILi1024ELi4EfiiEEvbbbT3_PS1_NS_15floating_traitsIT1_E6data_tES1_T2_PKS7_S9_PKS1_PKS4_21rocsparse_index_base_S9_S9_SB_PS4_SF_SE_S9_S9_SB_SF_SF_SE_SF_SF_PS6_SG_PKS6_
; %bb.0:
	s_load_dword s0, s[4:5], 0x0
	s_load_dwordx2 s[12:13], s[4:5], 0x0
	s_load_dwordx2 s[70:71], s[4:5], 0x10
	s_load_dwordx4 s[8:11], s[4:5], 0xb8
	v_lshrrev_b32_e32 v21, 2, v0
	s_waitcnt lgkmcnt(0)
	s_bitcmp1_b32 s0, 0
	s_cselect_b64 s[66:67], -1, 0
	s_bitcmp1_b32 s0, 8
	s_cselect_b64 s[64:65], -1, 0
	;; [unrolled: 2-line block ×3, first 2 shown]
	s_lshl_b32 s1, s6, 10
	s_mov_b32 s3, s13
                                        ; implicit-def: $vgpr43 : SGPR spill to VGPR lane
	v_or_b32_e32 v23, s1, v21
	v_writelane_b32 v43, s2, 0
	s_cmp_gt_i32 s13, 0
	v_cmp_gt_i32_e32 vcc, s71, v23
	v_writelane_b32 v43, s3, 1
	s_cselect_b64 s[2:3], -1, 0
	v_and_b32_e32 v22, 3, v0
	v_lshlrev_b32_e32 v19, 2, v0
	s_mov_b32 s30, 0
	v_mov_b32_e32 v20, 0
	s_and_b64 s[2:3], s[2:3], vcc
	v_mov_b32_e32 v24, 0
	v_mov_b32_e32 v1, 0
	ds_write_b32 v19, v20
	s_waitcnt lgkmcnt(0)
	s_barrier
	s_and_saveexec_b64 s[6:7], s[2:3]
	s_cbranch_execnz .LBB9_3
; %bb.1:
	s_or_b64 exec, exec, s[6:7]
	s_andn2_b64 vcc, exec, s[66:67]
	s_cbranch_vccz .LBB9_150
.LBB9_2:
	v_cmp_eq_u32_e32 vcc, 0, v0
	s_and_b64 s[0:1], vcc, s[64:65]
	s_and_saveexec_b64 s[2:3], s[0:1]
	s_cbranch_execnz .LBB9_172
	s_branch .LBB9_178
.LBB9_3:
	s_load_dwordx2 s[2:3], s[4:5], 0xc8
	v_writelane_b32 v43, s6, 2
	v_writelane_b32 v43, s7, 3
	s_load_dwordx4 s[60:63], s[4:5], 0xa8
	s_load_dwordx8 s[36:43], s[4:5], 0x78
	s_load_dwordx8 s[44:51], s[4:5], 0x48
	;; [unrolled: 1-line block ×3, first 2 shown]
	s_load_dword s31, s[4:5], 0x40
	s_load_dwordx2 s[78:79], s[4:5], 0x68
	s_load_dword s33, s[4:5], 0x70
	s_load_dwordx2 s[80:81], s[4:5], 0x98
	s_waitcnt lgkmcnt(0)
	v_writelane_b32 v43, s2, 4
	v_writelane_b32 v43, s3, 5
	s_xor_b64 s[2:3], s[64:65], -1
	v_writelane_b32 v43, s2, 6
	v_writelane_b32 v43, s3, 7
	;; [unrolled: 1-line block ×3, first 2 shown]
	s_addk_i32 s1, 0x400
	v_writelane_b32 v43, s5, 9
	v_cmp_gt_u32_e64 s[2:3], s1, v23
	v_writelane_b32 v43, s2, 10
	v_writelane_b32 v43, s3, 11
	v_cmp_eq_u32_e64 s[2:3], 3, v22
	s_load_dword s0, s[4:5], 0xa0
	v_writelane_b32 v43, s2, 12
	v_writelane_b32 v43, s3, 13
	s_movk_i32 s2, 0x80
	v_cmp_gt_u32_e64 s[6:7], s2, v0
	s_and_b64 s[2:3], s[64:65], s[34:35]
	s_xor_b64 s[2:3], s[2:3], -1
	v_writelane_b32 v43, s2, 14
	v_subrev_u32_e32 v25, s31, v22
	v_lshlrev_b32_e32 v26, 2, v21
	v_cmp_gt_u32_e64 s[8:9], 64, v0
	v_cmp_gt_u32_e64 s[10:11], 32, v0
	v_cmp_gt_u32_e64 s[12:13], 16, v0
	v_cmp_gt_u32_e64 s[14:15], 8, v0
	v_cmp_gt_u32_e64 s[16:17], 4, v0
	v_cmp_gt_u32_e64 s[18:19], 2, v0
	v_cmp_eq_u32_e64 s[20:21], 0, v0
	v_subrev_u32_e32 v27, s33, v22
	s_waitcnt lgkmcnt(0)
	v_subrev_u32_e32 v28, s0, v22
	v_cmp_eq_u32_e64 s[22:23], 0, v22
	v_writelane_b32 v43, s3, 15
	v_mov_b32_e32 v2, 0
	s_mov_b64 s[84:85], 0
	s_movk_i32 s2, 0x1f8
	v_mov_b32_e32 v24, 0
	v_mov_b32_e32 v20, 0
	s_branch .LBB9_5
.LBB9_4:                                ;   in Loop: Header=BB9_5 Depth=1
	s_or_b64 exec, exec, s[4:5]
	s_and_b64 s[4:5], exec, s[26:27]
	s_or_b64 s[84:85], s[4:5], s[84:85]
	s_andn2_b64 exec, exec, s[84:85]
	s_cbranch_execz .LBB9_149
.LBB9_5:                                ; =>This Loop Header: Depth=1
                                        ;     Child Loop BB9_9 Depth 2
                                        ;       Child Loop BB9_14 Depth 3
                                        ;         Child Loop BB9_18 Depth 4
                                        ;         Child Loop BB9_39 Depth 4
                                        ;         Child Loop BB9_53 Depth 4
                                        ;         Child Loop BB9_72 Depth 4
                                        ;         Child Loop BB9_80 Depth 4
                                        ;     Child Loop BB9_128 Depth 2
                                        ;       Child Loop BB9_131 Depth 3
                                        ;       Child Loop BB9_134 Depth 3
	v_cndmask_b32_e64 v24, v24, 0, s[64:65]
	v_cndmask_b32_e64 v20, v20, 0, s[34:35]
	s_mov_b32 s3, 0
	s_branch .LBB9_9
.LBB9_6:                                ;   in Loop: Header=BB9_9 Depth=2
	s_or_b64 exec, exec, s[90:91]
.LBB9_7:                                ;   in Loop: Header=BB9_9 Depth=2
	s_or_b64 exec, exec, s[88:89]
.LBB9_8:                                ;   in Loop: Header=BB9_9 Depth=2
	s_or_b64 exec, exec, s[86:87]
	s_add_i32 s3, s3, 1
	s_cmp_eq_u32 s3, 4
	s_cbranch_scc1 .LBB9_85
.LBB9_9:                                ;   Parent Loop BB9_5 Depth=1
                                        ; =>  This Loop Header: Depth=2
                                        ;       Child Loop BB9_14 Depth 3
                                        ;         Child Loop BB9_18 Depth 4
                                        ;         Child Loop BB9_39 Depth 4
	;; [unrolled: 1-line block ×5, first 2 shown]
	v_lshl_add_u32 v3, s3, 8, v23
	v_cmp_gt_i32_e32 vcc, s71, v3
	s_and_saveexec_b64 s[86:87], vcc
	s_cbranch_execz .LBB9_8
; %bb.10:                               ;   in Loop: Header=BB9_9 Depth=2
	v_ashrrev_i32_e32 v4, 31, v3
	v_lshlrev_b64 v[5:6], 2, v[3:4]
	v_mov_b32_e32 v1, s53
	v_add_co_u32_e32 v7, vcc, s52, v5
	v_addc_co_u32_e32 v8, vcc, v1, v6, vcc
	global_load_dword v1, v[7:8], off
	v_mov_b32_e32 v4, s55
	v_add_co_u32_e32 v7, vcc, s54, v5
	v_addc_co_u32_e32 v8, vcc, v4, v6, vcc
	global_load_dword v7, v[7:8], off
	s_waitcnt vmcnt(1)
	v_add_u32_e32 v4, v25, v1
	s_waitcnt vmcnt(0)
	v_subrev_u32_e32 v29, s31, v7
	v_cmp_lt_i32_e32 vcc, v4, v29
	s_and_saveexec_b64 s[88:89], vcc
	s_cbranch_execz .LBB9_7
; %bb.11:                               ;   in Loop: Header=BB9_9 Depth=2
	v_mov_b32_e32 v1, s47
	v_add_co_u32_e32 v7, vcc, s46, v5
	v_addc_co_u32_e32 v8, vcc, v1, v6, vcc
	v_mov_b32_e32 v1, s45
	v_add_co_u32_e32 v5, vcc, s44, v5
	v_addc_co_u32_e32 v6, vcc, v1, v6, vcc
	global_load_dword v1, v[5:6], off
	s_nop 0
	global_load_dword v5, v[7:8], off
	v_mov_b32_e32 v9, s49
	v_mov_b32_e32 v10, s51
	s_mov_b64 s[90:91], 0
	s_waitcnt vmcnt(1)
	v_subrev_u32_e32 v6, s33, v1
	v_ashrrev_i32_e32 v7, 31, v6
	v_lshlrev_b64 v[7:8], 2, v[6:7]
	s_waitcnt vmcnt(0)
	v_sub_u32_e32 v30, v5, v1
	v_add_co_u32_e32 v31, vcc, s48, v7
	v_addc_co_u32_e32 v32, vcc, v9, v8, vcc
	v_add_co_u32_e32 v33, vcc, s50, v7
	v_cmp_lt_i32_e64 s[24:25], 0, v30
	v_addc_co_u32_e32 v34, vcc, v10, v8, vcc
	s_branch .LBB9_14
.LBB9_12:                               ;   in Loop: Header=BB9_14 Depth=3
	s_or_b64 exec, exec, s[4:5]
.LBB9_13:                               ;   in Loop: Header=BB9_14 Depth=3
	s_or_b64 exec, exec, s[26:27]
	v_add_u32_e32 v4, 4, v4
	v_cmp_ge_i32_e32 vcc, v4, v29
	s_or_b64 s[90:91], vcc, s[90:91]
	s_andn2_b64 exec, exec, s[90:91]
	s_cbranch_execz .LBB9_6
.LBB9_14:                               ;   Parent Loop BB9_5 Depth=1
                                        ;     Parent Loop BB9_9 Depth=2
                                        ; =>    This Loop Header: Depth=3
                                        ;         Child Loop BB9_18 Depth 4
                                        ;         Child Loop BB9_39 Depth 4
	;; [unrolled: 1-line block ×5, first 2 shown]
	v_ashrrev_i32_e32 v5, 31, v4
	v_lshlrev_b64 v[13:14], 2, v[4:5]
	v_mov_b32_e32 v1, s57
	v_add_co_u32_e32 v7, vcc, s56, v13
	v_addc_co_u32_e32 v8, vcc, v1, v14, vcc
	global_load_dword v1, v[7:8], off
	v_mov_b32_e32 v5, s37
	v_mov_b32_e32 v12, s39
	s_waitcnt vmcnt(0)
	v_subrev_u32_e32 v9, s31, v1
	v_ashrrev_i32_e32 v10, 31, v9
	v_lshlrev_b64 v[7:8], 2, v[9:10]
	v_add_co_u32_e32 v10, vcc, s36, v7
	v_addc_co_u32_e32 v11, vcc, v5, v8, vcc
	v_add_co_u32_e32 v15, vcc, s38, v7
	v_addc_co_u32_e32 v16, vcc, v12, v8, vcc
	global_load_dword v1, v[10:11], off
	global_load_dword v12, v[15:16], off
	v_mov_b32_e32 v11, 0
	v_mov_b32_e32 v5, 0
	s_waitcnt vmcnt(1)
	v_subrev_u32_e32 v10, s0, v1
	s_waitcnt vmcnt(0)
	v_sub_u32_e32 v35, v12, v1
	v_mov_b32_e32 v1, v11
	s_and_saveexec_b64 s[26:27], s[24:25]
	s_cbranch_execz .LBB9_22
; %bb.15:                               ;   in Loop: Header=BB9_14 Depth=3
	v_ashrrev_i32_e32 v11, 31, v10
	v_lshlrev_b64 v[11:12], 2, v[10:11]
	v_mov_b32_e32 v1, s41
	v_add_co_u32_e32 v36, vcc, s40, v11
	v_addc_co_u32_e32 v37, vcc, v1, v12, vcc
	v_mov_b32_e32 v1, s43
	v_add_co_u32_e32 v38, vcc, s42, v11
	v_addc_co_u32_e32 v39, vcc, v1, v12, vcc
	v_mov_b32_e32 v1, 0
	v_mov_b32_e32 v5, 0
	s_mov_b64 s[72:73], 0
	v_mov_b32_e32 v11, v1
                                        ; implicit-def: $sgpr76_sgpr77
	s_branch .LBB9_18
.LBB9_16:                               ;   in Loop: Header=BB9_18 Depth=4
	s_or_b64 exec, exec, s[68:69]
	v_cmp_le_i32_e32 vcc, v12, v40
	v_addc_co_u32_e32 v1, vcc, 0, v1, vcc
	v_cmp_ge_i32_e32 vcc, v12, v40
	v_addc_co_u32_e32 v11, vcc, 0, v11, vcc
	v_cmp_ge_i32_e32 vcc, v1, v30
	s_andn2_b64 s[28:29], s[76:77], exec
	s_and_b64 s[68:69], vcc, exec
	s_or_b64 s[76:77], s[28:29], s[68:69]
.LBB9_17:                               ;   in Loop: Header=BB9_18 Depth=4
	s_or_b64 exec, exec, s[4:5]
	s_and_b64 s[4:5], exec, s[76:77]
	s_or_b64 s[72:73], s[4:5], s[72:73]
	s_andn2_b64 exec, exec, s[72:73]
	s_cbranch_execz .LBB9_21
.LBB9_18:                               ;   Parent Loop BB9_5 Depth=1
                                        ;     Parent Loop BB9_9 Depth=2
                                        ;       Parent Loop BB9_14 Depth=3
                                        ; =>      This Inner Loop Header: Depth=4
	v_cmp_lt_i32_e32 vcc, v11, v35
	s_or_b64 s[76:77], s[76:77], exec
	s_and_saveexec_b64 s[4:5], vcc
	s_cbranch_execz .LBB9_17
; %bb.19:                               ;   in Loop: Header=BB9_18 Depth=4
	v_lshlrev_b64 v[15:16], 2, v[1:2]
	v_mov_b32_e32 v12, v2
	v_add_co_u32_e32 v17, vcc, v31, v15
	v_addc_co_u32_e32 v18, vcc, v32, v16, vcc
	global_load_dword v42, v[17:18], off
	v_lshlrev_b64 v[17:18], 2, v[11:12]
	v_add_co_u32_e32 v40, vcc, v36, v17
	v_addc_co_u32_e32 v41, vcc, v37, v18, vcc
	global_load_dword v40, v[40:41], off
	s_waitcnt vmcnt(1)
	v_subrev_u32_e32 v12, s33, v42
	s_waitcnt vmcnt(0)
	v_subrev_u32_e32 v40, s0, v40
	v_cmp_eq_u32_e32 vcc, v12, v40
	s_and_saveexec_b64 s[68:69], vcc
	s_cbranch_execz .LBB9_16
; %bb.20:                               ;   in Loop: Header=BB9_18 Depth=4
	v_add_co_u32_e32 v15, vcc, v33, v15
	v_addc_co_u32_e32 v16, vcc, v34, v16, vcc
	v_add_co_u32_e32 v17, vcc, v38, v17
	v_addc_co_u32_e32 v18, vcc, v39, v18, vcc
	global_load_dword v15, v[15:16], off
	s_nop 0
	global_load_dword v16, v[17:18], off
	s_waitcnt vmcnt(0)
	v_fmac_f32_e32 v5, v15, v16
	s_branch .LBB9_16
.LBB9_21:                               ;   in Loop: Header=BB9_14 Depth=3
	s_or_b64 exec, exec, s[72:73]
.LBB9_22:                               ;   in Loop: Header=BB9_14 Depth=3
	s_or_b64 exec, exec, s[26:27]
	v_mov_b32_e32 v15, s59
	v_add_co_u32_e32 v12, vcc, s58, v13
	v_addc_co_u32_e32 v13, vcc, v15, v14, vcc
	global_load_dword v14, v[12:13], off
	v_cmp_le_i32_e64 s[26:27], v3, v9
	v_cmp_gt_i32_e32 vcc, v3, v9
	s_waitcnt vmcnt(0)
	v_sub_f32_e32 v15, v14, v5
	s_and_saveexec_b64 s[4:5], vcc
	s_cbranch_execnz .LBB9_25
; %bb.23:                               ;   in Loop: Header=BB9_14 Depth=3
	s_or_b64 exec, exec, s[4:5]
	v_cmp_class_f32_e64 s[92:93], v15, s2
	s_and_saveexec_b64 s[94:95], s[92:93]
	s_cbranch_execnz .LBB9_28
.LBB9_24:                               ;   in Loop: Header=BB9_14 Depth=3
	s_or_b64 exec, exec, s[94:95]
	s_and_b64 s[4:5], s[34:35], s[92:93]
	s_and_saveexec_b64 s[26:27], s[4:5]
	s_cbranch_execz .LBB9_13
	s_branch .LBB9_63
.LBB9_25:                               ;   in Loop: Header=BB9_14 Depth=3
	v_mov_b32_e32 v13, s61
	v_add_co_u32_e32 v12, vcc, s60, v7
	v_addc_co_u32_e32 v13, vcc, v13, v8, vcc
	global_load_dword v12, v[12:13], off
	v_mov_b32_e32 v13, 0
	s_waitcnt vmcnt(0)
	v_cmp_lg_f32_e32 vcc, 0, v12
	s_and_saveexec_b64 s[68:69], vcc
	s_cbranch_execz .LBB9_27
; %bb.26:                               ;   in Loop: Header=BB9_14 Depth=3
	v_div_scale_f32 v13, s[28:29], v12, v12, v15
	v_div_scale_f32 v16, vcc, v15, v12, v15
	v_rcp_f32_e32 v17, v13
	v_fma_f32 v18, -v13, v17, 1.0
	v_fmac_f32_e32 v17, v18, v17
	v_mul_f32_e32 v18, v16, v17
	v_fma_f32 v36, -v13, v18, v16
	v_fmac_f32_e32 v18, v36, v17
	v_fma_f32 v13, -v13, v18, v16
	v_div_fmas_f32 v13, v13, v17, v18
	v_div_fixup_f32 v13, v13, v12, v15
.LBB9_27:                               ;   in Loop: Header=BB9_14 Depth=3
	s_or_b64 exec, exec, s[68:69]
	v_mov_b32_e32 v15, v13
	s_or_b64 exec, exec, s[4:5]
	v_cmp_class_f32_e64 s[92:93], v15, s2
	s_and_saveexec_b64 s[94:95], s[92:93]
	s_cbranch_execz .LBB9_24
.LBB9_28:                               ;   in Loop: Header=BB9_14 Depth=3
	s_and_saveexec_b64 s[4:5], s[26:27]
	s_xor_b64 s[26:27], exec, s[4:5]
	s_cbranch_execz .LBB9_49
; %bb.29:                               ;   in Loop: Header=BB9_14 Depth=3
	v_cmp_ge_i32_e32 vcc, v3, v9
	s_and_saveexec_b64 s[4:5], vcc
	s_xor_b64 s[4:5], exec, s[4:5]
	s_cbranch_execz .LBB9_35
; %bb.30:                               ;   in Loop: Header=BB9_14 Depth=3
	v_mov_b32_e32 v13, s63
	v_add_co_u32_e32 v12, vcc, s62, v7
	v_addc_co_u32_e32 v13, vcc, v13, v8, vcc
	s_andn2_b64 vcc, exec, s[64:65]
	global_store_dword v[12:13], v15, off
	s_cbranch_vccnz .LBB9_34
; %bb.31:                               ;   in Loop: Header=BB9_14 Depth=3
	v_mov_b32_e32 v13, s61
	v_add_co_u32_e32 v12, vcc, s60, v7
	v_addc_co_u32_e32 v13, vcc, v13, v8, vcc
	global_load_dword v12, v[12:13], off
	s_waitcnt vmcnt(0)
	v_sub_f32_e32 v12, v12, v15
	v_cmp_class_f32_e64 s[68:69], v12, s2
	s_and_saveexec_b64 s[28:29], s[68:69]
; %bb.32:                               ;   in Loop: Header=BB9_14 Depth=3
	v_cmp_lt_f32_e64 s[68:69], v24, |v12|
	v_cndmask_b32_e64 v24, v24, |v12|, s[68:69]
; %bb.33:                               ;   in Loop: Header=BB9_14 Depth=3
	s_or_b64 exec, exec, s[28:29]
.LBB9_34:                               ;   in Loop: Header=BB9_14 Depth=3
                                        ; implicit-def: $vgpr15
.LBB9_35:                               ;   in Loop: Header=BB9_14 Depth=3
	s_andn2_saveexec_b64 s[72:73], s[4:5]
	s_cbranch_execz .LBB9_48
; %bb.36:                               ;   in Loop: Header=BB9_14 Depth=3
	v_cmp_lt_i32_e32 vcc, v11, v35
	s_and_saveexec_b64 s[76:77], vcc
	s_cbranch_execz .LBB9_47
; %bb.37:                               ;   in Loop: Header=BB9_14 Depth=3
	s_mov_b64 s[74:75], 0
	v_mov_b32_e32 v16, v11
                                        ; implicit-def: $sgpr82_sgpr83
                                        ; implicit-def: $sgpr4_sgpr5
                                        ; implicit-def: $sgpr68_sgpr69
	s_branch .LBB9_39
.LBB9_38:                               ;   in Loop: Header=BB9_39 Depth=4
	s_or_b64 exec, exec, s[28:29]
	s_and_b64 s[28:29], exec, s[4:5]
	s_or_b64 s[74:75], s[28:29], s[74:75]
	s_andn2_b64 s[28:29], s[82:83], exec
	s_and_b64 s[82:83], s[68:69], exec
	s_or_b64 s[82:83], s[28:29], s[82:83]
	s_andn2_b64 exec, exec, s[74:75]
	s_cbranch_execz .LBB9_41
.LBB9_39:                               ;   Parent Loop BB9_5 Depth=1
                                        ;     Parent Loop BB9_9 Depth=2
                                        ;       Parent Loop BB9_14 Depth=3
                                        ; =>      This Inner Loop Header: Depth=4
	v_add_u32_e32 v12, v10, v16
	v_ashrrev_i32_e32 v13, 31, v12
	v_lshlrev_b64 v[12:13], 2, v[12:13]
	v_mov_b32_e32 v18, s41
	v_add_co_u32_e32 v17, vcc, s40, v12
	v_addc_co_u32_e32 v18, vcc, v18, v13, vcc
	global_load_dword v17, v[17:18], off
	s_or_b64 s[68:69], s[68:69], exec
	s_or_b64 s[4:5], s[4:5], exec
	s_waitcnt vmcnt(0)
	v_subrev_u32_e32 v17, s0, v17
	v_cmp_ne_u32_e32 vcc, v17, v3
	s_and_saveexec_b64 s[28:29], vcc
	s_cbranch_execz .LBB9_38
; %bb.40:                               ;   in Loop: Header=BB9_39 Depth=4
	v_add_u32_e32 v16, 1, v16
	v_cmp_ge_i32_e32 vcc, v16, v35
	s_andn2_b64 s[4:5], s[4:5], exec
	s_and_b64 vcc, vcc, exec
	s_andn2_b64 s[68:69], s[68:69], exec
	s_or_b64 s[4:5], s[4:5], vcc
	s_branch .LBB9_38
.LBB9_41:                               ;   in Loop: Header=BB9_14 Depth=3
	s_or_b64 exec, exec, s[74:75]
	s_and_saveexec_b64 s[4:5], s[82:83]
	s_xor_b64 s[4:5], exec, s[4:5]
	s_cbranch_execz .LBB9_46
; %bb.42:                               ;   in Loop: Header=BB9_14 Depth=3
	v_mov_b32_e32 v17, s81
	v_add_co_u32_e32 v16, vcc, s80, v12
	v_addc_co_u32_e32 v17, vcc, v17, v13, vcc
	s_andn2_b64 vcc, exec, s[64:65]
	global_store_dword v[16:17], v15, off
	s_cbranch_vccnz .LBB9_46
; %bb.43:                               ;   in Loop: Header=BB9_14 Depth=3
	v_mov_b32_e32 v16, s43
	v_add_co_u32_e32 v12, vcc, s42, v12
	v_addc_co_u32_e32 v13, vcc, v16, v13, vcc
	global_load_dword v12, v[12:13], off
	s_waitcnt vmcnt(0)
	v_sub_f32_e32 v12, v12, v15
	v_cmp_class_f32_e64 s[68:69], v12, s2
	s_and_saveexec_b64 s[28:29], s[68:69]
; %bb.44:                               ;   in Loop: Header=BB9_14 Depth=3
	v_cmp_lt_f32_e64 s[68:69], v24, |v12|
	v_cndmask_b32_e64 v24, v24, |v12|, s[68:69]
; %bb.45:                               ;   in Loop: Header=BB9_14 Depth=3
	s_or_b64 exec, exec, s[28:29]
.LBB9_46:                               ;   in Loop: Header=BB9_14 Depth=3
	s_or_b64 exec, exec, s[4:5]
.LBB9_47:                               ;   in Loop: Header=BB9_14 Depth=3
	s_or_b64 exec, exec, s[76:77]
.LBB9_48:                               ;   in Loop: Header=BB9_14 Depth=3
	s_or_b64 exec, exec, s[72:73]
                                        ; implicit-def: $vgpr15
.LBB9_49:                               ;   in Loop: Header=BB9_14 Depth=3
	s_andn2_saveexec_b64 s[26:27], s[26:27]
	s_cbranch_execz .LBB9_62
; %bb.50:                               ;   in Loop: Header=BB9_14 Depth=3
	v_cmp_lt_i32_e32 vcc, v1, v30
	s_and_saveexec_b64 s[72:73], vcc
	s_cbranch_execz .LBB9_61
; %bb.51:                               ;   in Loop: Header=BB9_14 Depth=3
	s_mov_b64 s[76:77], 0
	v_mov_b32_e32 v16, v1
                                        ; implicit-def: $sgpr74_sgpr75
                                        ; implicit-def: $sgpr4_sgpr5
                                        ; implicit-def: $sgpr68_sgpr69
	s_branch .LBB9_53
.LBB9_52:                               ;   in Loop: Header=BB9_53 Depth=4
	s_or_b64 exec, exec, s[82:83]
	s_and_b64 s[28:29], exec, s[4:5]
	s_or_b64 s[76:77], s[28:29], s[76:77]
	s_andn2_b64 s[28:29], s[74:75], exec
	s_and_b64 s[74:75], s[68:69], exec
	s_or_b64 s[74:75], s[28:29], s[74:75]
	s_andn2_b64 exec, exec, s[76:77]
	s_cbranch_execz .LBB9_55
.LBB9_53:                               ;   Parent Loop BB9_5 Depth=1
                                        ;     Parent Loop BB9_9 Depth=2
                                        ;       Parent Loop BB9_14 Depth=3
                                        ; =>      This Inner Loop Header: Depth=4
	v_add_u32_e32 v12, v6, v16
	v_ashrrev_i32_e32 v13, 31, v12
	v_lshlrev_b64 v[12:13], 2, v[12:13]
	v_mov_b32_e32 v18, s49
	v_add_co_u32_e32 v17, vcc, s48, v12
	v_addc_co_u32_e32 v18, vcc, v18, v13, vcc
	global_load_dword v17, v[17:18], off
	s_or_b64 s[68:69], s[68:69], exec
	s_or_b64 s[4:5], s[4:5], exec
	s_waitcnt vmcnt(0)
	v_subrev_u32_e32 v17, s33, v17
	v_cmp_ne_u32_e32 vcc, v17, v9
	s_and_saveexec_b64 s[82:83], vcc
	s_cbranch_execz .LBB9_52
; %bb.54:                               ;   in Loop: Header=BB9_53 Depth=4
	v_add_u32_e32 v16, 1, v16
	v_cmp_ge_i32_e32 vcc, v16, v30
	s_andn2_b64 s[4:5], s[4:5], exec
	s_and_b64 s[28:29], vcc, exec
	s_andn2_b64 s[68:69], s[68:69], exec
	s_or_b64 s[4:5], s[4:5], s[28:29]
	s_branch .LBB9_52
.LBB9_55:                               ;   in Loop: Header=BB9_14 Depth=3
	s_or_b64 exec, exec, s[76:77]
	s_and_saveexec_b64 s[4:5], s[74:75]
	s_xor_b64 s[4:5], exec, s[4:5]
	s_cbranch_execz .LBB9_60
; %bb.56:                               ;   in Loop: Header=BB9_14 Depth=3
	v_mov_b32_e32 v17, s79
	v_add_co_u32_e32 v16, vcc, s78, v12
	v_addc_co_u32_e32 v17, vcc, v17, v13, vcc
	s_andn2_b64 vcc, exec, s[64:65]
	global_store_dword v[16:17], v15, off
	s_cbranch_vccnz .LBB9_60
; %bb.57:                               ;   in Loop: Header=BB9_14 Depth=3
	v_mov_b32_e32 v16, s51
	v_add_co_u32_e32 v12, vcc, s50, v12
	v_addc_co_u32_e32 v13, vcc, v16, v13, vcc
	global_load_dword v12, v[12:13], off
	s_waitcnt vmcnt(0)
	v_sub_f32_e32 v12, v12, v15
	v_cmp_class_f32_e64 s[68:69], v12, s2
	s_and_saveexec_b64 s[28:29], s[68:69]
; %bb.58:                               ;   in Loop: Header=BB9_14 Depth=3
	v_cmp_lt_f32_e64 s[68:69], v24, |v12|
	v_cndmask_b32_e64 v24, v24, |v12|, s[68:69]
; %bb.59:                               ;   in Loop: Header=BB9_14 Depth=3
	s_or_b64 exec, exec, s[28:29]
.LBB9_60:                               ;   in Loop: Header=BB9_14 Depth=3
	s_or_b64 exec, exec, s[4:5]
.LBB9_61:                               ;   in Loop: Header=BB9_14 Depth=3
	s_or_b64 exec, exec, s[72:73]
.LBB9_62:                               ;   in Loop: Header=BB9_14 Depth=3
	s_or_b64 exec, exec, s[26:27]
	s_or_b64 exec, exec, s[94:95]
	s_and_b64 s[4:5], s[34:35], s[92:93]
	s_and_saveexec_b64 s[26:27], s[4:5]
	s_cbranch_execz .LBB9_13
.LBB9_63:                               ;   in Loop: Header=BB9_14 Depth=3
	v_cmp_ge_i32_e32 vcc, v11, v35
	s_and_saveexec_b64 s[4:5], vcc
	s_xor_b64 s[72:73], exec, s[4:5]
	s_cbranch_execnz .LBB9_69
; %bb.64:                               ;   in Loop: Header=BB9_14 Depth=3
	s_andn2_saveexec_b64 s[72:73], s[72:73]
	s_cbranch_execnz .LBB9_78
.LBB9_65:                               ;   in Loop: Header=BB9_14 Depth=3
	s_or_b64 exec, exec, s[72:73]
	v_cmp_eq_u32_e32 vcc, v3, v9
	s_and_saveexec_b64 s[4:5], vcc
	s_cbranch_execz .LBB9_67
.LBB9_66:                               ;   in Loop: Header=BB9_14 Depth=3
	v_mov_b32_e32 v1, s61
	v_add_co_u32_e32 v7, vcc, s60, v7
	v_addc_co_u32_e32 v8, vcc, v1, v8, vcc
	global_load_dword v1, v[7:8], off
	s_waitcnt vmcnt(0)
	v_add_f32_e32 v5, v5, v1
.LBB9_67:                               ;   in Loop: Header=BB9_14 Depth=3
	s_or_b64 exec, exec, s[4:5]
	v_sub_f32_e32 v1, v14, v5
	v_cmp_class_f32_e64 s[28:29], v1, s2
	s_and_saveexec_b64 s[4:5], s[28:29]
	s_cbranch_execz .LBB9_12
; %bb.68:                               ;   in Loop: Header=BB9_14 Depth=3
	v_cmp_lt_f32_e64 s[28:29], v20, |v1|
	v_cndmask_b32_e64 v20, v20, |v1|, s[28:29]
	s_branch .LBB9_12
.LBB9_69:                               ;   in Loop: Header=BB9_14 Depth=3
	v_cmp_lt_i32_e32 vcc, v1, v30
	s_and_saveexec_b64 s[76:77], vcc
	s_cbranch_execz .LBB9_77
; %bb.70:                               ;   in Loop: Header=BB9_14 Depth=3
	s_mov_b64 s[74:75], 0
                                        ; implicit-def: $sgpr82_sgpr83
                                        ; implicit-def: $sgpr4_sgpr5
                                        ; implicit-def: $sgpr68_sgpr69
	s_branch .LBB9_72
.LBB9_71:                               ;   in Loop: Header=BB9_72 Depth=4
	s_or_b64 exec, exec, s[28:29]
	s_and_b64 s[28:29], exec, s[4:5]
	s_or_b64 s[74:75], s[28:29], s[74:75]
	s_andn2_b64 s[28:29], s[82:83], exec
	s_and_b64 s[82:83], s[68:69], exec
	s_or_b64 s[82:83], s[28:29], s[82:83]
	s_andn2_b64 exec, exec, s[74:75]
	s_cbranch_execz .LBB9_74
.LBB9_72:                               ;   Parent Loop BB9_5 Depth=1
                                        ;     Parent Loop BB9_9 Depth=2
                                        ;       Parent Loop BB9_14 Depth=3
                                        ; =>      This Inner Loop Header: Depth=4
	v_add_u32_e32 v10, v6, v1
	v_ashrrev_i32_e32 v11, 31, v10
	v_lshlrev_b64 v[10:11], 2, v[10:11]
	v_mov_b32_e32 v13, s49
	v_add_co_u32_e32 v12, vcc, s48, v10
	v_addc_co_u32_e32 v13, vcc, v13, v11, vcc
	global_load_dword v12, v[12:13], off
	s_or_b64 s[68:69], s[68:69], exec
	s_or_b64 s[4:5], s[4:5], exec
	s_waitcnt vmcnt(0)
	v_subrev_u32_e32 v12, s33, v12
	v_cmp_ne_u32_e32 vcc, v12, v9
	s_and_saveexec_b64 s[28:29], vcc
	s_cbranch_execz .LBB9_71
; %bb.73:                               ;   in Loop: Header=BB9_72 Depth=4
	v_add_u32_e32 v1, 1, v1
	v_cmp_ge_i32_e32 vcc, v1, v30
	s_andn2_b64 s[4:5], s[4:5], exec
	s_and_b64 s[92:93], vcc, exec
	s_andn2_b64 s[68:69], s[68:69], exec
	s_or_b64 s[4:5], s[4:5], s[92:93]
	s_branch .LBB9_71
.LBB9_74:                               ;   in Loop: Header=BB9_14 Depth=3
	s_or_b64 exec, exec, s[74:75]
	s_and_saveexec_b64 s[4:5], s[82:83]
	s_xor_b64 s[4:5], exec, s[4:5]
	s_cbranch_execz .LBB9_76
; %bb.75:                               ;   in Loop: Header=BB9_14 Depth=3
	v_mov_b32_e32 v1, s51
	v_add_co_u32_e32 v10, vcc, s50, v10
	v_addc_co_u32_e32 v11, vcc, v1, v11, vcc
	global_load_dword v1, v[10:11], off
	v_mov_b32_e32 v11, s61
	v_add_co_u32_e32 v10, vcc, s60, v7
	v_addc_co_u32_e32 v11, vcc, v11, v8, vcc
	global_load_dword v10, v[10:11], off
	s_waitcnt vmcnt(0)
	v_fmac_f32_e32 v5, v1, v10
.LBB9_76:                               ;   in Loop: Header=BB9_14 Depth=3
	s_or_b64 exec, exec, s[4:5]
.LBB9_77:                               ;   in Loop: Header=BB9_14 Depth=3
	s_or_b64 exec, exec, s[76:77]
                                        ; implicit-def: $vgpr11
                                        ; implicit-def: $vgpr10
                                        ; implicit-def: $vgpr35
	s_andn2_saveexec_b64 s[72:73], s[72:73]
	s_cbranch_execz .LBB9_65
.LBB9_78:                               ;   in Loop: Header=BB9_14 Depth=3
	s_mov_b64 s[74:75], 0
                                        ; implicit-def: $sgpr76_sgpr77
                                        ; implicit-def: $sgpr4_sgpr5
                                        ; implicit-def: $sgpr68_sgpr69
	s_branch .LBB9_80
.LBB9_79:                               ;   in Loop: Header=BB9_80 Depth=4
	s_or_b64 exec, exec, s[28:29]
	s_and_b64 s[28:29], exec, s[4:5]
	s_or_b64 s[74:75], s[28:29], s[74:75]
	s_andn2_b64 s[28:29], s[76:77], exec
	s_and_b64 s[76:77], s[68:69], exec
	s_or_b64 s[76:77], s[28:29], s[76:77]
	s_andn2_b64 exec, exec, s[74:75]
	s_cbranch_execz .LBB9_82
.LBB9_80:                               ;   Parent Loop BB9_5 Depth=1
                                        ;     Parent Loop BB9_9 Depth=2
                                        ;       Parent Loop BB9_14 Depth=3
                                        ; =>      This Inner Loop Header: Depth=4
	v_add_u32_e32 v12, v10, v11
	v_ashrrev_i32_e32 v13, 31, v12
	v_lshlrev_b64 v[12:13], 2, v[12:13]
	v_mov_b32_e32 v1, s41
	v_add_co_u32_e32 v15, vcc, s40, v12
	v_addc_co_u32_e32 v16, vcc, v1, v13, vcc
	global_load_dword v1, v[15:16], off
	s_or_b64 s[68:69], s[68:69], exec
	s_or_b64 s[4:5], s[4:5], exec
	s_waitcnt vmcnt(0)
	v_subrev_u32_e32 v1, s0, v1
	v_cmp_ne_u32_e32 vcc, v1, v3
	s_and_saveexec_b64 s[28:29], vcc
	s_cbranch_execz .LBB9_79
; %bb.81:                               ;   in Loop: Header=BB9_80 Depth=4
	v_add_u32_e32 v11, 1, v11
	v_cmp_ge_i32_e32 vcc, v11, v35
	s_andn2_b64 s[4:5], s[4:5], exec
	s_and_b64 s[82:83], vcc, exec
	s_andn2_b64 s[68:69], s[68:69], exec
	s_or_b64 s[4:5], s[4:5], s[82:83]
	s_branch .LBB9_79
.LBB9_82:                               ;   in Loop: Header=BB9_14 Depth=3
	s_or_b64 exec, exec, s[74:75]
	s_and_saveexec_b64 s[4:5], s[76:77]
	s_xor_b64 s[4:5], exec, s[4:5]
	s_cbranch_execz .LBB9_84
; %bb.83:                               ;   in Loop: Header=BB9_14 Depth=3
	v_mov_b32_e32 v1, s43
	v_add_co_u32_e32 v10, vcc, s42, v12
	v_addc_co_u32_e32 v11, vcc, v1, v13, vcc
	global_load_dword v1, v[10:11], off
	s_waitcnt vmcnt(0)
	v_add_f32_e32 v5, v5, v1
.LBB9_84:                               ;   in Loop: Header=BB9_14 Depth=3
	s_or_b64 exec, exec, s[4:5]
	s_or_b64 exec, exec, s[72:73]
	v_cmp_eq_u32_e32 vcc, v3, v9
	s_and_saveexec_b64 s[4:5], vcc
	s_cbranch_execnz .LBB9_66
	s_branch .LBB9_67
.LBB9_85:                               ;   in Loop: Header=BB9_5 Depth=1
	s_and_b64 vcc, exec, s[64:65]
	s_cbranch_vccz .LBB9_105
; %bb.86:                               ;   in Loop: Header=BB9_5 Depth=1
	v_mov_b32_dpp v1, v24 row_shr:1 row_mask:0xf bank_mask:0xf
	v_cmp_lt_f32_e32 vcc, v24, v1
	v_cndmask_b32_e32 v1, v24, v1, vcc
	s_nop 1
	v_mov_b32_dpp v3, v1 row_shr:2 row_mask:0xf bank_mask:0xf
	s_mov_b64 s[4:5], exec
	v_readlane_b32 s24, v43, 12
	v_readlane_b32 s25, v43, 13
	s_and_b64 s[24:25], s[4:5], s[24:25]
	s_mov_b64 exec, s[24:25]
; %bb.87:                               ;   in Loop: Header=BB9_5 Depth=1
	v_cmp_lt_f32_e32 vcc, v1, v3
	v_cndmask_b32_e32 v1, v1, v3, vcc
	ds_write_b32 v26, v1
; %bb.88:                               ;   in Loop: Header=BB9_5 Depth=1
	s_or_b64 exec, exec, s[4:5]
	s_waitcnt vmcnt(0) lgkmcnt(0)
	s_barrier
	s_and_saveexec_b64 s[4:5], s[6:7]
	s_cbranch_execz .LBB9_90
; %bb.89:                               ;   in Loop: Header=BB9_5 Depth=1
	ds_read2st64_b32 v[3:4], v19 offset1:2
	s_waitcnt lgkmcnt(0)
	v_cmp_lt_f32_e32 vcc, v3, v4
	v_cndmask_b32_e32 v1, v3, v4, vcc
	ds_write_b32 v19, v1
.LBB9_90:                               ;   in Loop: Header=BB9_5 Depth=1
	s_or_b64 exec, exec, s[4:5]
	s_waitcnt lgkmcnt(0)
	s_barrier
	s_and_saveexec_b64 s[4:5], s[8:9]
	s_cbranch_execz .LBB9_92
; %bb.91:                               ;   in Loop: Header=BB9_5 Depth=1
	ds_read2st64_b32 v[3:4], v19 offset1:1
	s_waitcnt lgkmcnt(0)
	v_cmp_lt_f32_e32 vcc, v3, v4
	v_cndmask_b32_e32 v1, v3, v4, vcc
	ds_write_b32 v19, v1
.LBB9_92:                               ;   in Loop: Header=BB9_5 Depth=1
	s_or_b64 exec, exec, s[4:5]
	s_waitcnt lgkmcnt(0)
	s_barrier
	s_and_saveexec_b64 s[4:5], s[10:11]
	s_cbranch_execz .LBB9_94
; %bb.93:                               ;   in Loop: Header=BB9_5 Depth=1
	ds_read2_b32 v[3:4], v19 offset1:32
	s_waitcnt lgkmcnt(0)
	v_cmp_lt_f32_e32 vcc, v3, v4
	v_cndmask_b32_e32 v1, v3, v4, vcc
	ds_write_b32 v19, v1
.LBB9_94:                               ;   in Loop: Header=BB9_5 Depth=1
	s_or_b64 exec, exec, s[4:5]
	s_waitcnt lgkmcnt(0)
	s_barrier
	s_and_saveexec_b64 s[4:5], s[12:13]
	s_cbranch_execz .LBB9_96
; %bb.95:                               ;   in Loop: Header=BB9_5 Depth=1
	ds_read2_b32 v[3:4], v19 offset1:16
	s_waitcnt lgkmcnt(0)
	v_cmp_lt_f32_e32 vcc, v3, v4
	v_cndmask_b32_e32 v1, v3, v4, vcc
	ds_write_b32 v19, v1
.LBB9_96:                               ;   in Loop: Header=BB9_5 Depth=1
	;; [unrolled: 12-line block ×3, first 2 shown]
	s_or_b64 exec, exec, s[4:5]
	s_waitcnt lgkmcnt(0)
	s_barrier
	s_and_saveexec_b64 s[4:5], s[16:17]
	s_cbranch_execz .LBB9_100
; %bb.99:                               ;   in Loop: Header=BB9_5 Depth=1
	ds_read2_b32 v[3:4], v19 offset1:4
	s_waitcnt lgkmcnt(0)
	v_cmp_lt_f32_e32 vcc, v3, v4
	v_cndmask_b32_e32 v1, v3, v4, vcc
	ds_write_b32 v19, v1
.LBB9_100:                              ;   in Loop: Header=BB9_5 Depth=1
	s_or_b64 exec, exec, s[4:5]
	s_waitcnt lgkmcnt(0)
	s_barrier
	s_and_saveexec_b64 s[4:5], s[18:19]
	s_cbranch_execz .LBB9_102
; %bb.101:                              ;   in Loop: Header=BB9_5 Depth=1
	ds_read2_b32 v[3:4], v19 offset1:2
	s_waitcnt lgkmcnt(0)
	v_cmp_lt_f32_e32 vcc, v3, v4
	v_cndmask_b32_e32 v1, v3, v4, vcc
	ds_write_b32 v19, v1
.LBB9_102:                              ;   in Loop: Header=BB9_5 Depth=1
	s_or_b64 exec, exec, s[4:5]
	s_waitcnt lgkmcnt(0)
	s_barrier
	s_and_saveexec_b64 s[4:5], s[20:21]
	s_cbranch_execz .LBB9_104
; %bb.103:                              ;   in Loop: Header=BB9_5 Depth=1
	ds_read_b64 v[3:4], v2
	s_waitcnt lgkmcnt(0)
	v_cmp_lt_f32_e32 vcc, v3, v4
	v_cndmask_b32_e32 v1, v3, v4, vcc
	ds_write_b32 v2, v1
.LBB9_104:                              ;   in Loop: Header=BB9_5 Depth=1
	s_or_b64 exec, exec, s[4:5]
	v_readlane_b32 s4, v43, 4
	v_readlane_b32 s5, v43, 5
	s_waitcnt lgkmcnt(0)
	s_barrier
	ds_read_b32 v1, v2
	s_load_dword s3, s[4:5], 0x0
	s_waitcnt lgkmcnt(0)
	v_div_scale_f32 v3, s[4:5], s3, s3, v1
	v_div_scale_f32 v4, vcc, v1, s3, v1
	v_rcp_f32_e32 v5, v3
	v_fma_f32 v6, -v3, v5, 1.0
	v_fmac_f32_e32 v5, v6, v5
	v_mul_f32_e32 v6, v4, v5
	v_fma_f32 v7, -v3, v6, v4
	v_fmac_f32_e32 v6, v7, v5
	v_fma_f32 v3, -v3, v6, v4
	v_div_fmas_f32 v3, v3, v5, v6
	v_div_fixup_f32 v24, v3, s3, v1
.LBB9_105:                              ;   in Loop: Header=BB9_5 Depth=1
	s_andn2_b64 vcc, exec, s[34:35]
	s_cbranch_vccnz .LBB9_125
; %bb.106:                              ;   in Loop: Header=BB9_5 Depth=1
	v_mov_b32_dpp v1, v20 row_shr:1 row_mask:0xf bank_mask:0xf
	v_cmp_lt_f32_e32 vcc, v20, v1
	v_cndmask_b32_e32 v1, v20, v1, vcc
	s_nop 1
	v_mov_b32_dpp v3, v1 row_shr:2 row_mask:0xf bank_mask:0xf
	s_mov_b64 s[4:5], exec
	v_readlane_b32 s24, v43, 12
	v_readlane_b32 s25, v43, 13
	s_and_b64 s[24:25], s[4:5], s[24:25]
	s_mov_b64 exec, s[24:25]
; %bb.107:                              ;   in Loop: Header=BB9_5 Depth=1
	v_cmp_lt_f32_e32 vcc, v1, v3
	v_cndmask_b32_e32 v1, v1, v3, vcc
	ds_write_b32 v26, v1
; %bb.108:                              ;   in Loop: Header=BB9_5 Depth=1
	s_or_b64 exec, exec, s[4:5]
	s_waitcnt vmcnt(0) lgkmcnt(0)
	s_barrier
	s_and_saveexec_b64 s[4:5], s[6:7]
	s_cbranch_execz .LBB9_110
; %bb.109:                              ;   in Loop: Header=BB9_5 Depth=1
	ds_read2st64_b32 v[3:4], v19 offset1:2
	s_waitcnt lgkmcnt(0)
	v_cmp_lt_f32_e32 vcc, v3, v4
	v_cndmask_b32_e32 v1, v3, v4, vcc
	ds_write_b32 v19, v1
.LBB9_110:                              ;   in Loop: Header=BB9_5 Depth=1
	s_or_b64 exec, exec, s[4:5]
	s_waitcnt lgkmcnt(0)
	s_barrier
	s_and_saveexec_b64 s[4:5], s[8:9]
	s_cbranch_execz .LBB9_112
; %bb.111:                              ;   in Loop: Header=BB9_5 Depth=1
	ds_read2st64_b32 v[3:4], v19 offset1:1
	s_waitcnt lgkmcnt(0)
	v_cmp_lt_f32_e32 vcc, v3, v4
	v_cndmask_b32_e32 v1, v3, v4, vcc
	ds_write_b32 v19, v1
.LBB9_112:                              ;   in Loop: Header=BB9_5 Depth=1
	s_or_b64 exec, exec, s[4:5]
	s_waitcnt lgkmcnt(0)
	s_barrier
	s_and_saveexec_b64 s[4:5], s[10:11]
	s_cbranch_execz .LBB9_114
; %bb.113:                              ;   in Loop: Header=BB9_5 Depth=1
	ds_read2_b32 v[3:4], v19 offset1:32
	s_waitcnt lgkmcnt(0)
	v_cmp_lt_f32_e32 vcc, v3, v4
	v_cndmask_b32_e32 v1, v3, v4, vcc
	ds_write_b32 v19, v1
.LBB9_114:                              ;   in Loop: Header=BB9_5 Depth=1
	s_or_b64 exec, exec, s[4:5]
	s_waitcnt lgkmcnt(0)
	s_barrier
	s_and_saveexec_b64 s[4:5], s[12:13]
	s_cbranch_execz .LBB9_116
; %bb.115:                              ;   in Loop: Header=BB9_5 Depth=1
	ds_read2_b32 v[3:4], v19 offset1:16
	s_waitcnt lgkmcnt(0)
	v_cmp_lt_f32_e32 vcc, v3, v4
	v_cndmask_b32_e32 v1, v3, v4, vcc
	ds_write_b32 v19, v1
.LBB9_116:                              ;   in Loop: Header=BB9_5 Depth=1
	;; [unrolled: 12-line block ×5, first 2 shown]
	s_or_b64 exec, exec, s[4:5]
	s_waitcnt lgkmcnt(0)
	s_barrier
	s_and_saveexec_b64 s[4:5], s[20:21]
	s_cbranch_execz .LBB9_124
; %bb.123:                              ;   in Loop: Header=BB9_5 Depth=1
	ds_read_b64 v[3:4], v2
	s_waitcnt lgkmcnt(0)
	v_cmp_lt_f32_e32 vcc, v3, v4
	v_cndmask_b32_e32 v1, v3, v4, vcc
	ds_write_b32 v2, v1
.LBB9_124:                              ;   in Loop: Header=BB9_5 Depth=1
	s_or_b64 exec, exec, s[4:5]
	v_readlane_b32 s4, v43, 4
	v_readlane_b32 s5, v43, 5
	s_waitcnt lgkmcnt(0)
	s_barrier
	ds_read_b32 v1, v2
	s_load_dword s3, s[4:5], 0x0
	s_waitcnt lgkmcnt(0)
	v_div_scale_f32 v3, s[4:5], s3, s3, v1
	v_div_scale_f32 v4, vcc, v1, s3, v1
	v_rcp_f32_e32 v5, v3
	v_fma_f32 v6, -v3, v5, 1.0
	v_fmac_f32_e32 v5, v6, v5
	v_mul_f32_e32 v6, v4, v5
	v_fma_f32 v7, -v3, v6, v4
	v_fmac_f32_e32 v6, v7, v5
	v_fma_f32 v3, -v3, v6, v4
	v_div_fmas_f32 v3, v3, v5, v6
	v_div_fixup_f32 v20, v3, s3, v1
.LBB9_125:                              ;   in Loop: Header=BB9_5 Depth=1
	s_mov_b64 s[24:25], exec
	v_readlane_b32 s4, v43, 10
	v_readlane_b32 s5, v43, 11
	s_and_b64 s[4:5], s[24:25], s[4:5]
	s_mov_b64 exec, s[4:5]
	s_cbranch_execz .LBB9_137
; %bb.126:                              ;   in Loop: Header=BB9_5 Depth=1
	s_mov_b64 s[26:27], 0
	v_mov_b32_e32 v3, v23
	s_branch .LBB9_128
.LBB9_127:                              ;   in Loop: Header=BB9_128 Depth=2
	s_or_b64 exec, exec, s[86:87]
	v_add_u32_e32 v3, 0x100, v3
	v_cmp_le_u32_e32 vcc, s1, v3
	s_or_b64 s[26:27], vcc, s[26:27]
	s_andn2_b64 exec, exec, s[26:27]
	s_cbranch_execz .LBB9_137
.LBB9_128:                              ;   Parent Loop BB9_5 Depth=1
                                        ; =>  This Loop Header: Depth=2
                                        ;       Child Loop BB9_131 Depth 3
                                        ;       Child Loop BB9_134 Depth 3
	v_cmp_gt_i32_e32 vcc, s71, v3
	s_and_saveexec_b64 s[86:87], vcc
	s_cbranch_execz .LBB9_127
; %bb.129:                              ;   in Loop: Header=BB9_128 Depth=2
	v_ashrrev_i32_e32 v4, 31, v3
	v_lshlrev_b64 v[4:5], 2, v[3:4]
	v_mov_b32_e32 v1, s45
	v_add_co_u32_e32 v6, vcc, s44, v4
	v_addc_co_u32_e32 v7, vcc, v1, v5, vcc
	global_load_dword v1, v[6:7], off
	v_mov_b32_e32 v7, s47
	v_add_co_u32_e32 v6, vcc, s46, v4
	v_addc_co_u32_e32 v7, vcc, v7, v5, vcc
	global_load_dword v7, v[6:7], off
	s_waitcnt vmcnt(1)
	v_add_u32_e32 v6, v27, v1
	s_waitcnt vmcnt(0)
	v_subrev_u32_e32 v1, s33, v7
	v_cmp_lt_i32_e32 vcc, v6, v1
	s_and_saveexec_b64 s[4:5], vcc
	s_cbranch_execz .LBB9_132
; %bb.130:                              ;   in Loop: Header=BB9_128 Depth=2
	v_ashrrev_i32_e32 v7, 31, v6
	v_lshlrev_b64 v[9:10], 2, v[6:7]
	v_mov_b32_e32 v8, s79
	v_add_co_u32_e32 v7, vcc, s78, v9
	v_addc_co_u32_e32 v8, vcc, v8, v10, vcc
	v_mov_b32_e32 v11, s51
	v_add_co_u32_e32 v9, vcc, s50, v9
	v_addc_co_u32_e32 v10, vcc, v11, v10, vcc
	s_mov_b64 s[68:69], 0
.LBB9_131:                              ;   Parent Loop BB9_5 Depth=1
                                        ;     Parent Loop BB9_128 Depth=2
                                        ; =>    This Inner Loop Header: Depth=3
	global_load_dword v11, v[7:8], off
	v_add_co_u32_e32 v7, vcc, 16, v7
	v_add_u32_e32 v6, 4, v6
	v_addc_co_u32_e32 v8, vcc, 0, v8, vcc
	v_cmp_ge_i32_e32 vcc, v6, v1
	s_or_b64 s[68:69], vcc, s[68:69]
	s_waitcnt vmcnt(0)
	global_store_dword v[9:10], v11, off
	v_add_co_u32_e32 v9, vcc, 16, v9
	v_addc_co_u32_e32 v10, vcc, 0, v10, vcc
	s_andn2_b64 exec, exec, s[68:69]
	s_cbranch_execnz .LBB9_131
.LBB9_132:                              ;   in Loop: Header=BB9_128 Depth=2
	s_or_b64 exec, exec, s[4:5]
	v_mov_b32_e32 v1, s37
	v_add_co_u32_e32 v6, vcc, s36, v4
	v_addc_co_u32_e32 v7, vcc, v1, v5, vcc
	global_load_dword v1, v[6:7], off
	v_mov_b32_e32 v7, s39
	v_add_co_u32_e32 v6, vcc, s38, v4
	v_addc_co_u32_e32 v7, vcc, v7, v5, vcc
	global_load_dword v7, v[6:7], off
	s_waitcnt vmcnt(1)
	v_add_u32_e32 v6, v28, v1
	s_waitcnt vmcnt(0)
	v_subrev_u32_e32 v1, s0, v7
	v_cmp_lt_i32_e32 vcc, v6, v1
	s_and_saveexec_b64 s[4:5], vcc
	s_cbranch_execz .LBB9_135
; %bb.133:                              ;   in Loop: Header=BB9_128 Depth=2
	v_ashrrev_i32_e32 v7, 31, v6
	v_lshlrev_b64 v[9:10], 2, v[6:7]
	v_mov_b32_e32 v8, s81
	v_add_co_u32_e32 v7, vcc, s80, v9
	v_addc_co_u32_e32 v8, vcc, v8, v10, vcc
	v_mov_b32_e32 v11, s43
	v_add_co_u32_e32 v9, vcc, s42, v9
	v_addc_co_u32_e32 v10, vcc, v11, v10, vcc
	s_mov_b64 s[68:69], 0
.LBB9_134:                              ;   Parent Loop BB9_5 Depth=1
                                        ;     Parent Loop BB9_128 Depth=2
                                        ; =>    This Inner Loop Header: Depth=3
	global_load_dword v11, v[7:8], off
	v_add_co_u32_e32 v7, vcc, 16, v7
	v_add_u32_e32 v6, 4, v6
	v_addc_co_u32_e32 v8, vcc, 0, v8, vcc
	v_cmp_ge_i32_e32 vcc, v6, v1
	s_or_b64 s[68:69], vcc, s[68:69]
	s_waitcnt vmcnt(0)
	global_store_dword v[9:10], v11, off
	v_add_co_u32_e32 v9, vcc, 16, v9
	v_addc_co_u32_e32 v10, vcc, 0, v10, vcc
	s_andn2_b64 exec, exec, s[68:69]
	s_cbranch_execnz .LBB9_134
.LBB9_135:                              ;   in Loop: Header=BB9_128 Depth=2
	s_or_b64 exec, exec, s[4:5]
	s_and_b64 exec, exec, s[22:23]
	s_cbranch_execz .LBB9_127
; %bb.136:                              ;   in Loop: Header=BB9_128 Depth=2
	v_mov_b32_e32 v1, s63
	v_add_co_u32_e32 v6, vcc, s62, v4
	v_addc_co_u32_e32 v7, vcc, v1, v5, vcc
	global_load_dword v1, v[6:7], off
	v_mov_b32_e32 v6, s61
	v_add_co_u32_e32 v4, vcc, s60, v4
	v_addc_co_u32_e32 v5, vcc, v6, v5, vcc
	s_waitcnt vmcnt(0)
	global_store_dword v[4:5], v1, off
	s_branch .LBB9_127
.LBB9_137:                              ;   in Loop: Header=BB9_5 Depth=1
	s_or_b64 exec, exec, s[24:25]
	s_mov_b64 s[26:27], -1
	s_and_b64 vcc, exec, s[66:67]
	s_mov_b64 s[24:25], -1
	s_cbranch_vccz .LBB9_147
; %bb.138:                              ;   in Loop: Header=BB9_5 Depth=1
	v_readlane_b32 s4, v43, 14
	v_readlane_b32 s5, v43, 15
	s_and_b64 vcc, exec, s[4:5]
                                        ; implicit-def: $sgpr4_sgpr5
	s_cbranch_vccz .LBB9_144
; %bb.139:                              ;   in Loop: Header=BB9_5 Depth=1
	v_readlane_b32 s4, v43, 6
	v_readlane_b32 s5, v43, 7
	s_and_b64 vcc, exec, s[4:5]
                                        ; implicit-def: $sgpr4_sgpr5
	s_cbranch_vccz .LBB9_141
; %bb.140:                              ;   in Loop: Header=BB9_5 Depth=1
	v_cmp_ge_f32_e64 s[4:5], s70, v20
	s_mov_b64 s[24:25], 0
.LBB9_141:                              ;   in Loop: Header=BB9_5 Depth=1
	s_andn2_b64 vcc, exec, s[24:25]
	s_cbranch_vccnz .LBB9_143
; %bb.142:                              ;   in Loop: Header=BB9_5 Depth=1
	v_cmp_ge_f32_e32 vcc, s70, v24
	s_andn2_b64 s[4:5], s[4:5], exec
	s_and_b64 s[24:25], vcc, exec
	s_or_b64 s[4:5], s[4:5], s[24:25]
.LBB9_143:                              ;   in Loop: Header=BB9_5 Depth=1
	s_mov_b64 s[24:25], 0
.LBB9_144:                              ;   in Loop: Header=BB9_5 Depth=1
	s_andn2_b64 vcc, exec, s[24:25]
	s_cbranch_vccnz .LBB9_146
; %bb.145:                              ;   in Loop: Header=BB9_5 Depth=1
	v_cmp_ge_f32_e32 vcc, s70, v24
	v_cmp_ge_f32_e64 s[24:25], s70, v20
	s_and_b64 s[24:25], vcc, s[24:25]
	s_andn2_b64 s[4:5], s[4:5], exec
	s_and_b64 s[24:25], s[24:25], exec
	s_or_b64 s[4:5], s[4:5], s[24:25]
.LBB9_146:                              ;   in Loop: Header=BB9_5 Depth=1
	s_xor_b64 s[24:25], s[4:5], -1
.LBB9_147:                              ;   in Loop: Header=BB9_5 Depth=1
	v_mov_b32_e32 v1, s30
	s_and_saveexec_b64 s[4:5], s[24:25]
	s_cbranch_execz .LBB9_4
; %bb.148:                              ;   in Loop: Header=BB9_5 Depth=1
	v_readlane_b32 s24, v43, 0
	s_add_i32 s30, s30, 1
	v_readlane_b32 s25, v43, 1
	s_cmp_eq_u32 s30, s25
	s_mov_b32 s3, s25
	s_cselect_b64 s[24:25], -1, 0
	v_mov_b32_e32 v1, s3
	s_orn2_b64 s[26:27], s[24:25], exec
	s_branch .LBB9_4
.LBB9_149:
	s_or_b64 exec, exec, s[84:85]
	v_readlane_b32 s4, v43, 8
	v_readlane_b32 s5, v43, 9
	s_load_dwordx4 s[8:11], s[4:5], 0xb8
	v_readlane_b32 s6, v43, 2
	v_readlane_b32 s7, v43, 3
	s_or_b64 exec, exec, s[6:7]
	s_andn2_b64 vcc, exec, s[66:67]
	s_cbranch_vccnz .LBB9_2
.LBB9_150:
	v_mov_b32_dpp v2, v1 row_shr:1 row_mask:0xf bank_mask:0xf
	v_max_i32_e32 v1, v1, v2
	v_cmp_eq_u32_e32 vcc, 3, v22
	s_nop 0
	v_mov_b32_dpp v2, v1 row_shr:2 row_mask:0xf bank_mask:0xf
	s_and_saveexec_b64 s[0:1], vcc
; %bb.151:
	v_lshlrev_b32_e32 v3, 2, v21
	v_max_i32_e32 v1, v1, v2
	ds_write_b32 v3, v1 offset:1024
; %bb.152:
	s_or_b64 exec, exec, s[0:1]
	s_movk_i32 s0, 0x80
	v_cmp_gt_u32_e32 vcc, s0, v0
	s_waitcnt vmcnt(0) lgkmcnt(0)
	s_barrier
	s_and_saveexec_b64 s[0:1], vcc
	s_cbranch_execz .LBB9_154
; %bb.153:
	ds_read2st64_b32 v[1:2], v19 offset0:4 offset1:6
	s_waitcnt lgkmcnt(0)
	v_max_i32_e32 v1, v1, v2
	ds_write_b32 v19, v1 offset:1024
.LBB9_154:
	s_or_b64 exec, exec, s[0:1]
	v_cmp_gt_u32_e32 vcc, 64, v0
	s_waitcnt lgkmcnt(0)
	s_barrier
	s_and_saveexec_b64 s[0:1], vcc
	s_cbranch_execz .LBB9_156
; %bb.155:
	ds_read2st64_b32 v[1:2], v19 offset0:4 offset1:5
	s_waitcnt lgkmcnt(0)
	v_max_i32_e32 v1, v1, v2
	ds_write_b32 v19, v1 offset:1024
.LBB9_156:
	s_or_b64 exec, exec, s[0:1]
	v_cmp_gt_u32_e32 vcc, 32, v0
	s_waitcnt lgkmcnt(0)
	s_barrier
	s_and_saveexec_b64 s[0:1], vcc
	s_cbranch_execz .LBB9_158
; %bb.157:
	v_add_u32_e32 v1, 0x400, v19
	ds_read2_b32 v[1:2], v1 offset1:32
	s_waitcnt lgkmcnt(0)
	v_max_i32_e32 v1, v1, v2
	ds_write_b32 v19, v1 offset:1024
.LBB9_158:
	s_or_b64 exec, exec, s[0:1]
	v_cmp_gt_u32_e32 vcc, 16, v0
	s_waitcnt lgkmcnt(0)
	s_barrier
	s_and_saveexec_b64 s[0:1], vcc
	s_cbranch_execz .LBB9_160
; %bb.159:
	v_add_u32_e32 v1, 0x400, v19
	ds_read2_b32 v[1:2], v1 offset1:16
	s_waitcnt lgkmcnt(0)
	v_max_i32_e32 v1, v1, v2
	ds_write_b32 v19, v1 offset:1024
.LBB9_160:
	;; [unrolled: 13-line block ×5, first 2 shown]
	s_or_b64 exec, exec, s[0:1]
	v_cmp_eq_u32_e32 vcc, 0, v0
	s_waitcnt lgkmcnt(0)
	s_barrier
	s_and_saveexec_b64 s[0:1], vcc
	s_cbranch_execz .LBB9_168
; %bb.167:
	v_mov_b32_e32 v3, 0
	ds_read_b64 v[1:2], v3 offset:1024
	s_waitcnt lgkmcnt(0)
	v_max_i32_e32 v1, v1, v2
	ds_write_b32 v3, v1 offset:1024
.LBB9_168:
	s_or_b64 exec, exec, s[0:1]
	s_waitcnt lgkmcnt(0)
	s_barrier
	s_and_saveexec_b64 s[0:1], vcc
	s_cbranch_execz .LBB9_171
; %bb.169:
	v_mbcnt_lo_u32_b32 v1, exec_lo, 0
	v_mbcnt_hi_u32_b32 v1, exec_hi, v1
	v_cmp_eq_u32_e32 vcc, 0, v1
	s_and_b64 exec, exec, vcc
	s_cbranch_execz .LBB9_171
; %bb.170:
	v_mov_b32_e32 v1, 0
	ds_read_b32 v2, v1 offset:1024
	s_load_dwordx2 s[2:3], s[4:5], 0x8
	s_waitcnt lgkmcnt(0)
	v_add_u32_e32 v2, 1, v2
	global_atomic_smax v1, v2, s[2:3]
.LBB9_171:
	s_or_b64 exec, exec, s[0:1]
	v_cmp_eq_u32_e32 vcc, 0, v0
	s_and_b64 s[0:1], vcc, s[64:65]
	s_and_saveexec_b64 s[2:3], s[0:1]
	s_cbranch_execz .LBB9_178
.LBB9_172:
	s_mov_b64 s[0:1], exec
	v_mov_b32_e32 v0, 0x7fc00000
.LBB9_173:                              ; =>This Inner Loop Header: Depth=1
	s_ff1_i32_b64 s4, s[0:1]
	v_readlane_b32 s6, v24, s4
	s_lshl_b64 s[4:5], 1, s4
	v_max_f32_e32 v0, v0, v0
	v_max_f32_e64 v1, s6, s6
	s_andn2_b64 s[0:1], s[0:1], s[4:5]
	s_cmp_lg_u64 s[0:1], 0
	v_max_f32_e32 v0, v0, v1
	s_cbranch_scc1 .LBB9_173
; %bb.174:
	v_mbcnt_lo_u32_b32 v1, exec_lo, 0
	v_mbcnt_hi_u32_b32 v1, exec_hi, v1
	v_cmp_eq_u32_e64 s[0:1], 0, v1
	s_and_saveexec_b64 s[4:5], s[0:1]
	s_xor_b64 s[4:5], exec, s[4:5]
	s_cbranch_execz .LBB9_178
; %bb.175:
	v_mov_b32_e32 v2, 0
	s_waitcnt lgkmcnt(0)
	global_load_dword v1, v2, s[8:9]
	s_mov_b64 s[4:5], 0
	v_max_f32_e32 v3, v0, v0
.LBB9_176:                              ; =>This Inner Loop Header: Depth=1
	s_waitcnt vmcnt(0)
	v_max_f32_e32 v0, v1, v1
	v_max_f32_e32 v0, v0, v3
	global_atomic_cmpswap v0, v2, v[0:1], s[8:9] glc
	s_waitcnt vmcnt(0)
	v_cmp_eq_u32_e64 s[0:1], v0, v1
	s_or_b64 s[4:5], s[0:1], s[4:5]
	v_mov_b32_e32 v1, v0
	s_andn2_b64 exec, exec, s[4:5]
	s_cbranch_execnz .LBB9_176
; %bb.177:
	s_or_b64 exec, exec, s[4:5]
.LBB9_178:
	s_or_b64 exec, exec, s[2:3]
	s_and_b64 s[0:1], vcc, s[34:35]
	s_and_saveexec_b64 s[2:3], s[0:1]
	s_cbranch_execz .LBB9_184
; %bb.179:
	s_mov_b64 s[0:1], exec
	v_mov_b32_e32 v0, 0x7fc00000
.LBB9_180:                              ; =>This Inner Loop Header: Depth=1
	s_ff1_i32_b64 s2, s[0:1]
	v_readlane_b32 s4, v20, s2
	s_lshl_b64 s[2:3], 1, s2
	v_max_f32_e32 v0, v0, v0
	v_max_f32_e64 v1, s4, s4
	s_andn2_b64 s[0:1], s[0:1], s[2:3]
	s_cmp_lg_u64 s[0:1], 0
	v_max_f32_e32 v0, v0, v1
	s_cbranch_scc1 .LBB9_180
; %bb.181:
	v_mbcnt_lo_u32_b32 v1, exec_lo, 0
	v_mbcnt_hi_u32_b32 v1, exec_hi, v1
	v_cmp_eq_u32_e32 vcc, 0, v1
	s_and_saveexec_b64 s[0:1], vcc
	s_xor_b64 s[0:1], exec, s[0:1]
	s_cbranch_execz .LBB9_184
; %bb.182:
	v_mov_b32_e32 v2, 0
	s_waitcnt lgkmcnt(0)
	global_load_dword v1, v2, s[10:11]
	s_mov_b64 s[0:1], 0
	v_max_f32_e32 v3, v0, v0
.LBB9_183:                              ; =>This Inner Loop Header: Depth=1
	s_waitcnt vmcnt(0)
	v_max_f32_e32 v0, v1, v1
	v_max_f32_e32 v0, v0, v3
	global_atomic_cmpswap v0, v2, v[0:1], s[10:11] glc
	s_waitcnt vmcnt(0)
	v_cmp_eq_u32_e32 vcc, v0, v1
	s_or_b64 s[0:1], vcc, s[0:1]
	v_mov_b32_e32 v1, v0
	s_andn2_b64 exec, exec, s[0:1]
	s_cbranch_execnz .LBB9_183
.LBB9_184:
	s_endpgm
	.section	.rodata,"a",@progbits
	.p2align	6, 0x0
	.amdhsa_kernel _ZN9rocsparseL6kernelILi1024ELi4EfiiEEvbbbT3_PS1_NS_15floating_traitsIT1_E6data_tES1_T2_PKS7_S9_PKS1_PKS4_21rocsparse_index_base_S9_S9_SB_PS4_SF_SE_S9_S9_SB_SF_SF_SE_SF_SF_PS6_SG_PKS6_
		.amdhsa_group_segment_fixed_size 2048
		.amdhsa_private_segment_fixed_size 0
		.amdhsa_kernarg_size 208
		.amdhsa_user_sgpr_count 6
		.amdhsa_user_sgpr_private_segment_buffer 1
		.amdhsa_user_sgpr_dispatch_ptr 0
		.amdhsa_user_sgpr_queue_ptr 0
		.amdhsa_user_sgpr_kernarg_segment_ptr 1
		.amdhsa_user_sgpr_dispatch_id 0
		.amdhsa_user_sgpr_flat_scratch_init 0
		.amdhsa_user_sgpr_private_segment_size 0
		.amdhsa_uses_dynamic_stack 0
		.amdhsa_system_sgpr_private_segment_wavefront_offset 0
		.amdhsa_system_sgpr_workgroup_id_x 1
		.amdhsa_system_sgpr_workgroup_id_y 0
		.amdhsa_system_sgpr_workgroup_id_z 0
		.amdhsa_system_sgpr_workgroup_info 0
		.amdhsa_system_vgpr_workitem_id 0
		.amdhsa_next_free_vgpr 44
		.amdhsa_next_free_sgpr 96
		.amdhsa_reserve_vcc 1
		.amdhsa_reserve_flat_scratch 0
		.amdhsa_float_round_mode_32 0
		.amdhsa_float_round_mode_16_64 0
		.amdhsa_float_denorm_mode_32 3
		.amdhsa_float_denorm_mode_16_64 3
		.amdhsa_dx10_clamp 1
		.amdhsa_ieee_mode 1
		.amdhsa_fp16_overflow 0
		.amdhsa_exception_fp_ieee_invalid_op 0
		.amdhsa_exception_fp_denorm_src 0
		.amdhsa_exception_fp_ieee_div_zero 0
		.amdhsa_exception_fp_ieee_overflow 0
		.amdhsa_exception_fp_ieee_underflow 0
		.amdhsa_exception_fp_ieee_inexact 0
		.amdhsa_exception_int_div_zero 0
	.end_amdhsa_kernel
	.section	.text._ZN9rocsparseL6kernelILi1024ELi4EfiiEEvbbbT3_PS1_NS_15floating_traitsIT1_E6data_tES1_T2_PKS7_S9_PKS1_PKS4_21rocsparse_index_base_S9_S9_SB_PS4_SF_SE_S9_S9_SB_SF_SF_SE_SF_SF_PS6_SG_PKS6_,"axG",@progbits,_ZN9rocsparseL6kernelILi1024ELi4EfiiEEvbbbT3_PS1_NS_15floating_traitsIT1_E6data_tES1_T2_PKS7_S9_PKS1_PKS4_21rocsparse_index_base_S9_S9_SB_PS4_SF_SE_S9_S9_SB_SF_SF_SE_SF_SF_PS6_SG_PKS6_,comdat
.Lfunc_end9:
	.size	_ZN9rocsparseL6kernelILi1024ELi4EfiiEEvbbbT3_PS1_NS_15floating_traitsIT1_E6data_tES1_T2_PKS7_S9_PKS1_PKS4_21rocsparse_index_base_S9_S9_SB_PS4_SF_SE_S9_S9_SB_SF_SF_SE_SF_SF_PS6_SG_PKS6_, .Lfunc_end9-_ZN9rocsparseL6kernelILi1024ELi4EfiiEEvbbbT3_PS1_NS_15floating_traitsIT1_E6data_tES1_T2_PKS7_S9_PKS1_PKS4_21rocsparse_index_base_S9_S9_SB_PS4_SF_SE_S9_S9_SB_SF_SF_SE_SF_SF_PS6_SG_PKS6_
                                        ; -- End function
	.set _ZN9rocsparseL6kernelILi1024ELi4EfiiEEvbbbT3_PS1_NS_15floating_traitsIT1_E6data_tES1_T2_PKS7_S9_PKS1_PKS4_21rocsparse_index_base_S9_S9_SB_PS4_SF_SE_S9_S9_SB_SF_SF_SE_SF_SF_PS6_SG_PKS6_.num_vgpr, 44
	.set _ZN9rocsparseL6kernelILi1024ELi4EfiiEEvbbbT3_PS1_NS_15floating_traitsIT1_E6data_tES1_T2_PKS7_S9_PKS1_PKS4_21rocsparse_index_base_S9_S9_SB_PS4_SF_SE_S9_S9_SB_SF_SF_SE_SF_SF_PS6_SG_PKS6_.num_agpr, 0
	.set _ZN9rocsparseL6kernelILi1024ELi4EfiiEEvbbbT3_PS1_NS_15floating_traitsIT1_E6data_tES1_T2_PKS7_S9_PKS1_PKS4_21rocsparse_index_base_S9_S9_SB_PS4_SF_SE_S9_S9_SB_SF_SF_SE_SF_SF_PS6_SG_PKS6_.numbered_sgpr, 96
	.set _ZN9rocsparseL6kernelILi1024ELi4EfiiEEvbbbT3_PS1_NS_15floating_traitsIT1_E6data_tES1_T2_PKS7_S9_PKS1_PKS4_21rocsparse_index_base_S9_S9_SB_PS4_SF_SE_S9_S9_SB_SF_SF_SE_SF_SF_PS6_SG_PKS6_.num_named_barrier, 0
	.set _ZN9rocsparseL6kernelILi1024ELi4EfiiEEvbbbT3_PS1_NS_15floating_traitsIT1_E6data_tES1_T2_PKS7_S9_PKS1_PKS4_21rocsparse_index_base_S9_S9_SB_PS4_SF_SE_S9_S9_SB_SF_SF_SE_SF_SF_PS6_SG_PKS6_.private_seg_size, 0
	.set _ZN9rocsparseL6kernelILi1024ELi4EfiiEEvbbbT3_PS1_NS_15floating_traitsIT1_E6data_tES1_T2_PKS7_S9_PKS1_PKS4_21rocsparse_index_base_S9_S9_SB_PS4_SF_SE_S9_S9_SB_SF_SF_SE_SF_SF_PS6_SG_PKS6_.uses_vcc, 1
	.set _ZN9rocsparseL6kernelILi1024ELi4EfiiEEvbbbT3_PS1_NS_15floating_traitsIT1_E6data_tES1_T2_PKS7_S9_PKS1_PKS4_21rocsparse_index_base_S9_S9_SB_PS4_SF_SE_S9_S9_SB_SF_SF_SE_SF_SF_PS6_SG_PKS6_.uses_flat_scratch, 0
	.set _ZN9rocsparseL6kernelILi1024ELi4EfiiEEvbbbT3_PS1_NS_15floating_traitsIT1_E6data_tES1_T2_PKS7_S9_PKS1_PKS4_21rocsparse_index_base_S9_S9_SB_PS4_SF_SE_S9_S9_SB_SF_SF_SE_SF_SF_PS6_SG_PKS6_.has_dyn_sized_stack, 0
	.set _ZN9rocsparseL6kernelILi1024ELi4EfiiEEvbbbT3_PS1_NS_15floating_traitsIT1_E6data_tES1_T2_PKS7_S9_PKS1_PKS4_21rocsparse_index_base_S9_S9_SB_PS4_SF_SE_S9_S9_SB_SF_SF_SE_SF_SF_PS6_SG_PKS6_.has_recursion, 0
	.set _ZN9rocsparseL6kernelILi1024ELi4EfiiEEvbbbT3_PS1_NS_15floating_traitsIT1_E6data_tES1_T2_PKS7_S9_PKS1_PKS4_21rocsparse_index_base_S9_S9_SB_PS4_SF_SE_S9_S9_SB_SF_SF_SE_SF_SF_PS6_SG_PKS6_.has_indirect_call, 0
	.section	.AMDGPU.csdata,"",@progbits
; Kernel info:
; codeLenInByte = 5520
; TotalNumSgprs: 100
; NumVgprs: 44
; ScratchSize: 0
; MemoryBound: 0
; FloatMode: 240
; IeeeMode: 1
; LDSByteSize: 2048 bytes/workgroup (compile time only)
; SGPRBlocks: 12
; VGPRBlocks: 10
; NumSGPRsForWavesPerEU: 100
; NumVGPRsForWavesPerEU: 44
; Occupancy: 5
; WaveLimiterHint : 1
; COMPUTE_PGM_RSRC2:SCRATCH_EN: 0
; COMPUTE_PGM_RSRC2:USER_SGPR: 6
; COMPUTE_PGM_RSRC2:TRAP_HANDLER: 0
; COMPUTE_PGM_RSRC2:TGID_X_EN: 1
; COMPUTE_PGM_RSRC2:TGID_Y_EN: 0
; COMPUTE_PGM_RSRC2:TGID_Z_EN: 0
; COMPUTE_PGM_RSRC2:TIDIG_COMP_CNT: 0
	.section	.text._ZN9rocsparseL6kernelILi1024ELi8EfiiEEvbbbT3_PS1_NS_15floating_traitsIT1_E6data_tES1_T2_PKS7_S9_PKS1_PKS4_21rocsparse_index_base_S9_S9_SB_PS4_SF_SE_S9_S9_SB_SF_SF_SE_SF_SF_PS6_SG_PKS6_,"axG",@progbits,_ZN9rocsparseL6kernelILi1024ELi8EfiiEEvbbbT3_PS1_NS_15floating_traitsIT1_E6data_tES1_T2_PKS7_S9_PKS1_PKS4_21rocsparse_index_base_S9_S9_SB_PS4_SF_SE_S9_S9_SB_SF_SF_SE_SF_SF_PS6_SG_PKS6_,comdat
	.globl	_ZN9rocsparseL6kernelILi1024ELi8EfiiEEvbbbT3_PS1_NS_15floating_traitsIT1_E6data_tES1_T2_PKS7_S9_PKS1_PKS4_21rocsparse_index_base_S9_S9_SB_PS4_SF_SE_S9_S9_SB_SF_SF_SE_SF_SF_PS6_SG_PKS6_ ; -- Begin function _ZN9rocsparseL6kernelILi1024ELi8EfiiEEvbbbT3_PS1_NS_15floating_traitsIT1_E6data_tES1_T2_PKS7_S9_PKS1_PKS4_21rocsparse_index_base_S9_S9_SB_PS4_SF_SE_S9_S9_SB_SF_SF_SE_SF_SF_PS6_SG_PKS6_
	.p2align	8
	.type	_ZN9rocsparseL6kernelILi1024ELi8EfiiEEvbbbT3_PS1_NS_15floating_traitsIT1_E6data_tES1_T2_PKS7_S9_PKS1_PKS4_21rocsparse_index_base_S9_S9_SB_PS4_SF_SE_S9_S9_SB_SF_SF_SE_SF_SF_PS6_SG_PKS6_,@function
_ZN9rocsparseL6kernelILi1024ELi8EfiiEEvbbbT3_PS1_NS_15floating_traitsIT1_E6data_tES1_T2_PKS7_S9_PKS1_PKS4_21rocsparse_index_base_S9_S9_SB_PS4_SF_SE_S9_S9_SB_SF_SF_SE_SF_SF_PS6_SG_PKS6_: ; @_ZN9rocsparseL6kernelILi1024ELi8EfiiEEvbbbT3_PS1_NS_15floating_traitsIT1_E6data_tES1_T2_PKS7_S9_PKS1_PKS4_21rocsparse_index_base_S9_S9_SB_PS4_SF_SE_S9_S9_SB_SF_SF_SE_SF_SF_PS6_SG_PKS6_
; %bb.0:
	s_load_dword s0, s[4:5], 0x0
	s_load_dwordx2 s[2:3], s[4:5], 0x0
	s_load_dwordx2 s[68:69], s[4:5], 0x10
	s_load_dwordx4 s[8:11], s[4:5], 0xb8
	v_lshrrev_b32_e32 v21, 3, v0
	s_waitcnt lgkmcnt(0)
	s_bitcmp1_b32 s0, 0
	s_cselect_b64 s[64:65], -1, 0
	s_bitcmp1_b32 s0, 8
	s_cselect_b64 s[34:35], -1, 0
	;; [unrolled: 2-line block ×3, first 2 shown]
	s_lshl_b32 s31, s6, 10
	s_mov_b32 s1, s3
                                        ; implicit-def: $vgpr43 : SGPR spill to VGPR lane
	v_or_b32_e32 v23, s31, v21
	v_writelane_b32 v43, s0, 0
	s_cmp_gt_i32 s3, 0
	v_cmp_gt_i32_e32 vcc, s69, v23
	v_writelane_b32 v43, s1, 1
	s_cselect_b64 s[0:1], -1, 0
	v_and_b32_e32 v22, 7, v0
	v_lshlrev_b32_e32 v19, 2, v0
	s_mov_b32 s33, 0
	v_mov_b32_e32 v20, 0
	s_and_b64 s[0:1], s[0:1], vcc
	v_mov_b32_e32 v24, 0
	v_mov_b32_e32 v1, 0
	ds_write_b32 v19, v20
	s_waitcnt lgkmcnt(0)
	s_barrier
	s_and_saveexec_b64 s[2:3], s[0:1]
	s_cbranch_execnz .LBB10_3
; %bb.1:
	s_or_b64 exec, exec, s[2:3]
	s_andn2_b64 vcc, exec, s[64:65]
	s_cbranch_vccz .LBB10_146
.LBB10_2:
	v_cmp_eq_u32_e32 vcc, 0, v0
	s_and_b64 s[0:1], vcc, s[34:35]
	s_and_saveexec_b64 s[2:3], s[0:1]
	s_cbranch_execnz .LBB10_166
	s_branch .LBB10_172
.LBB10_3:
	s_load_dwordx2 s[0:1], s[4:5], 0xc8
	v_writelane_b32 v43, s2, 2
	v_writelane_b32 v43, s3, 3
	s_addk_i32 s31, 0x400
	s_load_dwordx4 s[60:63], s[4:5], 0xa8
	s_load_dwordx8 s[36:43], s[4:5], 0x78
	s_waitcnt lgkmcnt(0)
	v_writelane_b32 v43, s0, 4
	v_writelane_b32 v43, s1, 5
	s_xor_b64 s[0:1], s[34:35], -1
	v_writelane_b32 v43, s0, 6
	v_writelane_b32 v43, s1, 7
	v_cmp_gt_u32_e64 s[0:1], s31, v23
	v_writelane_b32 v43, s0, 8
	v_writelane_b32 v43, s1, 9
	s_and_b64 s[0:1], s[34:35], s[26:27]
	s_xor_b64 s[0:1], s[0:1], -1
	v_writelane_b32 v43, s0, 10
	s_load_dword s28, s[4:5], 0x40
	s_load_dwordx2 s[76:77], s[4:5], 0x68
	s_load_dword s29, s[4:5], 0x70
	s_load_dwordx2 s[78:79], s[4:5], 0x98
	s_load_dword s30, s[4:5], 0xa0
	v_writelane_b32 v43, s1, 11
	s_load_dwordx8 s[44:51], s[4:5], 0x48
	v_writelane_b32 v43, s4, 12
	s_load_dwordx8 s[52:59], s[4:5], 0x20
	s_waitcnt lgkmcnt(0)
	v_subrev_u32_e32 v25, s28, v22
	v_cmp_eq_u32_e64 s[2:3], 7, v22
	v_lshlrev_b32_e32 v26, 2, v21
	v_cmp_gt_u32_e64 s[6:7], 64, v0
	v_cmp_gt_u32_e64 s[8:9], 32, v0
	;; [unrolled: 1-line block ×6, first 2 shown]
	v_cmp_eq_u32_e64 s[18:19], 0, v0
	v_subrev_u32_e32 v27, s29, v22
	v_subrev_u32_e32 v28, s30, v22
	v_cmp_eq_u32_e64 s[20:21], 0, v22
	v_mov_b32_e32 v2, 0
	s_mov_b64 s[82:83], 0
	s_movk_i32 s0, 0x1f8
	v_mov_b32_e32 v24, 0
	v_mov_b32_e32 v20, 0
	v_writelane_b32 v43, s5, 13
	s_branch .LBB10_5
.LBB10_4:                               ;   in Loop: Header=BB10_5 Depth=1
	s_or_b64 exec, exec, s[4:5]
	s_and_b64 s[4:5], exec, s[24:25]
	s_or_b64 s[82:83], s[4:5], s[82:83]
	s_andn2_b64 exec, exec, s[82:83]
	s_cbranch_execz .LBB10_145
.LBB10_5:                               ; =>This Loop Header: Depth=1
                                        ;     Child Loop BB10_9 Depth 2
                                        ;       Child Loop BB10_14 Depth 3
                                        ;         Child Loop BB10_18 Depth 4
                                        ;         Child Loop BB10_39 Depth 4
	;; [unrolled: 1-line block ×5, first 2 shown]
                                        ;     Child Loop BB10_124 Depth 2
                                        ;       Child Loop BB10_127 Depth 3
                                        ;       Child Loop BB10_130 Depth 3
	v_cndmask_b32_e64 v24, v24, 0, s[34:35]
	v_cndmask_b32_e64 v20, v20, 0, s[26:27]
	s_mov_b32 s1, 0
	s_branch .LBB10_9
.LBB10_6:                               ;   in Loop: Header=BB10_9 Depth=2
	s_or_b64 exec, exec, s[88:89]
.LBB10_7:                               ;   in Loop: Header=BB10_9 Depth=2
	s_or_b64 exec, exec, s[86:87]
.LBB10_8:                               ;   in Loop: Header=BB10_9 Depth=2
	s_or_b64 exec, exec, s[84:85]
	s_add_i32 s1, s1, 1
	s_cmp_eq_u32 s1, 8
	s_cbranch_scc1 .LBB10_85
.LBB10_9:                               ;   Parent Loop BB10_5 Depth=1
                                        ; =>  This Loop Header: Depth=2
                                        ;       Child Loop BB10_14 Depth 3
                                        ;         Child Loop BB10_18 Depth 4
                                        ;         Child Loop BB10_39 Depth 4
	;; [unrolled: 1-line block ×5, first 2 shown]
	v_lshl_add_u32 v3, s1, 7, v23
	v_cmp_gt_i32_e32 vcc, s69, v3
	s_and_saveexec_b64 s[84:85], vcc
	s_cbranch_execz .LBB10_8
; %bb.10:                               ;   in Loop: Header=BB10_9 Depth=2
	v_ashrrev_i32_e32 v4, 31, v3
	v_lshlrev_b64 v[5:6], 2, v[3:4]
	v_mov_b32_e32 v1, s53
	v_add_co_u32_e32 v7, vcc, s52, v5
	v_addc_co_u32_e32 v8, vcc, v1, v6, vcc
	global_load_dword v1, v[7:8], off
	v_mov_b32_e32 v4, s55
	v_add_co_u32_e32 v7, vcc, s54, v5
	v_addc_co_u32_e32 v8, vcc, v4, v6, vcc
	global_load_dword v7, v[7:8], off
	s_waitcnt vmcnt(1)
	v_add_u32_e32 v4, v25, v1
	s_waitcnt vmcnt(0)
	v_subrev_u32_e32 v29, s28, v7
	v_cmp_lt_i32_e32 vcc, v4, v29
	s_and_saveexec_b64 s[86:87], vcc
	s_cbranch_execz .LBB10_7
; %bb.11:                               ;   in Loop: Header=BB10_9 Depth=2
	v_mov_b32_e32 v1, s47
	v_add_co_u32_e32 v7, vcc, s46, v5
	v_addc_co_u32_e32 v8, vcc, v1, v6, vcc
	v_mov_b32_e32 v1, s45
	v_add_co_u32_e32 v5, vcc, s44, v5
	v_addc_co_u32_e32 v6, vcc, v1, v6, vcc
	global_load_dword v1, v[5:6], off
	s_nop 0
	global_load_dword v5, v[7:8], off
	v_mov_b32_e32 v9, s49
	v_mov_b32_e32 v10, s51
	s_mov_b64 s[88:89], 0
	s_waitcnt vmcnt(1)
	v_subrev_u32_e32 v6, s29, v1
	v_ashrrev_i32_e32 v7, 31, v6
	v_lshlrev_b64 v[7:8], 2, v[6:7]
	s_waitcnt vmcnt(0)
	v_sub_u32_e32 v30, v5, v1
	v_add_co_u32_e32 v31, vcc, s48, v7
	v_addc_co_u32_e32 v32, vcc, v9, v8, vcc
	v_add_co_u32_e32 v33, vcc, s50, v7
	v_cmp_lt_i32_e64 s[22:23], 0, v30
	v_addc_co_u32_e32 v34, vcc, v10, v8, vcc
	s_branch .LBB10_14
.LBB10_12:                              ;   in Loop: Header=BB10_14 Depth=3
	s_or_b64 exec, exec, s[4:5]
.LBB10_13:                              ;   in Loop: Header=BB10_14 Depth=3
	s_or_b64 exec, exec, s[24:25]
	v_add_u32_e32 v4, 8, v4
	v_cmp_ge_i32_e32 vcc, v4, v29
	s_or_b64 s[88:89], vcc, s[88:89]
	s_andn2_b64 exec, exec, s[88:89]
	s_cbranch_execz .LBB10_6
.LBB10_14:                              ;   Parent Loop BB10_5 Depth=1
                                        ;     Parent Loop BB10_9 Depth=2
                                        ; =>    This Loop Header: Depth=3
                                        ;         Child Loop BB10_18 Depth 4
                                        ;         Child Loop BB10_39 Depth 4
	;; [unrolled: 1-line block ×5, first 2 shown]
	v_ashrrev_i32_e32 v5, 31, v4
	v_lshlrev_b64 v[13:14], 2, v[4:5]
	v_mov_b32_e32 v1, s57
	v_add_co_u32_e32 v7, vcc, s56, v13
	v_addc_co_u32_e32 v8, vcc, v1, v14, vcc
	global_load_dword v1, v[7:8], off
	v_mov_b32_e32 v5, s37
	v_mov_b32_e32 v12, s39
	s_waitcnt vmcnt(0)
	v_subrev_u32_e32 v9, s28, v1
	v_ashrrev_i32_e32 v10, 31, v9
	v_lshlrev_b64 v[7:8], 2, v[9:10]
	v_add_co_u32_e32 v10, vcc, s36, v7
	v_addc_co_u32_e32 v11, vcc, v5, v8, vcc
	v_add_co_u32_e32 v15, vcc, s38, v7
	v_addc_co_u32_e32 v16, vcc, v12, v8, vcc
	global_load_dword v1, v[10:11], off
	global_load_dword v12, v[15:16], off
	v_mov_b32_e32 v11, 0
	v_mov_b32_e32 v5, 0
	s_waitcnt vmcnt(1)
	v_subrev_u32_e32 v10, s30, v1
	s_waitcnt vmcnt(0)
	v_sub_u32_e32 v35, v12, v1
	v_mov_b32_e32 v1, v11
	s_and_saveexec_b64 s[24:25], s[22:23]
	s_cbranch_execz .LBB10_22
; %bb.15:                               ;   in Loop: Header=BB10_14 Depth=3
	v_ashrrev_i32_e32 v11, 31, v10
	v_lshlrev_b64 v[11:12], 2, v[10:11]
	v_mov_b32_e32 v1, s41
	v_add_co_u32_e32 v36, vcc, s40, v11
	v_addc_co_u32_e32 v37, vcc, v1, v12, vcc
	v_mov_b32_e32 v1, s43
	v_add_co_u32_e32 v38, vcc, s42, v11
	v_addc_co_u32_e32 v39, vcc, v1, v12, vcc
	v_mov_b32_e32 v1, 0
	v_mov_b32_e32 v5, 0
	s_mov_b64 s[70:71], 0
	v_mov_b32_e32 v11, v1
                                        ; implicit-def: $sgpr90_sgpr91
	s_branch .LBB10_18
.LBB10_16:                              ;   in Loop: Header=BB10_18 Depth=4
	s_or_b64 exec, exec, s[72:73]
	v_cmp_le_i32_e32 vcc, v12, v40
	v_addc_co_u32_e32 v1, vcc, 0, v1, vcc
	v_cmp_ge_i32_e32 vcc, v12, v40
	v_addc_co_u32_e32 v11, vcc, 0, v11, vcc
	v_cmp_ge_i32_e32 vcc, v1, v30
	s_andn2_b64 s[4:5], s[90:91], exec
	s_and_b64 s[72:73], vcc, exec
	s_or_b64 s[90:91], s[4:5], s[72:73]
.LBB10_17:                              ;   in Loop: Header=BB10_18 Depth=4
	s_or_b64 exec, exec, s[66:67]
	s_and_b64 s[4:5], exec, s[90:91]
	s_or_b64 s[70:71], s[4:5], s[70:71]
	s_andn2_b64 exec, exec, s[70:71]
	s_cbranch_execz .LBB10_21
.LBB10_18:                              ;   Parent Loop BB10_5 Depth=1
                                        ;     Parent Loop BB10_9 Depth=2
                                        ;       Parent Loop BB10_14 Depth=3
                                        ; =>      This Inner Loop Header: Depth=4
	v_cmp_lt_i32_e32 vcc, v11, v35
	s_or_b64 s[90:91], s[90:91], exec
	s_and_saveexec_b64 s[66:67], vcc
	s_cbranch_execz .LBB10_17
; %bb.19:                               ;   in Loop: Header=BB10_18 Depth=4
	v_lshlrev_b64 v[15:16], 2, v[1:2]
	v_mov_b32_e32 v12, v2
	v_add_co_u32_e32 v17, vcc, v31, v15
	v_addc_co_u32_e32 v18, vcc, v32, v16, vcc
	global_load_dword v42, v[17:18], off
	v_lshlrev_b64 v[17:18], 2, v[11:12]
	v_add_co_u32_e32 v40, vcc, v36, v17
	v_addc_co_u32_e32 v41, vcc, v37, v18, vcc
	global_load_dword v40, v[40:41], off
	s_waitcnt vmcnt(1)
	v_subrev_u32_e32 v12, s29, v42
	s_waitcnt vmcnt(0)
	v_subrev_u32_e32 v40, s30, v40
	v_cmp_eq_u32_e32 vcc, v12, v40
	s_and_saveexec_b64 s[72:73], vcc
	s_cbranch_execz .LBB10_16
; %bb.20:                               ;   in Loop: Header=BB10_18 Depth=4
	v_add_co_u32_e32 v15, vcc, v33, v15
	v_addc_co_u32_e32 v16, vcc, v34, v16, vcc
	v_add_co_u32_e32 v17, vcc, v38, v17
	v_addc_co_u32_e32 v18, vcc, v39, v18, vcc
	global_load_dword v15, v[15:16], off
	s_nop 0
	global_load_dword v16, v[17:18], off
	s_waitcnt vmcnt(0)
	v_fmac_f32_e32 v5, v15, v16
	s_branch .LBB10_16
.LBB10_21:                              ;   in Loop: Header=BB10_14 Depth=3
	s_or_b64 exec, exec, s[70:71]
.LBB10_22:                              ;   in Loop: Header=BB10_14 Depth=3
	s_or_b64 exec, exec, s[24:25]
	v_mov_b32_e32 v15, s59
	v_add_co_u32_e32 v12, vcc, s58, v13
	v_addc_co_u32_e32 v13, vcc, v15, v14, vcc
	global_load_dword v14, v[12:13], off
	v_cmp_le_i32_e64 s[24:25], v3, v9
	v_cmp_gt_i32_e32 vcc, v3, v9
	s_waitcnt vmcnt(0)
	v_sub_f32_e32 v15, v14, v5
	s_and_saveexec_b64 s[66:67], vcc
	s_cbranch_execnz .LBB10_25
; %bb.23:                               ;   in Loop: Header=BB10_14 Depth=3
	s_or_b64 exec, exec, s[66:67]
	v_cmp_class_f32_e64 s[90:91], v15, s0
	s_and_saveexec_b64 s[92:93], s[90:91]
	s_cbranch_execnz .LBB10_28
.LBB10_24:                              ;   in Loop: Header=BB10_14 Depth=3
	s_or_b64 exec, exec, s[92:93]
	s_and_b64 s[4:5], s[26:27], s[90:91]
	s_and_saveexec_b64 s[24:25], s[4:5]
	s_cbranch_execz .LBB10_13
	s_branch .LBB10_63
.LBB10_25:                              ;   in Loop: Header=BB10_14 Depth=3
	v_mov_b32_e32 v13, s61
	v_add_co_u32_e32 v12, vcc, s60, v7
	v_addc_co_u32_e32 v13, vcc, v13, v8, vcc
	global_load_dword v12, v[12:13], off
	v_mov_b32_e32 v13, 0
	s_waitcnt vmcnt(0)
	v_cmp_lg_f32_e32 vcc, 0, v12
	s_and_saveexec_b64 s[70:71], vcc
	s_cbranch_execz .LBB10_27
; %bb.26:                               ;   in Loop: Header=BB10_14 Depth=3
	v_div_scale_f32 v13, s[4:5], v12, v12, v15
	v_div_scale_f32 v16, vcc, v15, v12, v15
	v_rcp_f32_e32 v17, v13
	v_fma_f32 v18, -v13, v17, 1.0
	v_fmac_f32_e32 v17, v18, v17
	v_mul_f32_e32 v18, v16, v17
	v_fma_f32 v36, -v13, v18, v16
	v_fmac_f32_e32 v18, v36, v17
	v_fma_f32 v13, -v13, v18, v16
	v_div_fmas_f32 v13, v13, v17, v18
	v_div_fixup_f32 v13, v13, v12, v15
.LBB10_27:                              ;   in Loop: Header=BB10_14 Depth=3
	s_or_b64 exec, exec, s[70:71]
	v_mov_b32_e32 v15, v13
	s_or_b64 exec, exec, s[66:67]
	v_cmp_class_f32_e64 s[90:91], v15, s0
	s_and_saveexec_b64 s[92:93], s[90:91]
	s_cbranch_execz .LBB10_24
.LBB10_28:                              ;   in Loop: Header=BB10_14 Depth=3
	s_and_saveexec_b64 s[4:5], s[24:25]
	s_xor_b64 s[24:25], exec, s[4:5]
	s_cbranch_execz .LBB10_49
; %bb.29:                               ;   in Loop: Header=BB10_14 Depth=3
	v_cmp_ge_i32_e32 vcc, v3, v9
	s_and_saveexec_b64 s[4:5], vcc
	s_xor_b64 s[66:67], exec, s[4:5]
	s_cbranch_execz .LBB10_35
; %bb.30:                               ;   in Loop: Header=BB10_14 Depth=3
	v_mov_b32_e32 v13, s63
	v_add_co_u32_e32 v12, vcc, s62, v7
	v_addc_co_u32_e32 v13, vcc, v13, v8, vcc
	s_andn2_b64 vcc, exec, s[34:35]
	global_store_dword v[12:13], v15, off
	s_cbranch_vccnz .LBB10_34
; %bb.31:                               ;   in Loop: Header=BB10_14 Depth=3
	v_mov_b32_e32 v13, s61
	v_add_co_u32_e32 v12, vcc, s60, v7
	v_addc_co_u32_e32 v13, vcc, v13, v8, vcc
	global_load_dword v12, v[12:13], off
	s_waitcnt vmcnt(0)
	v_sub_f32_e32 v12, v12, v15
	v_cmp_class_f32_e64 s[70:71], v12, s0
	s_and_saveexec_b64 s[4:5], s[70:71]
; %bb.32:                               ;   in Loop: Header=BB10_14 Depth=3
	v_cmp_lt_f32_e64 s[70:71], v24, |v12|
	v_cndmask_b32_e64 v24, v24, |v12|, s[70:71]
; %bb.33:                               ;   in Loop: Header=BB10_14 Depth=3
	s_or_b64 exec, exec, s[4:5]
.LBB10_34:                              ;   in Loop: Header=BB10_14 Depth=3
                                        ; implicit-def: $vgpr15
.LBB10_35:                              ;   in Loop: Header=BB10_14 Depth=3
	s_andn2_saveexec_b64 s[94:95], s[66:67]
	s_cbranch_execz .LBB10_48
; %bb.36:                               ;   in Loop: Header=BB10_14 Depth=3
	v_cmp_lt_i32_e32 vcc, v11, v35
	s_and_saveexec_b64 s[70:71], vcc
	s_cbranch_execz .LBB10_47
; %bb.37:                               ;   in Loop: Header=BB10_14 Depth=3
	s_mov_b64 s[74:75], 0
	v_mov_b32_e32 v16, v11
                                        ; implicit-def: $sgpr72_sgpr73
                                        ; implicit-def: $sgpr66_sgpr67
                                        ; implicit-def: $sgpr80_sgpr81
	s_branch .LBB10_39
.LBB10_38:                              ;   in Loop: Header=BB10_39 Depth=4
	s_or_b64 exec, exec, s[4:5]
	s_and_b64 s[4:5], exec, s[66:67]
	s_or_b64 s[74:75], s[4:5], s[74:75]
	s_andn2_b64 s[4:5], s[72:73], exec
	s_and_b64 s[72:73], s[80:81], exec
	s_or_b64 s[72:73], s[4:5], s[72:73]
	s_andn2_b64 exec, exec, s[74:75]
	s_cbranch_execz .LBB10_41
.LBB10_39:                              ;   Parent Loop BB10_5 Depth=1
                                        ;     Parent Loop BB10_9 Depth=2
                                        ;       Parent Loop BB10_14 Depth=3
                                        ; =>      This Inner Loop Header: Depth=4
	v_add_u32_e32 v12, v10, v16
	v_ashrrev_i32_e32 v13, 31, v12
	v_lshlrev_b64 v[12:13], 2, v[12:13]
	v_mov_b32_e32 v18, s41
	v_add_co_u32_e32 v17, vcc, s40, v12
	v_addc_co_u32_e32 v18, vcc, v18, v13, vcc
	global_load_dword v17, v[17:18], off
	s_or_b64 s[80:81], s[80:81], exec
	s_or_b64 s[66:67], s[66:67], exec
	s_waitcnt vmcnt(0)
	v_subrev_u32_e32 v17, s30, v17
	v_cmp_ne_u32_e32 vcc, v17, v3
	s_and_saveexec_b64 s[4:5], vcc
	s_cbranch_execz .LBB10_38
; %bb.40:                               ;   in Loop: Header=BB10_39 Depth=4
	v_add_u32_e32 v16, 1, v16
	v_cmp_ge_i32_e32 vcc, v16, v35
	s_andn2_b64 s[66:67], s[66:67], exec
	s_and_b64 vcc, vcc, exec
	s_andn2_b64 s[80:81], s[80:81], exec
	s_or_b64 s[66:67], s[66:67], vcc
	s_branch .LBB10_38
.LBB10_41:                              ;   in Loop: Header=BB10_14 Depth=3
	s_or_b64 exec, exec, s[74:75]
	s_and_saveexec_b64 s[4:5], s[72:73]
	s_xor_b64 s[66:67], exec, s[4:5]
	s_cbranch_execz .LBB10_46
; %bb.42:                               ;   in Loop: Header=BB10_14 Depth=3
	v_mov_b32_e32 v17, s79
	v_add_co_u32_e32 v16, vcc, s78, v12
	v_addc_co_u32_e32 v17, vcc, v17, v13, vcc
	s_andn2_b64 vcc, exec, s[34:35]
	global_store_dword v[16:17], v15, off
	s_cbranch_vccnz .LBB10_46
; %bb.43:                               ;   in Loop: Header=BB10_14 Depth=3
	v_mov_b32_e32 v16, s43
	v_add_co_u32_e32 v12, vcc, s42, v12
	v_addc_co_u32_e32 v13, vcc, v16, v13, vcc
	global_load_dword v12, v[12:13], off
	s_waitcnt vmcnt(0)
	v_sub_f32_e32 v12, v12, v15
	v_cmp_class_f32_e64 s[72:73], v12, s0
	s_and_saveexec_b64 s[4:5], s[72:73]
; %bb.44:                               ;   in Loop: Header=BB10_14 Depth=3
	v_cmp_lt_f32_e64 s[72:73], v24, |v12|
	v_cndmask_b32_e64 v24, v24, |v12|, s[72:73]
; %bb.45:                               ;   in Loop: Header=BB10_14 Depth=3
	s_or_b64 exec, exec, s[4:5]
.LBB10_46:                              ;   in Loop: Header=BB10_14 Depth=3
	s_or_b64 exec, exec, s[66:67]
.LBB10_47:                              ;   in Loop: Header=BB10_14 Depth=3
	s_or_b64 exec, exec, s[70:71]
.LBB10_48:                              ;   in Loop: Header=BB10_14 Depth=3
	s_or_b64 exec, exec, s[94:95]
                                        ; implicit-def: $vgpr15
.LBB10_49:                              ;   in Loop: Header=BB10_14 Depth=3
	s_andn2_saveexec_b64 s[24:25], s[24:25]
	s_cbranch_execz .LBB10_62
; %bb.50:                               ;   in Loop: Header=BB10_14 Depth=3
	v_cmp_lt_i32_e32 vcc, v1, v30
	s_and_saveexec_b64 s[94:95], vcc
	s_cbranch_execz .LBB10_61
; %bb.51:                               ;   in Loop: Header=BB10_14 Depth=3
	s_mov_b64 s[70:71], 0
	v_mov_b32_e32 v16, v1
                                        ; implicit-def: $sgpr72_sgpr73
                                        ; implicit-def: $sgpr66_sgpr67
                                        ; implicit-def: $sgpr74_sgpr75
	s_branch .LBB10_53
.LBB10_52:                              ;   in Loop: Header=BB10_53 Depth=4
	s_or_b64 exec, exec, s[80:81]
	s_and_b64 s[4:5], exec, s[66:67]
	s_or_b64 s[70:71], s[4:5], s[70:71]
	s_andn2_b64 s[4:5], s[72:73], exec
	s_and_b64 s[72:73], s[74:75], exec
	s_or_b64 s[72:73], s[4:5], s[72:73]
	s_andn2_b64 exec, exec, s[70:71]
	s_cbranch_execz .LBB10_55
.LBB10_53:                              ;   Parent Loop BB10_5 Depth=1
                                        ;     Parent Loop BB10_9 Depth=2
                                        ;       Parent Loop BB10_14 Depth=3
                                        ; =>      This Inner Loop Header: Depth=4
	v_add_u32_e32 v12, v6, v16
	v_ashrrev_i32_e32 v13, 31, v12
	v_lshlrev_b64 v[12:13], 2, v[12:13]
	v_mov_b32_e32 v18, s49
	v_add_co_u32_e32 v17, vcc, s48, v12
	v_addc_co_u32_e32 v18, vcc, v18, v13, vcc
	global_load_dword v17, v[17:18], off
	s_or_b64 s[74:75], s[74:75], exec
	s_or_b64 s[66:67], s[66:67], exec
	s_waitcnt vmcnt(0)
	v_subrev_u32_e32 v17, s29, v17
	v_cmp_ne_u32_e32 vcc, v17, v9
	s_and_saveexec_b64 s[80:81], vcc
	s_cbranch_execz .LBB10_52
; %bb.54:                               ;   in Loop: Header=BB10_53 Depth=4
	v_add_u32_e32 v16, 1, v16
	v_cmp_ge_i32_e32 vcc, v16, v30
	s_andn2_b64 s[4:5], s[66:67], exec
	s_and_b64 s[66:67], vcc, exec
	s_andn2_b64 s[74:75], s[74:75], exec
	s_or_b64 s[66:67], s[4:5], s[66:67]
	s_branch .LBB10_52
.LBB10_55:                              ;   in Loop: Header=BB10_14 Depth=3
	s_or_b64 exec, exec, s[70:71]
	s_and_saveexec_b64 s[4:5], s[72:73]
	s_xor_b64 s[66:67], exec, s[4:5]
	s_cbranch_execz .LBB10_60
; %bb.56:                               ;   in Loop: Header=BB10_14 Depth=3
	v_mov_b32_e32 v17, s77
	v_add_co_u32_e32 v16, vcc, s76, v12
	v_addc_co_u32_e32 v17, vcc, v17, v13, vcc
	s_andn2_b64 vcc, exec, s[34:35]
	global_store_dword v[16:17], v15, off
	s_cbranch_vccnz .LBB10_60
; %bb.57:                               ;   in Loop: Header=BB10_14 Depth=3
	v_mov_b32_e32 v16, s51
	v_add_co_u32_e32 v12, vcc, s50, v12
	v_addc_co_u32_e32 v13, vcc, v16, v13, vcc
	global_load_dword v12, v[12:13], off
	s_waitcnt vmcnt(0)
	v_sub_f32_e32 v12, v12, v15
	v_cmp_class_f32_e64 s[70:71], v12, s0
	s_and_saveexec_b64 s[4:5], s[70:71]
; %bb.58:                               ;   in Loop: Header=BB10_14 Depth=3
	v_cmp_lt_f32_e64 s[70:71], v24, |v12|
	v_cndmask_b32_e64 v24, v24, |v12|, s[70:71]
; %bb.59:                               ;   in Loop: Header=BB10_14 Depth=3
	s_or_b64 exec, exec, s[4:5]
.LBB10_60:                              ;   in Loop: Header=BB10_14 Depth=3
	s_or_b64 exec, exec, s[66:67]
.LBB10_61:                              ;   in Loop: Header=BB10_14 Depth=3
	s_or_b64 exec, exec, s[94:95]
.LBB10_62:                              ;   in Loop: Header=BB10_14 Depth=3
	s_or_b64 exec, exec, s[24:25]
	s_or_b64 exec, exec, s[92:93]
	s_and_b64 s[4:5], s[26:27], s[90:91]
	s_and_saveexec_b64 s[24:25], s[4:5]
	s_cbranch_execz .LBB10_13
.LBB10_63:                              ;   in Loop: Header=BB10_14 Depth=3
	v_cmp_ge_i32_e32 vcc, v11, v35
	s_and_saveexec_b64 s[4:5], vcc
	s_xor_b64 s[70:71], exec, s[4:5]
	s_cbranch_execnz .LBB10_69
; %bb.64:                               ;   in Loop: Header=BB10_14 Depth=3
	s_andn2_saveexec_b64 s[70:71], s[70:71]
	s_cbranch_execnz .LBB10_78
.LBB10_65:                              ;   in Loop: Header=BB10_14 Depth=3
	s_or_b64 exec, exec, s[70:71]
	v_cmp_eq_u32_e32 vcc, v3, v9
	s_and_saveexec_b64 s[4:5], vcc
	s_cbranch_execz .LBB10_67
.LBB10_66:                              ;   in Loop: Header=BB10_14 Depth=3
	v_mov_b32_e32 v1, s61
	v_add_co_u32_e32 v7, vcc, s60, v7
	v_addc_co_u32_e32 v8, vcc, v1, v8, vcc
	global_load_dword v1, v[7:8], off
	s_waitcnt vmcnt(0)
	v_add_f32_e32 v5, v5, v1
.LBB10_67:                              ;   in Loop: Header=BB10_14 Depth=3
	s_or_b64 exec, exec, s[4:5]
	v_sub_f32_e32 v1, v14, v5
	v_cmp_class_f32_e64 s[66:67], v1, s0
	s_and_saveexec_b64 s[4:5], s[66:67]
	s_cbranch_execz .LBB10_12
; %bb.68:                               ;   in Loop: Header=BB10_14 Depth=3
	v_cmp_lt_f32_e64 s[66:67], v20, |v1|
	v_cndmask_b32_e64 v20, v20, |v1|, s[66:67]
	s_branch .LBB10_12
.LBB10_69:                              ;   in Loop: Header=BB10_14 Depth=3
	v_cmp_lt_i32_e32 vcc, v1, v30
	s_and_saveexec_b64 s[90:91], vcc
	s_cbranch_execz .LBB10_77
; %bb.70:                               ;   in Loop: Header=BB10_14 Depth=3
	s_mov_b64 s[74:75], 0
                                        ; implicit-def: $sgpr72_sgpr73
                                        ; implicit-def: $sgpr66_sgpr67
                                        ; implicit-def: $sgpr80_sgpr81
	s_branch .LBB10_72
.LBB10_71:                              ;   in Loop: Header=BB10_72 Depth=4
	s_or_b64 exec, exec, s[4:5]
	s_and_b64 s[4:5], exec, s[66:67]
	s_or_b64 s[74:75], s[4:5], s[74:75]
	s_andn2_b64 s[4:5], s[72:73], exec
	s_and_b64 s[72:73], s[80:81], exec
	s_or_b64 s[72:73], s[4:5], s[72:73]
	s_andn2_b64 exec, exec, s[74:75]
	s_cbranch_execz .LBB10_74
.LBB10_72:                              ;   Parent Loop BB10_5 Depth=1
                                        ;     Parent Loop BB10_9 Depth=2
                                        ;       Parent Loop BB10_14 Depth=3
                                        ; =>      This Inner Loop Header: Depth=4
	v_add_u32_e32 v10, v6, v1
	v_ashrrev_i32_e32 v11, 31, v10
	v_lshlrev_b64 v[10:11], 2, v[10:11]
	v_mov_b32_e32 v13, s49
	v_add_co_u32_e32 v12, vcc, s48, v10
	v_addc_co_u32_e32 v13, vcc, v13, v11, vcc
	global_load_dword v12, v[12:13], off
	s_or_b64 s[80:81], s[80:81], exec
	s_or_b64 s[66:67], s[66:67], exec
	s_waitcnt vmcnt(0)
	v_subrev_u32_e32 v12, s29, v12
	v_cmp_ne_u32_e32 vcc, v12, v9
	s_and_saveexec_b64 s[4:5], vcc
	s_cbranch_execz .LBB10_71
; %bb.73:                               ;   in Loop: Header=BB10_72 Depth=4
	v_add_u32_e32 v1, 1, v1
	v_cmp_ge_i32_e32 vcc, v1, v30
	s_andn2_b64 s[66:67], s[66:67], exec
	s_and_b64 s[92:93], vcc, exec
	s_andn2_b64 s[80:81], s[80:81], exec
	s_or_b64 s[66:67], s[66:67], s[92:93]
	s_branch .LBB10_71
.LBB10_74:                              ;   in Loop: Header=BB10_14 Depth=3
	s_or_b64 exec, exec, s[74:75]
	s_and_saveexec_b64 s[4:5], s[72:73]
	s_xor_b64 s[66:67], exec, s[4:5]
	s_cbranch_execz .LBB10_76
; %bb.75:                               ;   in Loop: Header=BB10_14 Depth=3
	v_mov_b32_e32 v1, s51
	v_add_co_u32_e32 v10, vcc, s50, v10
	v_addc_co_u32_e32 v11, vcc, v1, v11, vcc
	global_load_dword v1, v[10:11], off
	v_mov_b32_e32 v11, s61
	v_add_co_u32_e32 v10, vcc, s60, v7
	v_addc_co_u32_e32 v11, vcc, v11, v8, vcc
	global_load_dword v10, v[10:11], off
	s_waitcnt vmcnt(0)
	v_fmac_f32_e32 v5, v1, v10
.LBB10_76:                              ;   in Loop: Header=BB10_14 Depth=3
	s_or_b64 exec, exec, s[66:67]
.LBB10_77:                              ;   in Loop: Header=BB10_14 Depth=3
	s_or_b64 exec, exec, s[90:91]
                                        ; implicit-def: $vgpr11
                                        ; implicit-def: $vgpr10
                                        ; implicit-def: $vgpr35
	s_andn2_saveexec_b64 s[70:71], s[70:71]
	s_cbranch_execz .LBB10_65
.LBB10_78:                              ;   in Loop: Header=BB10_14 Depth=3
	s_mov_b64 s[74:75], 0
                                        ; implicit-def: $sgpr72_sgpr73
                                        ; implicit-def: $sgpr66_sgpr67
                                        ; implicit-def: $sgpr80_sgpr81
	s_branch .LBB10_80
.LBB10_79:                              ;   in Loop: Header=BB10_80 Depth=4
	s_or_b64 exec, exec, s[4:5]
	s_and_b64 s[4:5], exec, s[66:67]
	s_or_b64 s[74:75], s[4:5], s[74:75]
	s_andn2_b64 s[4:5], s[72:73], exec
	s_and_b64 s[72:73], s[80:81], exec
	s_or_b64 s[72:73], s[4:5], s[72:73]
	s_andn2_b64 exec, exec, s[74:75]
	s_cbranch_execz .LBB10_82
.LBB10_80:                              ;   Parent Loop BB10_5 Depth=1
                                        ;     Parent Loop BB10_9 Depth=2
                                        ;       Parent Loop BB10_14 Depth=3
                                        ; =>      This Inner Loop Header: Depth=4
	v_add_u32_e32 v12, v10, v11
	v_ashrrev_i32_e32 v13, 31, v12
	v_lshlrev_b64 v[12:13], 2, v[12:13]
	v_mov_b32_e32 v1, s41
	v_add_co_u32_e32 v15, vcc, s40, v12
	v_addc_co_u32_e32 v16, vcc, v1, v13, vcc
	global_load_dword v1, v[15:16], off
	s_or_b64 s[80:81], s[80:81], exec
	s_or_b64 s[66:67], s[66:67], exec
	s_waitcnt vmcnt(0)
	v_subrev_u32_e32 v1, s30, v1
	v_cmp_ne_u32_e32 vcc, v1, v3
	s_and_saveexec_b64 s[4:5], vcc
	s_cbranch_execz .LBB10_79
; %bb.81:                               ;   in Loop: Header=BB10_80 Depth=4
	v_add_u32_e32 v11, 1, v11
	v_cmp_ge_i32_e32 vcc, v11, v35
	s_andn2_b64 s[66:67], s[66:67], exec
	s_and_b64 s[90:91], vcc, exec
	s_andn2_b64 s[80:81], s[80:81], exec
	s_or_b64 s[66:67], s[66:67], s[90:91]
	s_branch .LBB10_79
.LBB10_82:                              ;   in Loop: Header=BB10_14 Depth=3
	s_or_b64 exec, exec, s[74:75]
	s_and_saveexec_b64 s[4:5], s[72:73]
	s_xor_b64 s[4:5], exec, s[4:5]
	s_cbranch_execz .LBB10_84
; %bb.83:                               ;   in Loop: Header=BB10_14 Depth=3
	v_mov_b32_e32 v1, s43
	v_add_co_u32_e32 v10, vcc, s42, v12
	v_addc_co_u32_e32 v11, vcc, v1, v13, vcc
	global_load_dword v1, v[10:11], off
	s_waitcnt vmcnt(0)
	v_add_f32_e32 v5, v5, v1
.LBB10_84:                              ;   in Loop: Header=BB10_14 Depth=3
	s_or_b64 exec, exec, s[4:5]
	s_or_b64 exec, exec, s[70:71]
	v_cmp_eq_u32_e32 vcc, v3, v9
	s_and_saveexec_b64 s[4:5], vcc
	s_cbranch_execnz .LBB10_66
	s_branch .LBB10_67
.LBB10_85:                              ;   in Loop: Header=BB10_5 Depth=1
	s_and_b64 vcc, exec, s[34:35]
	s_cbranch_vccz .LBB10_103
; %bb.86:                               ;   in Loop: Header=BB10_5 Depth=1
	v_mov_b32_dpp v1, v24 row_shr:1 row_mask:0xf bank_mask:0xf
	v_cmp_lt_f32_e32 vcc, v24, v1
	v_cndmask_b32_e32 v1, v24, v1, vcc
	s_nop 1
	v_mov_b32_dpp v3, v1 row_shr:2 row_mask:0xf bank_mask:0xf
	v_cmp_lt_f32_e32 vcc, v1, v3
	v_cndmask_b32_e32 v1, v1, v3, vcc
	s_nop 1
	v_mov_b32_dpp v3, v1 row_shr:4 row_mask:0xf bank_mask:0xe
	s_and_saveexec_b64 s[4:5], s[2:3]
; %bb.87:                               ;   in Loop: Header=BB10_5 Depth=1
	v_cmp_lt_f32_e32 vcc, v1, v3
	v_cndmask_b32_e32 v1, v1, v3, vcc
	ds_write_b32 v26, v1
; %bb.88:                               ;   in Loop: Header=BB10_5 Depth=1
	s_or_b64 exec, exec, s[4:5]
	s_waitcnt vmcnt(0) lgkmcnt(0)
	s_barrier
	s_and_saveexec_b64 s[4:5], s[6:7]
	s_cbranch_execz .LBB10_90
; %bb.89:                               ;   in Loop: Header=BB10_5 Depth=1
	ds_read2st64_b32 v[3:4], v19 offset1:1
	s_waitcnt lgkmcnt(0)
	v_cmp_lt_f32_e32 vcc, v3, v4
	v_cndmask_b32_e32 v1, v3, v4, vcc
	ds_write_b32 v19, v1
.LBB10_90:                              ;   in Loop: Header=BB10_5 Depth=1
	s_or_b64 exec, exec, s[4:5]
	s_waitcnt lgkmcnt(0)
	s_barrier
	s_and_saveexec_b64 s[4:5], s[8:9]
	s_cbranch_execz .LBB10_92
; %bb.91:                               ;   in Loop: Header=BB10_5 Depth=1
	ds_read2_b32 v[3:4], v19 offset1:32
	s_waitcnt lgkmcnt(0)
	v_cmp_lt_f32_e32 vcc, v3, v4
	v_cndmask_b32_e32 v1, v3, v4, vcc
	ds_write_b32 v19, v1
.LBB10_92:                              ;   in Loop: Header=BB10_5 Depth=1
	s_or_b64 exec, exec, s[4:5]
	s_waitcnt lgkmcnt(0)
	s_barrier
	s_and_saveexec_b64 s[4:5], s[10:11]
	s_cbranch_execz .LBB10_94
; %bb.93:                               ;   in Loop: Header=BB10_5 Depth=1
	ds_read2_b32 v[3:4], v19 offset1:16
	s_waitcnt lgkmcnt(0)
	v_cmp_lt_f32_e32 vcc, v3, v4
	v_cndmask_b32_e32 v1, v3, v4, vcc
	ds_write_b32 v19, v1
.LBB10_94:                              ;   in Loop: Header=BB10_5 Depth=1
	;; [unrolled: 12-line block ×4, first 2 shown]
	s_or_b64 exec, exec, s[4:5]
	s_waitcnt lgkmcnt(0)
	s_barrier
	s_and_saveexec_b64 s[4:5], s[16:17]
	s_cbranch_execz .LBB10_100
; %bb.99:                               ;   in Loop: Header=BB10_5 Depth=1
	ds_read2_b32 v[3:4], v19 offset1:2
	s_waitcnt lgkmcnt(0)
	v_cmp_lt_f32_e32 vcc, v3, v4
	v_cndmask_b32_e32 v1, v3, v4, vcc
	ds_write_b32 v19, v1
.LBB10_100:                             ;   in Loop: Header=BB10_5 Depth=1
	s_or_b64 exec, exec, s[4:5]
	s_waitcnt lgkmcnt(0)
	s_barrier
	s_and_saveexec_b64 s[4:5], s[18:19]
	s_cbranch_execz .LBB10_102
; %bb.101:                              ;   in Loop: Header=BB10_5 Depth=1
	ds_read_b64 v[3:4], v2
	s_waitcnt lgkmcnt(0)
	v_cmp_lt_f32_e32 vcc, v3, v4
	v_cndmask_b32_e32 v1, v3, v4, vcc
	ds_write_b32 v2, v1
.LBB10_102:                             ;   in Loop: Header=BB10_5 Depth=1
	s_or_b64 exec, exec, s[4:5]
	v_readlane_b32 s4, v43, 4
	v_readlane_b32 s5, v43, 5
	s_waitcnt lgkmcnt(0)
	s_barrier
	ds_read_b32 v1, v2
	s_load_dword s1, s[4:5], 0x0
	s_waitcnt lgkmcnt(0)
	v_div_scale_f32 v3, s[4:5], s1, s1, v1
	v_div_scale_f32 v4, vcc, v1, s1, v1
	v_rcp_f32_e32 v5, v3
	v_fma_f32 v6, -v3, v5, 1.0
	v_fmac_f32_e32 v5, v6, v5
	v_mul_f32_e32 v6, v4, v5
	v_fma_f32 v7, -v3, v6, v4
	v_fmac_f32_e32 v6, v7, v5
	v_fma_f32 v3, -v3, v6, v4
	v_div_fmas_f32 v3, v3, v5, v6
	v_div_fixup_f32 v24, v3, s1, v1
.LBB10_103:                             ;   in Loop: Header=BB10_5 Depth=1
	s_andn2_b64 vcc, exec, s[26:27]
	s_cbranch_vccnz .LBB10_121
; %bb.104:                              ;   in Loop: Header=BB10_5 Depth=1
	v_mov_b32_dpp v1, v20 row_shr:1 row_mask:0xf bank_mask:0xf
	v_cmp_lt_f32_e32 vcc, v20, v1
	v_cndmask_b32_e32 v1, v20, v1, vcc
	s_nop 1
	v_mov_b32_dpp v3, v1 row_shr:2 row_mask:0xf bank_mask:0xf
	v_cmp_lt_f32_e32 vcc, v1, v3
	v_cndmask_b32_e32 v1, v1, v3, vcc
	s_nop 1
	v_mov_b32_dpp v3, v1 row_shr:4 row_mask:0xf bank_mask:0xe
	s_and_saveexec_b64 s[4:5], s[2:3]
; %bb.105:                              ;   in Loop: Header=BB10_5 Depth=1
	v_cmp_lt_f32_e32 vcc, v1, v3
	v_cndmask_b32_e32 v1, v1, v3, vcc
	ds_write_b32 v26, v1
; %bb.106:                              ;   in Loop: Header=BB10_5 Depth=1
	s_or_b64 exec, exec, s[4:5]
	s_waitcnt vmcnt(0) lgkmcnt(0)
	s_barrier
	s_and_saveexec_b64 s[4:5], s[6:7]
	s_cbranch_execz .LBB10_108
; %bb.107:                              ;   in Loop: Header=BB10_5 Depth=1
	ds_read2st64_b32 v[3:4], v19 offset1:1
	s_waitcnt lgkmcnt(0)
	v_cmp_lt_f32_e32 vcc, v3, v4
	v_cndmask_b32_e32 v1, v3, v4, vcc
	ds_write_b32 v19, v1
.LBB10_108:                             ;   in Loop: Header=BB10_5 Depth=1
	s_or_b64 exec, exec, s[4:5]
	s_waitcnt lgkmcnt(0)
	s_barrier
	s_and_saveexec_b64 s[4:5], s[8:9]
	s_cbranch_execz .LBB10_110
; %bb.109:                              ;   in Loop: Header=BB10_5 Depth=1
	ds_read2_b32 v[3:4], v19 offset1:32
	s_waitcnt lgkmcnt(0)
	v_cmp_lt_f32_e32 vcc, v3, v4
	v_cndmask_b32_e32 v1, v3, v4, vcc
	ds_write_b32 v19, v1
.LBB10_110:                             ;   in Loop: Header=BB10_5 Depth=1
	s_or_b64 exec, exec, s[4:5]
	s_waitcnt lgkmcnt(0)
	s_barrier
	s_and_saveexec_b64 s[4:5], s[10:11]
	s_cbranch_execz .LBB10_112
; %bb.111:                              ;   in Loop: Header=BB10_5 Depth=1
	ds_read2_b32 v[3:4], v19 offset1:16
	s_waitcnt lgkmcnt(0)
	v_cmp_lt_f32_e32 vcc, v3, v4
	v_cndmask_b32_e32 v1, v3, v4, vcc
	ds_write_b32 v19, v1
.LBB10_112:                             ;   in Loop: Header=BB10_5 Depth=1
	;; [unrolled: 12-line block ×5, first 2 shown]
	s_or_b64 exec, exec, s[4:5]
	s_waitcnt lgkmcnt(0)
	s_barrier
	s_and_saveexec_b64 s[4:5], s[18:19]
	s_cbranch_execz .LBB10_120
; %bb.119:                              ;   in Loop: Header=BB10_5 Depth=1
	ds_read_b64 v[3:4], v2
	s_waitcnt lgkmcnt(0)
	v_cmp_lt_f32_e32 vcc, v3, v4
	v_cndmask_b32_e32 v1, v3, v4, vcc
	ds_write_b32 v2, v1
.LBB10_120:                             ;   in Loop: Header=BB10_5 Depth=1
	s_or_b64 exec, exec, s[4:5]
	v_readlane_b32 s4, v43, 4
	v_readlane_b32 s5, v43, 5
	s_waitcnt lgkmcnt(0)
	s_barrier
	ds_read_b32 v1, v2
	s_load_dword s1, s[4:5], 0x0
	s_waitcnt lgkmcnt(0)
	v_div_scale_f32 v3, s[4:5], s1, s1, v1
	v_div_scale_f32 v4, vcc, v1, s1, v1
	v_rcp_f32_e32 v5, v3
	v_fma_f32 v6, -v3, v5, 1.0
	v_fmac_f32_e32 v5, v6, v5
	v_mul_f32_e32 v6, v4, v5
	v_fma_f32 v7, -v3, v6, v4
	v_fmac_f32_e32 v6, v7, v5
	v_fma_f32 v3, -v3, v6, v4
	v_div_fmas_f32 v3, v3, v5, v6
	v_div_fixup_f32 v20, v3, s1, v1
.LBB10_121:                             ;   in Loop: Header=BB10_5 Depth=1
	s_mov_b64 s[22:23], exec
	v_readlane_b32 s4, v43, 8
	v_readlane_b32 s5, v43, 9
	s_and_b64 s[4:5], s[22:23], s[4:5]
	s_mov_b64 exec, s[4:5]
	s_cbranch_execz .LBB10_133
; %bb.122:                              ;   in Loop: Header=BB10_5 Depth=1
	s_mov_b64 s[24:25], 0
	v_mov_b32_e32 v3, v23
	s_branch .LBB10_124
.LBB10_123:                             ;   in Loop: Header=BB10_124 Depth=2
	s_or_b64 exec, exec, s[84:85]
	v_add_u32_e32 v3, 0x80, v3
	v_cmp_le_u32_e32 vcc, s31, v3
	s_or_b64 s[24:25], vcc, s[24:25]
	s_andn2_b64 exec, exec, s[24:25]
	s_cbranch_execz .LBB10_133
.LBB10_124:                             ;   Parent Loop BB10_5 Depth=1
                                        ; =>  This Loop Header: Depth=2
                                        ;       Child Loop BB10_127 Depth 3
                                        ;       Child Loop BB10_130 Depth 3
	v_cmp_gt_i32_e32 vcc, s69, v3
	s_and_saveexec_b64 s[84:85], vcc
	s_cbranch_execz .LBB10_123
; %bb.125:                              ;   in Loop: Header=BB10_124 Depth=2
	v_ashrrev_i32_e32 v4, 31, v3
	v_lshlrev_b64 v[4:5], 2, v[3:4]
	v_mov_b32_e32 v1, s45
	v_add_co_u32_e32 v6, vcc, s44, v4
	v_addc_co_u32_e32 v7, vcc, v1, v5, vcc
	global_load_dword v1, v[6:7], off
	v_mov_b32_e32 v7, s47
	v_add_co_u32_e32 v6, vcc, s46, v4
	v_addc_co_u32_e32 v7, vcc, v7, v5, vcc
	global_load_dword v7, v[6:7], off
	s_waitcnt vmcnt(1)
	v_add_u32_e32 v6, v27, v1
	s_waitcnt vmcnt(0)
	v_subrev_u32_e32 v1, s29, v7
	v_cmp_lt_i32_e32 vcc, v6, v1
	s_and_saveexec_b64 s[66:67], vcc
	s_cbranch_execz .LBB10_128
; %bb.126:                              ;   in Loop: Header=BB10_124 Depth=2
	v_ashrrev_i32_e32 v7, 31, v6
	v_lshlrev_b64 v[9:10], 2, v[6:7]
	v_mov_b32_e32 v8, s77
	v_add_co_u32_e32 v7, vcc, s76, v9
	v_addc_co_u32_e32 v8, vcc, v8, v10, vcc
	v_mov_b32_e32 v11, s51
	v_add_co_u32_e32 v9, vcc, s50, v9
	v_addc_co_u32_e32 v10, vcc, v11, v10, vcc
	s_mov_b64 s[70:71], 0
.LBB10_127:                             ;   Parent Loop BB10_5 Depth=1
                                        ;     Parent Loop BB10_124 Depth=2
                                        ; =>    This Inner Loop Header: Depth=3
	global_load_dword v11, v[7:8], off
	v_add_co_u32_e32 v7, vcc, 32, v7
	v_add_u32_e32 v6, 8, v6
	v_addc_co_u32_e32 v8, vcc, 0, v8, vcc
	v_cmp_ge_i32_e32 vcc, v6, v1
	s_or_b64 s[70:71], vcc, s[70:71]
	s_waitcnt vmcnt(0)
	global_store_dword v[9:10], v11, off
	v_add_co_u32_e32 v9, vcc, 32, v9
	v_addc_co_u32_e32 v10, vcc, 0, v10, vcc
	s_andn2_b64 exec, exec, s[70:71]
	s_cbranch_execnz .LBB10_127
.LBB10_128:                             ;   in Loop: Header=BB10_124 Depth=2
	s_or_b64 exec, exec, s[66:67]
	v_mov_b32_e32 v1, s37
	v_add_co_u32_e32 v6, vcc, s36, v4
	v_addc_co_u32_e32 v7, vcc, v1, v5, vcc
	global_load_dword v1, v[6:7], off
	v_mov_b32_e32 v7, s39
	v_add_co_u32_e32 v6, vcc, s38, v4
	v_addc_co_u32_e32 v7, vcc, v7, v5, vcc
	global_load_dword v7, v[6:7], off
	s_waitcnt vmcnt(1)
	v_add_u32_e32 v6, v28, v1
	s_waitcnt vmcnt(0)
	v_subrev_u32_e32 v1, s30, v7
	v_cmp_lt_i32_e32 vcc, v6, v1
	s_and_saveexec_b64 s[66:67], vcc
	s_cbranch_execz .LBB10_131
; %bb.129:                              ;   in Loop: Header=BB10_124 Depth=2
	v_ashrrev_i32_e32 v7, 31, v6
	v_lshlrev_b64 v[9:10], 2, v[6:7]
	v_mov_b32_e32 v8, s79
	v_add_co_u32_e32 v7, vcc, s78, v9
	v_addc_co_u32_e32 v8, vcc, v8, v10, vcc
	v_mov_b32_e32 v11, s43
	v_add_co_u32_e32 v9, vcc, s42, v9
	v_addc_co_u32_e32 v10, vcc, v11, v10, vcc
	s_mov_b64 s[70:71], 0
.LBB10_130:                             ;   Parent Loop BB10_5 Depth=1
                                        ;     Parent Loop BB10_124 Depth=2
                                        ; =>    This Inner Loop Header: Depth=3
	global_load_dword v11, v[7:8], off
	v_add_co_u32_e32 v7, vcc, 32, v7
	v_add_u32_e32 v6, 8, v6
	v_addc_co_u32_e32 v8, vcc, 0, v8, vcc
	v_cmp_ge_i32_e32 vcc, v6, v1
	s_or_b64 s[70:71], vcc, s[70:71]
	s_waitcnt vmcnt(0)
	global_store_dword v[9:10], v11, off
	v_add_co_u32_e32 v9, vcc, 32, v9
	v_addc_co_u32_e32 v10, vcc, 0, v10, vcc
	s_andn2_b64 exec, exec, s[70:71]
	s_cbranch_execnz .LBB10_130
.LBB10_131:                             ;   in Loop: Header=BB10_124 Depth=2
	s_or_b64 exec, exec, s[66:67]
	s_and_b64 exec, exec, s[20:21]
	s_cbranch_execz .LBB10_123
; %bb.132:                              ;   in Loop: Header=BB10_124 Depth=2
	v_mov_b32_e32 v1, s63
	v_add_co_u32_e32 v6, vcc, s62, v4
	v_addc_co_u32_e32 v7, vcc, v1, v5, vcc
	global_load_dword v1, v[6:7], off
	v_mov_b32_e32 v6, s61
	v_add_co_u32_e32 v4, vcc, s60, v4
	v_addc_co_u32_e32 v5, vcc, v6, v5, vcc
	s_waitcnt vmcnt(0)
	global_store_dword v[4:5], v1, off
	s_branch .LBB10_123
.LBB10_133:                             ;   in Loop: Header=BB10_5 Depth=1
	s_or_b64 exec, exec, s[22:23]
	s_mov_b64 s[24:25], -1
	s_and_b64 vcc, exec, s[64:65]
	s_mov_b64 s[22:23], -1
	s_cbranch_vccz .LBB10_143
; %bb.134:                              ;   in Loop: Header=BB10_5 Depth=1
	v_readlane_b32 s22, v43, 10
	v_readlane_b32 s23, v43, 11
	s_mov_b64 s[4:5], -1
	s_and_b64 vcc, exec, s[22:23]
                                        ; implicit-def: $sgpr66_sgpr67
	s_cbranch_vccz .LBB10_140
; %bb.135:                              ;   in Loop: Header=BB10_5 Depth=1
	v_readlane_b32 s22, v43, 6
	v_readlane_b32 s23, v43, 7
	s_and_b64 vcc, exec, s[22:23]
                                        ; implicit-def: $sgpr66_sgpr67
	s_cbranch_vccz .LBB10_137
; %bb.136:                              ;   in Loop: Header=BB10_5 Depth=1
	v_cmp_ge_f32_e64 s[66:67], s68, v20
	s_mov_b64 s[4:5], 0
.LBB10_137:                             ;   in Loop: Header=BB10_5 Depth=1
	s_andn2_b64 vcc, exec, s[4:5]
	s_cbranch_vccnz .LBB10_139
; %bb.138:                              ;   in Loop: Header=BB10_5 Depth=1
	v_cmp_ge_f32_e32 vcc, s68, v24
	s_andn2_b64 s[4:5], s[66:67], exec
	s_and_b64 s[22:23], vcc, exec
	s_or_b64 s[66:67], s[4:5], s[22:23]
.LBB10_139:                             ;   in Loop: Header=BB10_5 Depth=1
	s_mov_b64 s[4:5], 0
.LBB10_140:                             ;   in Loop: Header=BB10_5 Depth=1
	s_andn2_b64 vcc, exec, s[4:5]
	s_cbranch_vccnz .LBB10_142
; %bb.141:                              ;   in Loop: Header=BB10_5 Depth=1
	v_cmp_ge_f32_e32 vcc, s68, v24
	v_cmp_ge_f32_e64 s[22:23], s68, v20
	s_and_b64 s[4:5], vcc, s[22:23]
	s_andn2_b64 s[22:23], s[66:67], exec
	s_and_b64 s[4:5], s[4:5], exec
	s_or_b64 s[66:67], s[22:23], s[4:5]
.LBB10_142:                             ;   in Loop: Header=BB10_5 Depth=1
	s_xor_b64 s[22:23], s[66:67], -1
.LBB10_143:                             ;   in Loop: Header=BB10_5 Depth=1
	v_mov_b32_e32 v1, s33
	s_and_saveexec_b64 s[4:5], s[22:23]
	s_cbranch_execz .LBB10_4
; %bb.144:                              ;   in Loop: Header=BB10_5 Depth=1
	v_readlane_b32 s22, v43, 0
	s_add_i32 s33, s33, 1
	v_readlane_b32 s23, v43, 1
	s_cmp_eq_u32 s33, s23
	s_mov_b32 s1, s23
	s_cselect_b64 s[22:23], -1, 0
	v_mov_b32_e32 v1, s1
	s_orn2_b64 s[24:25], s[22:23], exec
	s_branch .LBB10_4
.LBB10_145:
	s_or_b64 exec, exec, s[82:83]
	v_readlane_b32 s4, v43, 12
	v_readlane_b32 s5, v43, 13
	s_load_dwordx4 s[8:11], s[4:5], 0xb8
	v_readlane_b32 s2, v43, 2
	v_readlane_b32 s3, v43, 3
	s_or_b64 exec, exec, s[2:3]
	s_andn2_b64 vcc, exec, s[64:65]
	s_cbranch_vccnz .LBB10_2
.LBB10_146:
	v_mov_b32_dpp v2, v1 row_shr:1 row_mask:0xf bank_mask:0xf
	v_max_i32_e32 v1, v1, v2
	v_cmp_eq_u32_e32 vcc, 7, v22
	s_nop 0
	v_mov_b32_dpp v2, v1 row_shr:2 row_mask:0xf bank_mask:0xf
	v_max_i32_e32 v1, v1, v2
	s_nop 1
	v_mov_b32_dpp v2, v1 row_shr:4 row_mask:0xf bank_mask:0xe
	s_and_saveexec_b64 s[0:1], vcc
; %bb.147:
	v_lshlrev_b32_e32 v3, 2, v21
	v_max_i32_e32 v1, v1, v2
	ds_write_b32 v3, v1 offset:512
; %bb.148:
	s_or_b64 exec, exec, s[0:1]
	v_cmp_gt_u32_e32 vcc, 64, v0
	s_waitcnt vmcnt(0) lgkmcnt(0)
	s_barrier
	s_and_saveexec_b64 s[0:1], vcc
	s_cbranch_execz .LBB10_150
; %bb.149:
	ds_read2st64_b32 v[1:2], v19 offset0:2 offset1:3
	s_waitcnt lgkmcnt(0)
	v_max_i32_e32 v1, v1, v2
	ds_write_b32 v19, v1 offset:512
.LBB10_150:
	s_or_b64 exec, exec, s[0:1]
	v_cmp_gt_u32_e32 vcc, 32, v0
	s_waitcnt lgkmcnt(0)
	s_barrier
	s_and_saveexec_b64 s[0:1], vcc
	s_cbranch_execz .LBB10_152
; %bb.151:
	ds_read2_b32 v[1:2], v19 offset0:128 offset1:160
	s_waitcnt lgkmcnt(0)
	v_max_i32_e32 v1, v1, v2
	ds_write_b32 v19, v1 offset:512
.LBB10_152:
	s_or_b64 exec, exec, s[0:1]
	v_cmp_gt_u32_e32 vcc, 16, v0
	s_waitcnt lgkmcnt(0)
	s_barrier
	s_and_saveexec_b64 s[0:1], vcc
	s_cbranch_execz .LBB10_154
; %bb.153:
	ds_read2_b32 v[1:2], v19 offset0:128 offset1:144
	s_waitcnt lgkmcnt(0)
	v_max_i32_e32 v1, v1, v2
	ds_write_b32 v19, v1 offset:512
.LBB10_154:
	;; [unrolled: 12-line block ×5, first 2 shown]
	s_or_b64 exec, exec, s[0:1]
	v_cmp_eq_u32_e32 vcc, 0, v0
	s_waitcnt lgkmcnt(0)
	s_barrier
	s_and_saveexec_b64 s[0:1], vcc
	s_cbranch_execz .LBB10_162
; %bb.161:
	v_mov_b32_e32 v3, 0
	ds_read_b64 v[1:2], v3 offset:512
	s_waitcnt lgkmcnt(0)
	v_max_i32_e32 v1, v1, v2
	ds_write_b32 v3, v1 offset:512
.LBB10_162:
	s_or_b64 exec, exec, s[0:1]
	s_waitcnt lgkmcnt(0)
	s_barrier
	s_and_saveexec_b64 s[0:1], vcc
	s_cbranch_execz .LBB10_165
; %bb.163:
	v_mbcnt_lo_u32_b32 v1, exec_lo, 0
	v_mbcnt_hi_u32_b32 v1, exec_hi, v1
	v_cmp_eq_u32_e32 vcc, 0, v1
	s_and_b64 exec, exec, vcc
	s_cbranch_execz .LBB10_165
; %bb.164:
	v_mov_b32_e32 v1, 0
	ds_read_b32 v2, v1 offset:512
	s_load_dwordx2 s[2:3], s[4:5], 0x8
	s_waitcnt lgkmcnt(0)
	v_add_u32_e32 v2, 1, v2
	global_atomic_smax v1, v2, s[2:3]
.LBB10_165:
	s_or_b64 exec, exec, s[0:1]
	v_cmp_eq_u32_e32 vcc, 0, v0
	s_and_b64 s[0:1], vcc, s[34:35]
	s_and_saveexec_b64 s[2:3], s[0:1]
	s_cbranch_execz .LBB10_172
.LBB10_166:
	s_mov_b64 s[0:1], exec
	v_mov_b32_e32 v0, 0x7fc00000
.LBB10_167:                             ; =>This Inner Loop Header: Depth=1
	s_ff1_i32_b64 s4, s[0:1]
	v_readlane_b32 s6, v24, s4
	s_lshl_b64 s[4:5], 1, s4
	v_max_f32_e32 v0, v0, v0
	v_max_f32_e64 v1, s6, s6
	s_andn2_b64 s[0:1], s[0:1], s[4:5]
	s_cmp_lg_u64 s[0:1], 0
	v_max_f32_e32 v0, v0, v1
	s_cbranch_scc1 .LBB10_167
; %bb.168:
	v_mbcnt_lo_u32_b32 v1, exec_lo, 0
	v_mbcnt_hi_u32_b32 v1, exec_hi, v1
	v_cmp_eq_u32_e64 s[0:1], 0, v1
	s_and_saveexec_b64 s[4:5], s[0:1]
	s_xor_b64 s[4:5], exec, s[4:5]
	s_cbranch_execz .LBB10_172
; %bb.169:
	v_mov_b32_e32 v2, 0
	s_waitcnt lgkmcnt(0)
	global_load_dword v1, v2, s[8:9]
	s_mov_b64 s[4:5], 0
	v_max_f32_e32 v3, v0, v0
.LBB10_170:                             ; =>This Inner Loop Header: Depth=1
	s_waitcnt vmcnt(0)
	v_max_f32_e32 v0, v1, v1
	v_max_f32_e32 v0, v0, v3
	global_atomic_cmpswap v0, v2, v[0:1], s[8:9] glc
	s_waitcnt vmcnt(0)
	v_cmp_eq_u32_e64 s[0:1], v0, v1
	s_or_b64 s[4:5], s[0:1], s[4:5]
	v_mov_b32_e32 v1, v0
	s_andn2_b64 exec, exec, s[4:5]
	s_cbranch_execnz .LBB10_170
; %bb.171:
	s_or_b64 exec, exec, s[4:5]
.LBB10_172:
	s_or_b64 exec, exec, s[2:3]
	s_and_b64 s[0:1], vcc, s[26:27]
	s_and_saveexec_b64 s[2:3], s[0:1]
	s_cbranch_execz .LBB10_178
; %bb.173:
	s_mov_b64 s[0:1], exec
	v_mov_b32_e32 v0, 0x7fc00000
.LBB10_174:                             ; =>This Inner Loop Header: Depth=1
	s_ff1_i32_b64 s2, s[0:1]
	v_readlane_b32 s4, v20, s2
	s_lshl_b64 s[2:3], 1, s2
	v_max_f32_e32 v0, v0, v0
	v_max_f32_e64 v1, s4, s4
	s_andn2_b64 s[0:1], s[0:1], s[2:3]
	s_cmp_lg_u64 s[0:1], 0
	v_max_f32_e32 v0, v0, v1
	s_cbranch_scc1 .LBB10_174
; %bb.175:
	v_mbcnt_lo_u32_b32 v1, exec_lo, 0
	v_mbcnt_hi_u32_b32 v1, exec_hi, v1
	v_cmp_eq_u32_e32 vcc, 0, v1
	s_and_saveexec_b64 s[0:1], vcc
	s_xor_b64 s[0:1], exec, s[0:1]
	s_cbranch_execz .LBB10_178
; %bb.176:
	v_mov_b32_e32 v2, 0
	s_waitcnt lgkmcnt(0)
	global_load_dword v1, v2, s[10:11]
	s_mov_b64 s[0:1], 0
	v_max_f32_e32 v3, v0, v0
.LBB10_177:                             ; =>This Inner Loop Header: Depth=1
	s_waitcnt vmcnt(0)
	v_max_f32_e32 v0, v1, v1
	v_max_f32_e32 v0, v0, v3
	global_atomic_cmpswap v0, v2, v[0:1], s[10:11] glc
	s_waitcnt vmcnt(0)
	v_cmp_eq_u32_e32 vcc, v0, v1
	s_or_b64 s[0:1], vcc, s[0:1]
	v_mov_b32_e32 v1, v0
	s_andn2_b64 exec, exec, s[0:1]
	s_cbranch_execnz .LBB10_177
.LBB10_178:
	s_endpgm
	.section	.rodata,"a",@progbits
	.p2align	6, 0x0
	.amdhsa_kernel _ZN9rocsparseL6kernelILi1024ELi8EfiiEEvbbbT3_PS1_NS_15floating_traitsIT1_E6data_tES1_T2_PKS7_S9_PKS1_PKS4_21rocsparse_index_base_S9_S9_SB_PS4_SF_SE_S9_S9_SB_SF_SF_SE_SF_SF_PS6_SG_PKS6_
		.amdhsa_group_segment_fixed_size 1024
		.amdhsa_private_segment_fixed_size 0
		.amdhsa_kernarg_size 208
		.amdhsa_user_sgpr_count 6
		.amdhsa_user_sgpr_private_segment_buffer 1
		.amdhsa_user_sgpr_dispatch_ptr 0
		.amdhsa_user_sgpr_queue_ptr 0
		.amdhsa_user_sgpr_kernarg_segment_ptr 1
		.amdhsa_user_sgpr_dispatch_id 0
		.amdhsa_user_sgpr_flat_scratch_init 0
		.amdhsa_user_sgpr_private_segment_size 0
		.amdhsa_uses_dynamic_stack 0
		.amdhsa_system_sgpr_private_segment_wavefront_offset 0
		.amdhsa_system_sgpr_workgroup_id_x 1
		.amdhsa_system_sgpr_workgroup_id_y 0
		.amdhsa_system_sgpr_workgroup_id_z 0
		.amdhsa_system_sgpr_workgroup_info 0
		.amdhsa_system_vgpr_workitem_id 0
		.amdhsa_next_free_vgpr 44
		.amdhsa_next_free_sgpr 96
		.amdhsa_reserve_vcc 1
		.amdhsa_reserve_flat_scratch 0
		.amdhsa_float_round_mode_32 0
		.amdhsa_float_round_mode_16_64 0
		.amdhsa_float_denorm_mode_32 3
		.amdhsa_float_denorm_mode_16_64 3
		.amdhsa_dx10_clamp 1
		.amdhsa_ieee_mode 1
		.amdhsa_fp16_overflow 0
		.amdhsa_exception_fp_ieee_invalid_op 0
		.amdhsa_exception_fp_denorm_src 0
		.amdhsa_exception_fp_ieee_div_zero 0
		.amdhsa_exception_fp_ieee_overflow 0
		.amdhsa_exception_fp_ieee_underflow 0
		.amdhsa_exception_fp_ieee_inexact 0
		.amdhsa_exception_int_div_zero 0
	.end_amdhsa_kernel
	.section	.text._ZN9rocsparseL6kernelILi1024ELi8EfiiEEvbbbT3_PS1_NS_15floating_traitsIT1_E6data_tES1_T2_PKS7_S9_PKS1_PKS4_21rocsparse_index_base_S9_S9_SB_PS4_SF_SE_S9_S9_SB_SF_SF_SE_SF_SF_PS6_SG_PKS6_,"axG",@progbits,_ZN9rocsparseL6kernelILi1024ELi8EfiiEEvbbbT3_PS1_NS_15floating_traitsIT1_E6data_tES1_T2_PKS7_S9_PKS1_PKS4_21rocsparse_index_base_S9_S9_SB_PS4_SF_SE_S9_S9_SB_SF_SF_SE_SF_SF_PS6_SG_PKS6_,comdat
.Lfunc_end10:
	.size	_ZN9rocsparseL6kernelILi1024ELi8EfiiEEvbbbT3_PS1_NS_15floating_traitsIT1_E6data_tES1_T2_PKS7_S9_PKS1_PKS4_21rocsparse_index_base_S9_S9_SB_PS4_SF_SE_S9_S9_SB_SF_SF_SE_SF_SF_PS6_SG_PKS6_, .Lfunc_end10-_ZN9rocsparseL6kernelILi1024ELi8EfiiEEvbbbT3_PS1_NS_15floating_traitsIT1_E6data_tES1_T2_PKS7_S9_PKS1_PKS4_21rocsparse_index_base_S9_S9_SB_PS4_SF_SE_S9_S9_SB_SF_SF_SE_SF_SF_PS6_SG_PKS6_
                                        ; -- End function
	.set _ZN9rocsparseL6kernelILi1024ELi8EfiiEEvbbbT3_PS1_NS_15floating_traitsIT1_E6data_tES1_T2_PKS7_S9_PKS1_PKS4_21rocsparse_index_base_S9_S9_SB_PS4_SF_SE_S9_S9_SB_SF_SF_SE_SF_SF_PS6_SG_PKS6_.num_vgpr, 44
	.set _ZN9rocsparseL6kernelILi1024ELi8EfiiEEvbbbT3_PS1_NS_15floating_traitsIT1_E6data_tES1_T2_PKS7_S9_PKS1_PKS4_21rocsparse_index_base_S9_S9_SB_PS4_SF_SE_S9_S9_SB_SF_SF_SE_SF_SF_PS6_SG_PKS6_.num_agpr, 0
	.set _ZN9rocsparseL6kernelILi1024ELi8EfiiEEvbbbT3_PS1_NS_15floating_traitsIT1_E6data_tES1_T2_PKS7_S9_PKS1_PKS4_21rocsparse_index_base_S9_S9_SB_PS4_SF_SE_S9_S9_SB_SF_SF_SE_SF_SF_PS6_SG_PKS6_.numbered_sgpr, 96
	.set _ZN9rocsparseL6kernelILi1024ELi8EfiiEEvbbbT3_PS1_NS_15floating_traitsIT1_E6data_tES1_T2_PKS7_S9_PKS1_PKS4_21rocsparse_index_base_S9_S9_SB_PS4_SF_SE_S9_S9_SB_SF_SF_SE_SF_SF_PS6_SG_PKS6_.num_named_barrier, 0
	.set _ZN9rocsparseL6kernelILi1024ELi8EfiiEEvbbbT3_PS1_NS_15floating_traitsIT1_E6data_tES1_T2_PKS7_S9_PKS1_PKS4_21rocsparse_index_base_S9_S9_SB_PS4_SF_SE_S9_S9_SB_SF_SF_SE_SF_SF_PS6_SG_PKS6_.private_seg_size, 0
	.set _ZN9rocsparseL6kernelILi1024ELi8EfiiEEvbbbT3_PS1_NS_15floating_traitsIT1_E6data_tES1_T2_PKS7_S9_PKS1_PKS4_21rocsparse_index_base_S9_S9_SB_PS4_SF_SE_S9_S9_SB_SF_SF_SE_SF_SF_PS6_SG_PKS6_.uses_vcc, 1
	.set _ZN9rocsparseL6kernelILi1024ELi8EfiiEEvbbbT3_PS1_NS_15floating_traitsIT1_E6data_tES1_T2_PKS7_S9_PKS1_PKS4_21rocsparse_index_base_S9_S9_SB_PS4_SF_SE_S9_S9_SB_SF_SF_SE_SF_SF_PS6_SG_PKS6_.uses_flat_scratch, 0
	.set _ZN9rocsparseL6kernelILi1024ELi8EfiiEEvbbbT3_PS1_NS_15floating_traitsIT1_E6data_tES1_T2_PKS7_S9_PKS1_PKS4_21rocsparse_index_base_S9_S9_SB_PS4_SF_SE_S9_S9_SB_SF_SF_SE_SF_SF_PS6_SG_PKS6_.has_dyn_sized_stack, 0
	.set _ZN9rocsparseL6kernelILi1024ELi8EfiiEEvbbbT3_PS1_NS_15floating_traitsIT1_E6data_tES1_T2_PKS7_S9_PKS1_PKS4_21rocsparse_index_base_S9_S9_SB_PS4_SF_SE_S9_S9_SB_SF_SF_SE_SF_SF_PS6_SG_PKS6_.has_recursion, 0
	.set _ZN9rocsparseL6kernelILi1024ELi8EfiiEEvbbbT3_PS1_NS_15floating_traitsIT1_E6data_tES1_T2_PKS7_S9_PKS1_PKS4_21rocsparse_index_base_S9_S9_SB_PS4_SF_SE_S9_S9_SB_SF_SF_SE_SF_SF_PS6_SG_PKS6_.has_indirect_call, 0
	.section	.AMDGPU.csdata,"",@progbits
; Kernel info:
; codeLenInByte = 5316
; TotalNumSgprs: 100
; NumVgprs: 44
; ScratchSize: 0
; MemoryBound: 0
; FloatMode: 240
; IeeeMode: 1
; LDSByteSize: 1024 bytes/workgroup (compile time only)
; SGPRBlocks: 12
; VGPRBlocks: 10
; NumSGPRsForWavesPerEU: 100
; NumVGPRsForWavesPerEU: 44
; Occupancy: 5
; WaveLimiterHint : 1
; COMPUTE_PGM_RSRC2:SCRATCH_EN: 0
; COMPUTE_PGM_RSRC2:USER_SGPR: 6
; COMPUTE_PGM_RSRC2:TRAP_HANDLER: 0
; COMPUTE_PGM_RSRC2:TGID_X_EN: 1
; COMPUTE_PGM_RSRC2:TGID_Y_EN: 0
; COMPUTE_PGM_RSRC2:TGID_Z_EN: 0
; COMPUTE_PGM_RSRC2:TIDIG_COMP_CNT: 0
	.section	.text._ZN9rocsparseL6kernelILi1024ELi16EfiiEEvbbbT3_PS1_NS_15floating_traitsIT1_E6data_tES1_T2_PKS7_S9_PKS1_PKS4_21rocsparse_index_base_S9_S9_SB_PS4_SF_SE_S9_S9_SB_SF_SF_SE_SF_SF_PS6_SG_PKS6_,"axG",@progbits,_ZN9rocsparseL6kernelILi1024ELi16EfiiEEvbbbT3_PS1_NS_15floating_traitsIT1_E6data_tES1_T2_PKS7_S9_PKS1_PKS4_21rocsparse_index_base_S9_S9_SB_PS4_SF_SE_S9_S9_SB_SF_SF_SE_SF_SF_PS6_SG_PKS6_,comdat
	.globl	_ZN9rocsparseL6kernelILi1024ELi16EfiiEEvbbbT3_PS1_NS_15floating_traitsIT1_E6data_tES1_T2_PKS7_S9_PKS1_PKS4_21rocsparse_index_base_S9_S9_SB_PS4_SF_SE_S9_S9_SB_SF_SF_SE_SF_SF_PS6_SG_PKS6_ ; -- Begin function _ZN9rocsparseL6kernelILi1024ELi16EfiiEEvbbbT3_PS1_NS_15floating_traitsIT1_E6data_tES1_T2_PKS7_S9_PKS1_PKS4_21rocsparse_index_base_S9_S9_SB_PS4_SF_SE_S9_S9_SB_SF_SF_SE_SF_SF_PS6_SG_PKS6_
	.p2align	8
	.type	_ZN9rocsparseL6kernelILi1024ELi16EfiiEEvbbbT3_PS1_NS_15floating_traitsIT1_E6data_tES1_T2_PKS7_S9_PKS1_PKS4_21rocsparse_index_base_S9_S9_SB_PS4_SF_SE_S9_S9_SB_SF_SF_SE_SF_SF_PS6_SG_PKS6_,@function
_ZN9rocsparseL6kernelILi1024ELi16EfiiEEvbbbT3_PS1_NS_15floating_traitsIT1_E6data_tES1_T2_PKS7_S9_PKS1_PKS4_21rocsparse_index_base_S9_S9_SB_PS4_SF_SE_S9_S9_SB_SF_SF_SE_SF_SF_PS6_SG_PKS6_: ; @_ZN9rocsparseL6kernelILi1024ELi16EfiiEEvbbbT3_PS1_NS_15floating_traitsIT1_E6data_tES1_T2_PKS7_S9_PKS1_PKS4_21rocsparse_index_base_S9_S9_SB_PS4_SF_SE_S9_S9_SB_SF_SF_SE_SF_SF_PS6_SG_PKS6_
; %bb.0:
	s_load_dword s0, s[4:5], 0x0
	s_load_dwordx2 s[2:3], s[4:5], 0x0
	s_load_dwordx2 s[66:67], s[4:5], 0x10
	s_load_dwordx4 s[8:11], s[4:5], 0xb8
	v_lshrrev_b32_e32 v21, 4, v0
	s_waitcnt lgkmcnt(0)
	s_bitcmp1_b32 s0, 0
	s_cselect_b64 s[62:63], -1, 0
	s_bitcmp1_b32 s0, 8
	s_cselect_b64 s[60:61], -1, 0
	;; [unrolled: 2-line block ×3, first 2 shown]
	s_lshl_b32 s53, s6, 10
	v_or_b32_e32 v23, s53, v21
	s_cmp_gt_i32 s3, 0
	v_cmp_gt_i32_e32 vcc, s67, v23
	s_cselect_b64 s[0:1], -1, 0
	v_and_b32_e32 v22, 15, v0
	v_lshlrev_b32_e32 v19, 2, v0
	s_mov_b32 s2, 0
	v_mov_b32_e32 v20, 0
	s_and_b64 s[0:1], s[0:1], vcc
	v_mov_b32_e32 v24, 0
	v_mov_b32_e32 v1, 0
	ds_write_b32 v19, v20
	s_waitcnt lgkmcnt(0)
	s_barrier
	s_and_saveexec_b64 s[6:7], s[0:1]
	s_cbranch_execnz .LBB11_3
; %bb.1:
	s_or_b64 exec, exec, s[6:7]
	s_andn2_b64 vcc, exec, s[62:63]
	s_cbranch_vccz .LBB11_142
.LBB11_2:
	v_cmp_eq_u32_e32 vcc, 0, v0
	s_and_b64 s[0:1], vcc, s[60:61]
	s_and_saveexec_b64 s[2:3], s[0:1]
	s_cbranch_execnz .LBB11_160
	s_branch .LBB11_166
.LBB11_3:
	s_load_dwordx2 s[0:1], s[4:5], 0xc8
                                        ; implicit-def: $vgpr43 : SGPR spill to VGPR lane
	s_addk_i32 s53, 0x400
	v_writelane_b32 v43, s6, 0
	v_writelane_b32 v43, s7, 1
	s_and_b64 s[20:21], s[60:61], s[34:35]
	s_waitcnt lgkmcnt(0)
	v_writelane_b32 v43, s0, 2
	v_writelane_b32 v43, s1, 3
	s_xor_b64 s[0:1], s[60:61], -1
	v_writelane_b32 v43, s0, 4
	v_writelane_b32 v43, s1, 5
	v_cmp_gt_u32_e64 s[0:1], s53, v23
	v_writelane_b32 v43, s0, 6
	v_writelane_b32 v43, s1, 7
	s_xor_b64 s[20:21], s[20:21], -1
	v_writelane_b32 v43, s20, 8
	s_mov_b32 s23, s3
	s_load_dwordx4 s[56:59], s[4:5], 0xa8
	s_load_dwordx8 s[24:31], s[4:5], 0x78
	s_load_dwordx8 s[36:43], s[4:5], 0x48
	s_load_dword s33, s[4:5], 0x40
	s_load_dwordx2 s[74:75], s[4:5], 0x68
	s_load_dword s3, s[4:5], 0x70
	s_load_dwordx2 s[76:77], s[4:5], 0x98
	s_load_dword s52, s[4:5], 0xa0
	v_writelane_b32 v43, s21, 9
	v_writelane_b32 v43, s4, 10
	s_load_dwordx8 s[44:51], s[4:5], 0x20
	s_waitcnt lgkmcnt(0)
	v_subrev_u32_e32 v25, s33, v22
	v_cmp_eq_u32_e64 s[0:1], 15, v22
	v_lshlrev_b32_e32 v26, 2, v21
	v_cmp_gt_u32_e64 s[6:7], 32, v0
	v_cmp_gt_u32_e64 s[8:9], 16, v0
	;; [unrolled: 1-line block ×5, first 2 shown]
	v_cmp_eq_u32_e64 s[16:17], 0, v0
	v_subrev_u32_e32 v27, s3, v22
	v_subrev_u32_e32 v28, s52, v22
	v_cmp_eq_u32_e64 s[18:19], 0, v22
	v_mov_b32_e32 v2, 0
	v_writelane_b32 v43, s5, 11
	s_mov_b64 s[80:81], 0
	v_mov_b32_e32 v24, 0
	v_mov_b32_e32 v20, 0
	s_movk_i32 s54, 0x1f8
	s_mov_b32 s5, s23
	s_branch .LBB11_5
.LBB11_4:                               ;   in Loop: Header=BB11_5 Depth=1
	s_or_b64 exec, exec, s[20:21]
	s_and_b64 s[20:21], exec, s[22:23]
	s_or_b64 s[80:81], s[20:21], s[80:81]
	s_andn2_b64 exec, exec, s[80:81]
	s_cbranch_execz .LBB11_141
.LBB11_5:                               ; =>This Loop Header: Depth=1
                                        ;     Child Loop BB11_9 Depth 2
                                        ;       Child Loop BB11_14 Depth 3
                                        ;         Child Loop BB11_18 Depth 4
                                        ;         Child Loop BB11_39 Depth 4
	;; [unrolled: 1-line block ×5, first 2 shown]
                                        ;     Child Loop BB11_120 Depth 2
                                        ;       Child Loop BB11_123 Depth 3
                                        ;       Child Loop BB11_126 Depth 3
	v_cndmask_b32_e64 v24, v24, 0, s[60:61]
	v_cndmask_b32_e64 v20, v20, 0, s[34:35]
	s_mov_b32 s55, 0
	s_branch .LBB11_9
.LBB11_6:                               ;   in Loop: Header=BB11_9 Depth=2
	s_or_b64 exec, exec, s[86:87]
.LBB11_7:                               ;   in Loop: Header=BB11_9 Depth=2
	s_or_b64 exec, exec, s[84:85]
.LBB11_8:                               ;   in Loop: Header=BB11_9 Depth=2
	s_or_b64 exec, exec, s[82:83]
	s_add_i32 s55, s55, 1
	s_cmp_eq_u32 s55, 16
	s_cbranch_scc1 .LBB11_85
.LBB11_9:                               ;   Parent Loop BB11_5 Depth=1
                                        ; =>  This Loop Header: Depth=2
                                        ;       Child Loop BB11_14 Depth 3
                                        ;         Child Loop BB11_18 Depth 4
                                        ;         Child Loop BB11_39 Depth 4
	;; [unrolled: 1-line block ×5, first 2 shown]
	v_lshl_add_u32 v3, s55, 6, v23
	v_cmp_gt_i32_e32 vcc, s67, v3
	s_and_saveexec_b64 s[82:83], vcc
	s_cbranch_execz .LBB11_8
; %bb.10:                               ;   in Loop: Header=BB11_9 Depth=2
	v_ashrrev_i32_e32 v4, 31, v3
	v_lshlrev_b64 v[5:6], 2, v[3:4]
	v_mov_b32_e32 v1, s45
	v_add_co_u32_e32 v7, vcc, s44, v5
	v_addc_co_u32_e32 v8, vcc, v1, v6, vcc
	global_load_dword v1, v[7:8], off
	v_mov_b32_e32 v4, s47
	v_add_co_u32_e32 v7, vcc, s46, v5
	v_addc_co_u32_e32 v8, vcc, v4, v6, vcc
	global_load_dword v7, v[7:8], off
	s_waitcnt vmcnt(1)
	v_add_u32_e32 v4, v25, v1
	s_waitcnt vmcnt(0)
	v_subrev_u32_e32 v29, s33, v7
	v_cmp_lt_i32_e32 vcc, v4, v29
	s_and_saveexec_b64 s[84:85], vcc
	s_cbranch_execz .LBB11_7
; %bb.11:                               ;   in Loop: Header=BB11_9 Depth=2
	v_mov_b32_e32 v1, s39
	v_add_co_u32_e32 v7, vcc, s38, v5
	v_addc_co_u32_e32 v8, vcc, v1, v6, vcc
	v_mov_b32_e32 v1, s37
	v_add_co_u32_e32 v5, vcc, s36, v5
	v_addc_co_u32_e32 v6, vcc, v1, v6, vcc
	global_load_dword v1, v[5:6], off
	s_nop 0
	global_load_dword v5, v[7:8], off
	v_mov_b32_e32 v9, s41
	v_mov_b32_e32 v10, s43
	s_mov_b64 s[86:87], 0
	s_waitcnt vmcnt(1)
	v_subrev_u32_e32 v6, s3, v1
	v_ashrrev_i32_e32 v7, 31, v6
	v_lshlrev_b64 v[7:8], 2, v[6:7]
	s_waitcnt vmcnt(0)
	v_sub_u32_e32 v30, v5, v1
	v_add_co_u32_e32 v31, vcc, s40, v7
	v_addc_co_u32_e32 v32, vcc, v9, v8, vcc
	v_add_co_u32_e32 v33, vcc, s42, v7
	v_cmp_lt_i32_e64 s[20:21], 0, v30
	v_addc_co_u32_e32 v34, vcc, v10, v8, vcc
	s_branch .LBB11_14
.LBB11_12:                              ;   in Loop: Header=BB11_14 Depth=3
	s_or_b64 exec, exec, s[64:65]
.LBB11_13:                              ;   in Loop: Header=BB11_14 Depth=3
	s_or_b64 exec, exec, s[22:23]
	v_add_u32_e32 v4, 16, v4
	v_cmp_ge_i32_e32 vcc, v4, v29
	s_or_b64 s[86:87], vcc, s[86:87]
	s_andn2_b64 exec, exec, s[86:87]
	s_cbranch_execz .LBB11_6
.LBB11_14:                              ;   Parent Loop BB11_5 Depth=1
                                        ;     Parent Loop BB11_9 Depth=2
                                        ; =>    This Loop Header: Depth=3
                                        ;         Child Loop BB11_18 Depth 4
                                        ;         Child Loop BB11_39 Depth 4
	;; [unrolled: 1-line block ×5, first 2 shown]
	v_ashrrev_i32_e32 v5, 31, v4
	v_lshlrev_b64 v[13:14], 2, v[4:5]
	v_mov_b32_e32 v1, s49
	v_add_co_u32_e32 v7, vcc, s48, v13
	v_addc_co_u32_e32 v8, vcc, v1, v14, vcc
	global_load_dword v1, v[7:8], off
	v_mov_b32_e32 v5, s25
	v_mov_b32_e32 v12, s27
	s_waitcnt vmcnt(0)
	v_subrev_u32_e32 v9, s33, v1
	v_ashrrev_i32_e32 v10, 31, v9
	v_lshlrev_b64 v[7:8], 2, v[9:10]
	v_add_co_u32_e32 v10, vcc, s24, v7
	v_addc_co_u32_e32 v11, vcc, v5, v8, vcc
	v_add_co_u32_e32 v15, vcc, s26, v7
	v_addc_co_u32_e32 v16, vcc, v12, v8, vcc
	global_load_dword v1, v[10:11], off
	global_load_dword v12, v[15:16], off
	v_mov_b32_e32 v11, 0
	v_mov_b32_e32 v5, 0
	s_waitcnt vmcnt(1)
	v_subrev_u32_e32 v10, s52, v1
	s_waitcnt vmcnt(0)
	v_sub_u32_e32 v35, v12, v1
	v_mov_b32_e32 v1, v11
	s_and_saveexec_b64 s[22:23], s[20:21]
	s_cbranch_execz .LBB11_22
; %bb.15:                               ;   in Loop: Header=BB11_14 Depth=3
	v_ashrrev_i32_e32 v11, 31, v10
	v_lshlrev_b64 v[11:12], 2, v[10:11]
	v_mov_b32_e32 v1, s29
	v_add_co_u32_e32 v36, vcc, s28, v11
	v_addc_co_u32_e32 v37, vcc, v1, v12, vcc
	v_mov_b32_e32 v1, s31
	v_add_co_u32_e32 v38, vcc, s30, v11
	v_addc_co_u32_e32 v39, vcc, v1, v12, vcc
	v_mov_b32_e32 v1, 0
	v_mov_b32_e32 v5, 0
	s_mov_b64 s[88:89], 0
	v_mov_b32_e32 v11, v1
                                        ; implicit-def: $sgpr90_sgpr91
	s_branch .LBB11_18
.LBB11_16:                              ;   in Loop: Header=BB11_18 Depth=4
	s_or_b64 exec, exec, s[70:71]
	v_cmp_le_i32_e32 vcc, v12, v40
	v_addc_co_u32_e32 v1, vcc, 0, v1, vcc
	v_cmp_ge_i32_e32 vcc, v12, v40
	v_addc_co_u32_e32 v11, vcc, 0, v11, vcc
	v_cmp_ge_i32_e32 vcc, v1, v30
	s_andn2_b64 s[64:65], s[90:91], exec
	s_and_b64 s[70:71], vcc, exec
	s_or_b64 s[90:91], s[64:65], s[70:71]
.LBB11_17:                              ;   in Loop: Header=BB11_18 Depth=4
	s_or_b64 exec, exec, s[68:69]
	s_and_b64 s[64:65], exec, s[90:91]
	s_or_b64 s[88:89], s[64:65], s[88:89]
	s_andn2_b64 exec, exec, s[88:89]
	s_cbranch_execz .LBB11_21
.LBB11_18:                              ;   Parent Loop BB11_5 Depth=1
                                        ;     Parent Loop BB11_9 Depth=2
                                        ;       Parent Loop BB11_14 Depth=3
                                        ; =>      This Inner Loop Header: Depth=4
	v_cmp_lt_i32_e32 vcc, v11, v35
	s_or_b64 s[90:91], s[90:91], exec
	s_and_saveexec_b64 s[68:69], vcc
	s_cbranch_execz .LBB11_17
; %bb.19:                               ;   in Loop: Header=BB11_18 Depth=4
	v_lshlrev_b64 v[15:16], 2, v[1:2]
	v_mov_b32_e32 v12, v2
	v_add_co_u32_e32 v17, vcc, v31, v15
	v_addc_co_u32_e32 v18, vcc, v32, v16, vcc
	global_load_dword v42, v[17:18], off
	v_lshlrev_b64 v[17:18], 2, v[11:12]
	v_add_co_u32_e32 v40, vcc, v36, v17
	v_addc_co_u32_e32 v41, vcc, v37, v18, vcc
	global_load_dword v40, v[40:41], off
	s_waitcnt vmcnt(1)
	v_subrev_u32_e32 v12, s3, v42
	s_waitcnt vmcnt(0)
	v_subrev_u32_e32 v40, s52, v40
	v_cmp_eq_u32_e32 vcc, v12, v40
	s_and_saveexec_b64 s[70:71], vcc
	s_cbranch_execz .LBB11_16
; %bb.20:                               ;   in Loop: Header=BB11_18 Depth=4
	v_add_co_u32_e32 v15, vcc, v33, v15
	v_addc_co_u32_e32 v16, vcc, v34, v16, vcc
	v_add_co_u32_e32 v17, vcc, v38, v17
	v_addc_co_u32_e32 v18, vcc, v39, v18, vcc
	global_load_dword v15, v[15:16], off
	s_nop 0
	global_load_dword v16, v[17:18], off
	s_waitcnt vmcnt(0)
	v_fmac_f32_e32 v5, v15, v16
	s_branch .LBB11_16
.LBB11_21:                              ;   in Loop: Header=BB11_14 Depth=3
	s_or_b64 exec, exec, s[88:89]
.LBB11_22:                              ;   in Loop: Header=BB11_14 Depth=3
	s_or_b64 exec, exec, s[22:23]
	v_mov_b32_e32 v15, s51
	v_add_co_u32_e32 v12, vcc, s50, v13
	v_addc_co_u32_e32 v13, vcc, v15, v14, vcc
	global_load_dword v14, v[12:13], off
	v_cmp_le_i32_e64 s[22:23], v3, v9
	v_cmp_gt_i32_e32 vcc, v3, v9
	s_waitcnt vmcnt(0)
	v_sub_f32_e32 v15, v14, v5
	s_and_saveexec_b64 s[68:69], vcc
	s_cbranch_execnz .LBB11_25
; %bb.23:                               ;   in Loop: Header=BB11_14 Depth=3
	s_or_b64 exec, exec, s[68:69]
	v_cmp_class_f32_e64 s[88:89], v15, s54
	s_and_saveexec_b64 s[90:91], s[88:89]
	s_cbranch_execnz .LBB11_28
.LBB11_24:                              ;   in Loop: Header=BB11_14 Depth=3
	s_or_b64 exec, exec, s[90:91]
	s_and_b64 s[64:65], s[34:35], s[88:89]
	s_and_saveexec_b64 s[22:23], s[64:65]
	s_cbranch_execz .LBB11_13
	s_branch .LBB11_63
.LBB11_25:                              ;   in Loop: Header=BB11_14 Depth=3
	v_mov_b32_e32 v13, s57
	v_add_co_u32_e32 v12, vcc, s56, v7
	v_addc_co_u32_e32 v13, vcc, v13, v8, vcc
	global_load_dword v12, v[12:13], off
	v_mov_b32_e32 v13, 0
	s_waitcnt vmcnt(0)
	v_cmp_lg_f32_e32 vcc, 0, v12
	s_and_saveexec_b64 s[70:71], vcc
	s_cbranch_execz .LBB11_27
; %bb.26:                               ;   in Loop: Header=BB11_14 Depth=3
	v_div_scale_f32 v13, s[64:65], v12, v12, v15
	v_div_scale_f32 v16, vcc, v15, v12, v15
	v_rcp_f32_e32 v17, v13
	v_fma_f32 v18, -v13, v17, 1.0
	v_fmac_f32_e32 v17, v18, v17
	v_mul_f32_e32 v18, v16, v17
	v_fma_f32 v36, -v13, v18, v16
	v_fmac_f32_e32 v18, v36, v17
	v_fma_f32 v13, -v13, v18, v16
	v_div_fmas_f32 v13, v13, v17, v18
	v_div_fixup_f32 v13, v13, v12, v15
.LBB11_27:                              ;   in Loop: Header=BB11_14 Depth=3
	s_or_b64 exec, exec, s[70:71]
	v_mov_b32_e32 v15, v13
	s_or_b64 exec, exec, s[68:69]
	v_cmp_class_f32_e64 s[88:89], v15, s54
	s_and_saveexec_b64 s[90:91], s[88:89]
	s_cbranch_execz .LBB11_24
.LBB11_28:                              ;   in Loop: Header=BB11_14 Depth=3
	s_and_saveexec_b64 s[64:65], s[22:23]
	s_xor_b64 s[22:23], exec, s[64:65]
	s_cbranch_execz .LBB11_49
; %bb.29:                               ;   in Loop: Header=BB11_14 Depth=3
	v_cmp_ge_i32_e32 vcc, v3, v9
	s_and_saveexec_b64 s[64:65], vcc
	s_xor_b64 s[68:69], exec, s[64:65]
	s_cbranch_execz .LBB11_35
; %bb.30:                               ;   in Loop: Header=BB11_14 Depth=3
	v_mov_b32_e32 v13, s59
	v_add_co_u32_e32 v12, vcc, s58, v7
	v_addc_co_u32_e32 v13, vcc, v13, v8, vcc
	s_andn2_b64 vcc, exec, s[60:61]
	global_store_dword v[12:13], v15, off
	s_cbranch_vccnz .LBB11_34
; %bb.31:                               ;   in Loop: Header=BB11_14 Depth=3
	v_mov_b32_e32 v13, s57
	v_add_co_u32_e32 v12, vcc, s56, v7
	v_addc_co_u32_e32 v13, vcc, v13, v8, vcc
	global_load_dword v12, v[12:13], off
	s_waitcnt vmcnt(0)
	v_sub_f32_e32 v12, v12, v15
	v_cmp_class_f32_e64 s[70:71], v12, s54
	s_and_saveexec_b64 s[64:65], s[70:71]
; %bb.32:                               ;   in Loop: Header=BB11_14 Depth=3
	v_cmp_lt_f32_e64 s[70:71], v24, |v12|
	v_cndmask_b32_e64 v24, v24, |v12|, s[70:71]
; %bb.33:                               ;   in Loop: Header=BB11_14 Depth=3
	s_or_b64 exec, exec, s[64:65]
.LBB11_34:                              ;   in Loop: Header=BB11_14 Depth=3
                                        ; implicit-def: $vgpr15
.LBB11_35:                              ;   in Loop: Header=BB11_14 Depth=3
	s_andn2_saveexec_b64 s[92:93], s[68:69]
	s_cbranch_execz .LBB11_48
; %bb.36:                               ;   in Loop: Header=BB11_14 Depth=3
	v_cmp_lt_i32_e32 vcc, v11, v35
	s_and_saveexec_b64 s[94:95], vcc
	s_cbranch_execz .LBB11_47
; %bb.37:                               ;   in Loop: Header=BB11_14 Depth=3
	s_mov_b64 s[68:69], 0
	v_mov_b32_e32 v16, v11
                                        ; implicit-def: $sgpr72_sgpr73
                                        ; implicit-def: $sgpr78_sgpr79
                                        ; implicit-def: $sgpr70_sgpr71
	s_branch .LBB11_39
.LBB11_38:                              ;   in Loop: Header=BB11_39 Depth=4
	s_or_b64 exec, exec, s[64:65]
	s_and_b64 s[64:65], exec, s[78:79]
	s_or_b64 s[68:69], s[64:65], s[68:69]
	s_andn2_b64 s[64:65], s[72:73], exec
	s_and_b64 s[72:73], s[70:71], exec
	s_or_b64 s[72:73], s[64:65], s[72:73]
	s_andn2_b64 exec, exec, s[68:69]
	s_cbranch_execz .LBB11_41
.LBB11_39:                              ;   Parent Loop BB11_5 Depth=1
                                        ;     Parent Loop BB11_9 Depth=2
                                        ;       Parent Loop BB11_14 Depth=3
                                        ; =>      This Inner Loop Header: Depth=4
	v_add_u32_e32 v12, v10, v16
	v_ashrrev_i32_e32 v13, 31, v12
	v_lshlrev_b64 v[12:13], 2, v[12:13]
	v_mov_b32_e32 v18, s29
	v_add_co_u32_e32 v17, vcc, s28, v12
	v_addc_co_u32_e32 v18, vcc, v18, v13, vcc
	global_load_dword v17, v[17:18], off
	s_or_b64 s[70:71], s[70:71], exec
	s_or_b64 s[78:79], s[78:79], exec
	s_waitcnt vmcnt(0)
	v_subrev_u32_e32 v17, s52, v17
	v_cmp_ne_u32_e32 vcc, v17, v3
	s_and_saveexec_b64 s[64:65], vcc
	s_cbranch_execz .LBB11_38
; %bb.40:                               ;   in Loop: Header=BB11_39 Depth=4
	v_add_u32_e32 v16, 1, v16
	v_cmp_ge_i32_e32 vcc, v16, v35
	s_andn2_b64 s[78:79], s[78:79], exec
	s_and_b64 vcc, vcc, exec
	s_andn2_b64 s[70:71], s[70:71], exec
	s_or_b64 s[78:79], s[78:79], vcc
	s_branch .LBB11_38
.LBB11_41:                              ;   in Loop: Header=BB11_14 Depth=3
	s_or_b64 exec, exec, s[68:69]
	s_and_saveexec_b64 s[64:65], s[72:73]
	s_xor_b64 s[68:69], exec, s[64:65]
	s_cbranch_execz .LBB11_46
; %bb.42:                               ;   in Loop: Header=BB11_14 Depth=3
	v_mov_b32_e32 v17, s77
	v_add_co_u32_e32 v16, vcc, s76, v12
	v_addc_co_u32_e32 v17, vcc, v17, v13, vcc
	s_andn2_b64 vcc, exec, s[60:61]
	global_store_dword v[16:17], v15, off
	s_cbranch_vccnz .LBB11_46
; %bb.43:                               ;   in Loop: Header=BB11_14 Depth=3
	v_mov_b32_e32 v16, s31
	v_add_co_u32_e32 v12, vcc, s30, v12
	v_addc_co_u32_e32 v13, vcc, v16, v13, vcc
	global_load_dword v12, v[12:13], off
	s_waitcnt vmcnt(0)
	v_sub_f32_e32 v12, v12, v15
	v_cmp_class_f32_e64 s[70:71], v12, s54
	s_and_saveexec_b64 s[64:65], s[70:71]
; %bb.44:                               ;   in Loop: Header=BB11_14 Depth=3
	v_cmp_lt_f32_e64 s[70:71], v24, |v12|
	v_cndmask_b32_e64 v24, v24, |v12|, s[70:71]
; %bb.45:                               ;   in Loop: Header=BB11_14 Depth=3
	s_or_b64 exec, exec, s[64:65]
.LBB11_46:                              ;   in Loop: Header=BB11_14 Depth=3
	s_or_b64 exec, exec, s[68:69]
.LBB11_47:                              ;   in Loop: Header=BB11_14 Depth=3
	s_or_b64 exec, exec, s[94:95]
.LBB11_48:                              ;   in Loop: Header=BB11_14 Depth=3
	s_or_b64 exec, exec, s[92:93]
                                        ; implicit-def: $vgpr15
.LBB11_49:                              ;   in Loop: Header=BB11_14 Depth=3
	s_andn2_saveexec_b64 s[22:23], s[22:23]
	s_cbranch_execz .LBB11_62
; %bb.50:                               ;   in Loop: Header=BB11_14 Depth=3
	v_cmp_lt_i32_e32 vcc, v1, v30
	s_and_saveexec_b64 s[92:93], vcc
	s_cbranch_execz .LBB11_61
; %bb.51:                               ;   in Loop: Header=BB11_14 Depth=3
	s_mov_b64 s[94:95], 0
	v_mov_b32_e32 v16, v1
                                        ; implicit-def: $sgpr68_sgpr69
                                        ; implicit-def: $sgpr72_sgpr73
                                        ; implicit-def: $sgpr70_sgpr71
	s_branch .LBB11_53
.LBB11_52:                              ;   in Loop: Header=BB11_53 Depth=4
	s_or_b64 exec, exec, s[78:79]
	s_and_b64 s[64:65], exec, s[72:73]
	s_or_b64 s[94:95], s[64:65], s[94:95]
	s_andn2_b64 s[64:65], s[68:69], exec
	s_and_b64 s[68:69], s[70:71], exec
	s_or_b64 s[68:69], s[64:65], s[68:69]
	s_andn2_b64 exec, exec, s[94:95]
	s_cbranch_execz .LBB11_55
.LBB11_53:                              ;   Parent Loop BB11_5 Depth=1
                                        ;     Parent Loop BB11_9 Depth=2
                                        ;       Parent Loop BB11_14 Depth=3
                                        ; =>      This Inner Loop Header: Depth=4
	v_add_u32_e32 v12, v6, v16
	v_ashrrev_i32_e32 v13, 31, v12
	v_lshlrev_b64 v[12:13], 2, v[12:13]
	v_mov_b32_e32 v18, s41
	v_add_co_u32_e32 v17, vcc, s40, v12
	v_addc_co_u32_e32 v18, vcc, v18, v13, vcc
	global_load_dword v17, v[17:18], off
	s_or_b64 s[70:71], s[70:71], exec
	s_or_b64 s[72:73], s[72:73], exec
	s_waitcnt vmcnt(0)
	v_subrev_u32_e32 v17, s3, v17
	v_cmp_ne_u32_e32 vcc, v17, v9
	s_and_saveexec_b64 s[78:79], vcc
	s_cbranch_execz .LBB11_52
; %bb.54:                               ;   in Loop: Header=BB11_53 Depth=4
	v_add_u32_e32 v16, 1, v16
	v_cmp_ge_i32_e32 vcc, v16, v30
	s_andn2_b64 s[64:65], s[72:73], exec
	s_and_b64 s[72:73], vcc, exec
	s_andn2_b64 s[70:71], s[70:71], exec
	s_or_b64 s[72:73], s[64:65], s[72:73]
	s_branch .LBB11_52
.LBB11_55:                              ;   in Loop: Header=BB11_14 Depth=3
	s_or_b64 exec, exec, s[94:95]
	s_and_saveexec_b64 s[64:65], s[68:69]
	s_xor_b64 s[68:69], exec, s[64:65]
	s_cbranch_execz .LBB11_60
; %bb.56:                               ;   in Loop: Header=BB11_14 Depth=3
	v_mov_b32_e32 v17, s75
	v_add_co_u32_e32 v16, vcc, s74, v12
	v_addc_co_u32_e32 v17, vcc, v17, v13, vcc
	s_andn2_b64 vcc, exec, s[60:61]
	global_store_dword v[16:17], v15, off
	s_cbranch_vccnz .LBB11_60
; %bb.57:                               ;   in Loop: Header=BB11_14 Depth=3
	v_mov_b32_e32 v16, s43
	v_add_co_u32_e32 v12, vcc, s42, v12
	v_addc_co_u32_e32 v13, vcc, v16, v13, vcc
	global_load_dword v12, v[12:13], off
	s_waitcnt vmcnt(0)
	v_sub_f32_e32 v12, v12, v15
	v_cmp_class_f32_e64 s[70:71], v12, s54
	s_and_saveexec_b64 s[64:65], s[70:71]
; %bb.58:                               ;   in Loop: Header=BB11_14 Depth=3
	v_cmp_lt_f32_e64 s[70:71], v24, |v12|
	v_cndmask_b32_e64 v24, v24, |v12|, s[70:71]
; %bb.59:                               ;   in Loop: Header=BB11_14 Depth=3
	s_or_b64 exec, exec, s[64:65]
.LBB11_60:                              ;   in Loop: Header=BB11_14 Depth=3
	s_or_b64 exec, exec, s[68:69]
.LBB11_61:                              ;   in Loop: Header=BB11_14 Depth=3
	s_or_b64 exec, exec, s[92:93]
.LBB11_62:                              ;   in Loop: Header=BB11_14 Depth=3
	s_or_b64 exec, exec, s[22:23]
	s_or_b64 exec, exec, s[90:91]
	s_and_b64 s[64:65], s[34:35], s[88:89]
	s_and_saveexec_b64 s[22:23], s[64:65]
	s_cbranch_execz .LBB11_13
.LBB11_63:                              ;   in Loop: Header=BB11_14 Depth=3
	v_cmp_ge_i32_e32 vcc, v11, v35
	s_and_saveexec_b64 s[64:65], vcc
	s_xor_b64 s[88:89], exec, s[64:65]
	s_cbranch_execnz .LBB11_69
; %bb.64:                               ;   in Loop: Header=BB11_14 Depth=3
	s_andn2_saveexec_b64 s[88:89], s[88:89]
	s_cbranch_execnz .LBB11_78
.LBB11_65:                              ;   in Loop: Header=BB11_14 Depth=3
	s_or_b64 exec, exec, s[88:89]
	v_cmp_eq_u32_e32 vcc, v3, v9
	s_and_saveexec_b64 s[64:65], vcc
	s_cbranch_execz .LBB11_67
.LBB11_66:                              ;   in Loop: Header=BB11_14 Depth=3
	v_mov_b32_e32 v1, s57
	v_add_co_u32_e32 v7, vcc, s56, v7
	v_addc_co_u32_e32 v8, vcc, v1, v8, vcc
	global_load_dword v1, v[7:8], off
	s_waitcnt vmcnt(0)
	v_add_f32_e32 v5, v5, v1
.LBB11_67:                              ;   in Loop: Header=BB11_14 Depth=3
	s_or_b64 exec, exec, s[64:65]
	v_sub_f32_e32 v1, v14, v5
	v_cmp_class_f32_e64 s[68:69], v1, s54
	s_and_saveexec_b64 s[64:65], s[68:69]
	s_cbranch_execz .LBB11_12
; %bb.68:                               ;   in Loop: Header=BB11_14 Depth=3
	v_cmp_lt_f32_e64 s[68:69], v20, |v1|
	v_cndmask_b32_e64 v20, v20, |v1|, s[68:69]
	s_branch .LBB11_12
.LBB11_69:                              ;   in Loop: Header=BB11_14 Depth=3
	v_cmp_lt_i32_e32 vcc, v1, v30
	s_and_saveexec_b64 s[90:91], vcc
	s_cbranch_execz .LBB11_77
; %bb.70:                               ;   in Loop: Header=BB11_14 Depth=3
	s_mov_b64 s[68:69], 0
                                        ; implicit-def: $sgpr72_sgpr73
                                        ; implicit-def: $sgpr78_sgpr79
                                        ; implicit-def: $sgpr70_sgpr71
	s_branch .LBB11_72
.LBB11_71:                              ;   in Loop: Header=BB11_72 Depth=4
	s_or_b64 exec, exec, s[64:65]
	s_and_b64 s[64:65], exec, s[78:79]
	s_or_b64 s[68:69], s[64:65], s[68:69]
	s_andn2_b64 s[64:65], s[72:73], exec
	s_and_b64 s[72:73], s[70:71], exec
	s_or_b64 s[72:73], s[64:65], s[72:73]
	s_andn2_b64 exec, exec, s[68:69]
	s_cbranch_execz .LBB11_74
.LBB11_72:                              ;   Parent Loop BB11_5 Depth=1
                                        ;     Parent Loop BB11_9 Depth=2
                                        ;       Parent Loop BB11_14 Depth=3
                                        ; =>      This Inner Loop Header: Depth=4
	v_add_u32_e32 v10, v6, v1
	v_ashrrev_i32_e32 v11, 31, v10
	v_lshlrev_b64 v[10:11], 2, v[10:11]
	v_mov_b32_e32 v13, s41
	v_add_co_u32_e32 v12, vcc, s40, v10
	v_addc_co_u32_e32 v13, vcc, v13, v11, vcc
	global_load_dword v12, v[12:13], off
	s_or_b64 s[70:71], s[70:71], exec
	s_or_b64 s[78:79], s[78:79], exec
	s_waitcnt vmcnt(0)
	v_subrev_u32_e32 v12, s3, v12
	v_cmp_ne_u32_e32 vcc, v12, v9
	s_and_saveexec_b64 s[64:65], vcc
	s_cbranch_execz .LBB11_71
; %bb.73:                               ;   in Loop: Header=BB11_72 Depth=4
	v_add_u32_e32 v1, 1, v1
	v_cmp_ge_i32_e32 vcc, v1, v30
	s_andn2_b64 s[78:79], s[78:79], exec
	s_and_b64 s[92:93], vcc, exec
	s_andn2_b64 s[70:71], s[70:71], exec
	s_or_b64 s[78:79], s[78:79], s[92:93]
	s_branch .LBB11_71
.LBB11_74:                              ;   in Loop: Header=BB11_14 Depth=3
	s_or_b64 exec, exec, s[68:69]
	s_and_saveexec_b64 s[64:65], s[72:73]
	s_xor_b64 s[68:69], exec, s[64:65]
	s_cbranch_execz .LBB11_76
; %bb.75:                               ;   in Loop: Header=BB11_14 Depth=3
	v_mov_b32_e32 v1, s43
	v_add_co_u32_e32 v10, vcc, s42, v10
	v_addc_co_u32_e32 v11, vcc, v1, v11, vcc
	global_load_dword v1, v[10:11], off
	v_mov_b32_e32 v11, s57
	v_add_co_u32_e32 v10, vcc, s56, v7
	v_addc_co_u32_e32 v11, vcc, v11, v8, vcc
	global_load_dword v10, v[10:11], off
	s_waitcnt vmcnt(0)
	v_fmac_f32_e32 v5, v1, v10
.LBB11_76:                              ;   in Loop: Header=BB11_14 Depth=3
	s_or_b64 exec, exec, s[68:69]
.LBB11_77:                              ;   in Loop: Header=BB11_14 Depth=3
	s_or_b64 exec, exec, s[90:91]
                                        ; implicit-def: $vgpr11
                                        ; implicit-def: $vgpr10
                                        ; implicit-def: $vgpr35
	s_andn2_saveexec_b64 s[88:89], s[88:89]
	s_cbranch_execz .LBB11_65
.LBB11_78:                              ;   in Loop: Header=BB11_14 Depth=3
	s_mov_b64 s[68:69], 0
                                        ; implicit-def: $sgpr72_sgpr73
                                        ; implicit-def: $sgpr78_sgpr79
                                        ; implicit-def: $sgpr70_sgpr71
	s_branch .LBB11_80
.LBB11_79:                              ;   in Loop: Header=BB11_80 Depth=4
	s_or_b64 exec, exec, s[64:65]
	s_and_b64 s[64:65], exec, s[78:79]
	s_or_b64 s[68:69], s[64:65], s[68:69]
	s_andn2_b64 s[64:65], s[72:73], exec
	s_and_b64 s[72:73], s[70:71], exec
	s_or_b64 s[72:73], s[64:65], s[72:73]
	s_andn2_b64 exec, exec, s[68:69]
	s_cbranch_execz .LBB11_82
.LBB11_80:                              ;   Parent Loop BB11_5 Depth=1
                                        ;     Parent Loop BB11_9 Depth=2
                                        ;       Parent Loop BB11_14 Depth=3
                                        ; =>      This Inner Loop Header: Depth=4
	v_add_u32_e32 v12, v10, v11
	v_ashrrev_i32_e32 v13, 31, v12
	v_lshlrev_b64 v[12:13], 2, v[12:13]
	v_mov_b32_e32 v1, s29
	v_add_co_u32_e32 v15, vcc, s28, v12
	v_addc_co_u32_e32 v16, vcc, v1, v13, vcc
	global_load_dword v1, v[15:16], off
	s_or_b64 s[70:71], s[70:71], exec
	s_or_b64 s[78:79], s[78:79], exec
	s_waitcnt vmcnt(0)
	v_subrev_u32_e32 v1, s52, v1
	v_cmp_ne_u32_e32 vcc, v1, v3
	s_and_saveexec_b64 s[64:65], vcc
	s_cbranch_execz .LBB11_79
; %bb.81:                               ;   in Loop: Header=BB11_80 Depth=4
	v_add_u32_e32 v11, 1, v11
	v_cmp_ge_i32_e32 vcc, v11, v35
	s_andn2_b64 s[78:79], s[78:79], exec
	s_and_b64 s[90:91], vcc, exec
	s_andn2_b64 s[70:71], s[70:71], exec
	s_or_b64 s[78:79], s[78:79], s[90:91]
	s_branch .LBB11_79
.LBB11_82:                              ;   in Loop: Header=BB11_14 Depth=3
	s_or_b64 exec, exec, s[68:69]
	s_and_saveexec_b64 s[64:65], s[72:73]
	s_xor_b64 s[64:65], exec, s[64:65]
	s_cbranch_execz .LBB11_84
; %bb.83:                               ;   in Loop: Header=BB11_14 Depth=3
	v_mov_b32_e32 v1, s31
	v_add_co_u32_e32 v10, vcc, s30, v12
	v_addc_co_u32_e32 v11, vcc, v1, v13, vcc
	global_load_dword v1, v[10:11], off
	s_waitcnt vmcnt(0)
	v_add_f32_e32 v5, v5, v1
.LBB11_84:                              ;   in Loop: Header=BB11_14 Depth=3
	s_or_b64 exec, exec, s[64:65]
	s_or_b64 exec, exec, s[88:89]
	v_cmp_eq_u32_e32 vcc, v3, v9
	s_and_saveexec_b64 s[64:65], vcc
	s_cbranch_execnz .LBB11_66
	s_branch .LBB11_67
.LBB11_85:                              ;   in Loop: Header=BB11_5 Depth=1
	s_and_b64 vcc, exec, s[60:61]
	s_cbranch_vccz .LBB11_101
; %bb.86:                               ;   in Loop: Header=BB11_5 Depth=1
	v_mov_b32_dpp v1, v24 row_shr:1 row_mask:0xf bank_mask:0xf
	v_cmp_lt_f32_e32 vcc, v24, v1
	v_cndmask_b32_e32 v1, v24, v1, vcc
	s_nop 1
	v_mov_b32_dpp v3, v1 row_shr:2 row_mask:0xf bank_mask:0xf
	v_cmp_lt_f32_e32 vcc, v1, v3
	v_cndmask_b32_e32 v1, v1, v3, vcc
	s_nop 1
	;; [unrolled: 4-line block ×3, first 2 shown]
	v_mov_b32_dpp v3, v1 row_shr:8 row_mask:0xf bank_mask:0xc
	s_and_saveexec_b64 s[20:21], s[0:1]
; %bb.87:                               ;   in Loop: Header=BB11_5 Depth=1
	v_cmp_lt_f32_e32 vcc, v1, v3
	v_cndmask_b32_e32 v1, v1, v3, vcc
	ds_write_b32 v26, v1
; %bb.88:                               ;   in Loop: Header=BB11_5 Depth=1
	s_or_b64 exec, exec, s[20:21]
	s_waitcnt vmcnt(0) lgkmcnt(0)
	s_barrier
	s_and_saveexec_b64 s[20:21], s[6:7]
	s_cbranch_execz .LBB11_90
; %bb.89:                               ;   in Loop: Header=BB11_5 Depth=1
	ds_read2_b32 v[3:4], v19 offset1:32
	s_waitcnt lgkmcnt(0)
	v_cmp_lt_f32_e32 vcc, v3, v4
	v_cndmask_b32_e32 v1, v3, v4, vcc
	ds_write_b32 v19, v1
.LBB11_90:                              ;   in Loop: Header=BB11_5 Depth=1
	s_or_b64 exec, exec, s[20:21]
	s_waitcnt lgkmcnt(0)
	s_barrier
	s_and_saveexec_b64 s[20:21], s[8:9]
	s_cbranch_execz .LBB11_92
; %bb.91:                               ;   in Loop: Header=BB11_5 Depth=1
	ds_read2_b32 v[3:4], v19 offset1:16
	s_waitcnt lgkmcnt(0)
	v_cmp_lt_f32_e32 vcc, v3, v4
	v_cndmask_b32_e32 v1, v3, v4, vcc
	ds_write_b32 v19, v1
.LBB11_92:                              ;   in Loop: Header=BB11_5 Depth=1
	s_or_b64 exec, exec, s[20:21]
	s_waitcnt lgkmcnt(0)
	;; [unrolled: 12-line block ×5, first 2 shown]
	s_barrier
	s_and_saveexec_b64 s[20:21], s[16:17]
	s_cbranch_execz .LBB11_100
; %bb.99:                               ;   in Loop: Header=BB11_5 Depth=1
	ds_read_b64 v[3:4], v2
	s_waitcnt lgkmcnt(0)
	v_cmp_lt_f32_e32 vcc, v3, v4
	v_cndmask_b32_e32 v1, v3, v4, vcc
	ds_write_b32 v2, v1
.LBB11_100:                             ;   in Loop: Header=BB11_5 Depth=1
	s_or_b64 exec, exec, s[20:21]
	v_readlane_b32 s20, v43, 2
	v_readlane_b32 s21, v43, 3
	s_waitcnt lgkmcnt(0)
	s_barrier
	ds_read_b32 v1, v2
	s_load_dword s22, s[20:21], 0x0
	s_waitcnt lgkmcnt(0)
	v_div_scale_f32 v3, s[20:21], s22, s22, v1
	v_div_scale_f32 v4, vcc, v1, s22, v1
	v_rcp_f32_e32 v5, v3
	v_fma_f32 v6, -v3, v5, 1.0
	v_fmac_f32_e32 v5, v6, v5
	v_mul_f32_e32 v6, v4, v5
	v_fma_f32 v7, -v3, v6, v4
	v_fmac_f32_e32 v6, v7, v5
	v_fma_f32 v3, -v3, v6, v4
	v_div_fmas_f32 v3, v3, v5, v6
	v_div_fixup_f32 v24, v3, s22, v1
.LBB11_101:                             ;   in Loop: Header=BB11_5 Depth=1
	s_andn2_b64 vcc, exec, s[34:35]
	s_cbranch_vccnz .LBB11_117
; %bb.102:                              ;   in Loop: Header=BB11_5 Depth=1
	v_mov_b32_dpp v1, v20 row_shr:1 row_mask:0xf bank_mask:0xf
	v_cmp_lt_f32_e32 vcc, v20, v1
	v_cndmask_b32_e32 v1, v20, v1, vcc
	s_nop 1
	v_mov_b32_dpp v3, v1 row_shr:2 row_mask:0xf bank_mask:0xf
	v_cmp_lt_f32_e32 vcc, v1, v3
	v_cndmask_b32_e32 v1, v1, v3, vcc
	s_nop 1
	;; [unrolled: 4-line block ×3, first 2 shown]
	v_mov_b32_dpp v3, v1 row_shr:8 row_mask:0xf bank_mask:0xc
	s_and_saveexec_b64 s[20:21], s[0:1]
; %bb.103:                              ;   in Loop: Header=BB11_5 Depth=1
	v_cmp_lt_f32_e32 vcc, v1, v3
	v_cndmask_b32_e32 v1, v1, v3, vcc
	ds_write_b32 v26, v1
; %bb.104:                              ;   in Loop: Header=BB11_5 Depth=1
	s_or_b64 exec, exec, s[20:21]
	s_waitcnt vmcnt(0) lgkmcnt(0)
	s_barrier
	s_and_saveexec_b64 s[20:21], s[6:7]
	s_cbranch_execz .LBB11_106
; %bb.105:                              ;   in Loop: Header=BB11_5 Depth=1
	ds_read2_b32 v[3:4], v19 offset1:32
	s_waitcnt lgkmcnt(0)
	v_cmp_lt_f32_e32 vcc, v3, v4
	v_cndmask_b32_e32 v1, v3, v4, vcc
	ds_write_b32 v19, v1
.LBB11_106:                             ;   in Loop: Header=BB11_5 Depth=1
	s_or_b64 exec, exec, s[20:21]
	s_waitcnt lgkmcnt(0)
	s_barrier
	s_and_saveexec_b64 s[20:21], s[8:9]
	s_cbranch_execz .LBB11_108
; %bb.107:                              ;   in Loop: Header=BB11_5 Depth=1
	ds_read2_b32 v[3:4], v19 offset1:16
	s_waitcnt lgkmcnt(0)
	v_cmp_lt_f32_e32 vcc, v3, v4
	v_cndmask_b32_e32 v1, v3, v4, vcc
	ds_write_b32 v19, v1
.LBB11_108:                             ;   in Loop: Header=BB11_5 Depth=1
	s_or_b64 exec, exec, s[20:21]
	s_waitcnt lgkmcnt(0)
	;; [unrolled: 12-line block ×5, first 2 shown]
	s_barrier
	s_and_saveexec_b64 s[20:21], s[16:17]
	s_cbranch_execz .LBB11_116
; %bb.115:                              ;   in Loop: Header=BB11_5 Depth=1
	ds_read_b64 v[3:4], v2
	s_waitcnt lgkmcnt(0)
	v_cmp_lt_f32_e32 vcc, v3, v4
	v_cndmask_b32_e32 v1, v3, v4, vcc
	ds_write_b32 v2, v1
.LBB11_116:                             ;   in Loop: Header=BB11_5 Depth=1
	s_or_b64 exec, exec, s[20:21]
	v_readlane_b32 s20, v43, 2
	v_readlane_b32 s21, v43, 3
	s_waitcnt lgkmcnt(0)
	s_barrier
	ds_read_b32 v1, v2
	s_load_dword s22, s[20:21], 0x0
	s_waitcnt lgkmcnt(0)
	v_div_scale_f32 v3, s[20:21], s22, s22, v1
	v_div_scale_f32 v4, vcc, v1, s22, v1
	v_rcp_f32_e32 v5, v3
	v_fma_f32 v6, -v3, v5, 1.0
	v_fmac_f32_e32 v5, v6, v5
	v_mul_f32_e32 v6, v4, v5
	v_fma_f32 v7, -v3, v6, v4
	v_fmac_f32_e32 v6, v7, v5
	v_fma_f32 v3, -v3, v6, v4
	v_div_fmas_f32 v3, v3, v5, v6
	v_div_fixup_f32 v20, v3, s22, v1
.LBB11_117:                             ;   in Loop: Header=BB11_5 Depth=1
	s_mov_b64 s[20:21], exec
	v_readlane_b32 s22, v43, 6
	v_readlane_b32 s23, v43, 7
	s_and_b64 s[22:23], s[20:21], s[22:23]
	s_mov_b64 exec, s[22:23]
	s_cbranch_execz .LBB11_129
; %bb.118:                              ;   in Loop: Header=BB11_5 Depth=1
	s_mov_b64 s[22:23], 0
	v_mov_b32_e32 v3, v23
	s_branch .LBB11_120
.LBB11_119:                             ;   in Loop: Header=BB11_120 Depth=2
	s_or_b64 exec, exec, s[82:83]
	v_add_u32_e32 v3, 64, v3
	v_cmp_le_u32_e32 vcc, s53, v3
	s_or_b64 s[22:23], vcc, s[22:23]
	s_andn2_b64 exec, exec, s[22:23]
	s_cbranch_execz .LBB11_129
.LBB11_120:                             ;   Parent Loop BB11_5 Depth=1
                                        ; =>  This Loop Header: Depth=2
                                        ;       Child Loop BB11_123 Depth 3
                                        ;       Child Loop BB11_126 Depth 3
	v_cmp_gt_i32_e32 vcc, s67, v3
	s_and_saveexec_b64 s[82:83], vcc
	s_cbranch_execz .LBB11_119
; %bb.121:                              ;   in Loop: Header=BB11_120 Depth=2
	v_ashrrev_i32_e32 v4, 31, v3
	v_lshlrev_b64 v[4:5], 2, v[3:4]
	v_mov_b32_e32 v1, s37
	v_add_co_u32_e32 v6, vcc, s36, v4
	v_addc_co_u32_e32 v7, vcc, v1, v5, vcc
	global_load_dword v1, v[6:7], off
	v_mov_b32_e32 v7, s39
	v_add_co_u32_e32 v6, vcc, s38, v4
	v_addc_co_u32_e32 v7, vcc, v7, v5, vcc
	global_load_dword v7, v[6:7], off
	s_waitcnt vmcnt(1)
	v_add_u32_e32 v6, v27, v1
	s_waitcnt vmcnt(0)
	v_subrev_u32_e32 v1, s3, v7
	v_cmp_lt_i32_e32 vcc, v6, v1
	s_and_saveexec_b64 s[68:69], vcc
	s_cbranch_execz .LBB11_124
; %bb.122:                              ;   in Loop: Header=BB11_120 Depth=2
	v_ashrrev_i32_e32 v7, 31, v6
	v_lshlrev_b64 v[9:10], 2, v[6:7]
	v_mov_b32_e32 v8, s75
	v_add_co_u32_e32 v7, vcc, s74, v9
	v_addc_co_u32_e32 v8, vcc, v8, v10, vcc
	v_mov_b32_e32 v11, s43
	v_add_co_u32_e32 v9, vcc, s42, v9
	v_addc_co_u32_e32 v10, vcc, v11, v10, vcc
	s_mov_b64 s[70:71], 0
.LBB11_123:                             ;   Parent Loop BB11_5 Depth=1
                                        ;     Parent Loop BB11_120 Depth=2
                                        ; =>    This Inner Loop Header: Depth=3
	global_load_dword v11, v[7:8], off
	v_add_co_u32_e32 v7, vcc, 64, v7
	v_add_u32_e32 v6, 16, v6
	v_addc_co_u32_e32 v8, vcc, 0, v8, vcc
	v_cmp_ge_i32_e32 vcc, v6, v1
	s_or_b64 s[70:71], vcc, s[70:71]
	s_waitcnt vmcnt(0)
	global_store_dword v[9:10], v11, off
	v_add_co_u32_e32 v9, vcc, 64, v9
	v_addc_co_u32_e32 v10, vcc, 0, v10, vcc
	s_andn2_b64 exec, exec, s[70:71]
	s_cbranch_execnz .LBB11_123
.LBB11_124:                             ;   in Loop: Header=BB11_120 Depth=2
	s_or_b64 exec, exec, s[68:69]
	v_mov_b32_e32 v1, s25
	v_add_co_u32_e32 v6, vcc, s24, v4
	v_addc_co_u32_e32 v7, vcc, v1, v5, vcc
	global_load_dword v1, v[6:7], off
	v_mov_b32_e32 v7, s27
	v_add_co_u32_e32 v6, vcc, s26, v4
	v_addc_co_u32_e32 v7, vcc, v7, v5, vcc
	global_load_dword v7, v[6:7], off
	s_waitcnt vmcnt(1)
	v_add_u32_e32 v6, v28, v1
	s_waitcnt vmcnt(0)
	v_subrev_u32_e32 v1, s52, v7
	v_cmp_lt_i32_e32 vcc, v6, v1
	s_and_saveexec_b64 s[68:69], vcc
	s_cbranch_execz .LBB11_127
; %bb.125:                              ;   in Loop: Header=BB11_120 Depth=2
	v_ashrrev_i32_e32 v7, 31, v6
	v_lshlrev_b64 v[9:10], 2, v[6:7]
	v_mov_b32_e32 v8, s77
	v_add_co_u32_e32 v7, vcc, s76, v9
	v_addc_co_u32_e32 v8, vcc, v8, v10, vcc
	v_mov_b32_e32 v11, s31
	v_add_co_u32_e32 v9, vcc, s30, v9
	v_addc_co_u32_e32 v10, vcc, v11, v10, vcc
	s_mov_b64 s[70:71], 0
.LBB11_126:                             ;   Parent Loop BB11_5 Depth=1
                                        ;     Parent Loop BB11_120 Depth=2
                                        ; =>    This Inner Loop Header: Depth=3
	global_load_dword v11, v[7:8], off
	v_add_co_u32_e32 v7, vcc, 64, v7
	v_add_u32_e32 v6, 16, v6
	v_addc_co_u32_e32 v8, vcc, 0, v8, vcc
	v_cmp_ge_i32_e32 vcc, v6, v1
	s_or_b64 s[70:71], vcc, s[70:71]
	s_waitcnt vmcnt(0)
	global_store_dword v[9:10], v11, off
	v_add_co_u32_e32 v9, vcc, 64, v9
	v_addc_co_u32_e32 v10, vcc, 0, v10, vcc
	s_andn2_b64 exec, exec, s[70:71]
	s_cbranch_execnz .LBB11_126
.LBB11_127:                             ;   in Loop: Header=BB11_120 Depth=2
	s_or_b64 exec, exec, s[68:69]
	s_and_b64 exec, exec, s[18:19]
	s_cbranch_execz .LBB11_119
; %bb.128:                              ;   in Loop: Header=BB11_120 Depth=2
	v_mov_b32_e32 v1, s59
	v_add_co_u32_e32 v6, vcc, s58, v4
	v_addc_co_u32_e32 v7, vcc, v1, v5, vcc
	global_load_dword v1, v[6:7], off
	v_mov_b32_e32 v6, s57
	v_add_co_u32_e32 v4, vcc, s56, v4
	v_addc_co_u32_e32 v5, vcc, v6, v5, vcc
	s_waitcnt vmcnt(0)
	global_store_dword v[4:5], v1, off
	s_branch .LBB11_119
.LBB11_129:                             ;   in Loop: Header=BB11_5 Depth=1
	s_or_b64 exec, exec, s[20:21]
	s_mov_b64 s[22:23], -1
	s_and_b64 vcc, exec, s[62:63]
	s_mov_b64 s[64:65], -1
	s_cbranch_vccz .LBB11_139
; %bb.130:                              ;   in Loop: Header=BB11_5 Depth=1
	v_readlane_b32 s64, v43, 8
	v_readlane_b32 s65, v43, 9
	s_mov_b64 s[20:21], -1
	s_and_b64 vcc, exec, s[64:65]
                                        ; implicit-def: $sgpr68_sgpr69
	s_cbranch_vccz .LBB11_136
; %bb.131:                              ;   in Loop: Header=BB11_5 Depth=1
	v_readlane_b32 s64, v43, 4
	v_readlane_b32 s65, v43, 5
	s_and_b64 vcc, exec, s[64:65]
                                        ; implicit-def: $sgpr68_sgpr69
	s_cbranch_vccz .LBB11_133
; %bb.132:                              ;   in Loop: Header=BB11_5 Depth=1
	v_cmp_ge_f32_e64 s[68:69], s66, v20
	s_mov_b64 s[20:21], 0
.LBB11_133:                             ;   in Loop: Header=BB11_5 Depth=1
	s_andn2_b64 vcc, exec, s[20:21]
	s_cbranch_vccnz .LBB11_135
; %bb.134:                              ;   in Loop: Header=BB11_5 Depth=1
	v_cmp_ge_f32_e32 vcc, s66, v24
	s_andn2_b64 s[20:21], s[68:69], exec
	s_and_b64 s[64:65], vcc, exec
	s_or_b64 s[68:69], s[20:21], s[64:65]
.LBB11_135:                             ;   in Loop: Header=BB11_5 Depth=1
	s_mov_b64 s[20:21], 0
.LBB11_136:                             ;   in Loop: Header=BB11_5 Depth=1
	s_andn2_b64 vcc, exec, s[20:21]
	s_cbranch_vccnz .LBB11_138
; %bb.137:                              ;   in Loop: Header=BB11_5 Depth=1
	v_cmp_ge_f32_e32 vcc, s66, v24
	v_cmp_ge_f32_e64 s[20:21], s66, v20
	s_and_b64 s[20:21], vcc, s[20:21]
	s_andn2_b64 s[64:65], s[68:69], exec
	s_and_b64 s[20:21], s[20:21], exec
	s_or_b64 s[68:69], s[64:65], s[20:21]
.LBB11_138:                             ;   in Loop: Header=BB11_5 Depth=1
	s_xor_b64 s[64:65], s[68:69], -1
.LBB11_139:                             ;   in Loop: Header=BB11_5 Depth=1
	v_mov_b32_e32 v1, s2
	s_and_saveexec_b64 s[20:21], s[64:65]
	s_cbranch_execz .LBB11_4
; %bb.140:                              ;   in Loop: Header=BB11_5 Depth=1
	s_add_i32 s2, s2, 1
	s_cmp_eq_u32 s2, s5
	s_cselect_b64 s[22:23], -1, 0
	v_mov_b32_e32 v1, s5
	s_orn2_b64 s[22:23], s[22:23], exec
	s_branch .LBB11_4
.LBB11_141:
	s_or_b64 exec, exec, s[80:81]
	v_readlane_b32 s4, v43, 10
	v_readlane_b32 s5, v43, 11
	s_load_dwordx4 s[8:11], s[4:5], 0xb8
	v_readlane_b32 s6, v43, 0
	v_readlane_b32 s7, v43, 1
	s_or_b64 exec, exec, s[6:7]
	s_andn2_b64 vcc, exec, s[62:63]
	s_cbranch_vccnz .LBB11_2
.LBB11_142:
	v_mov_b32_dpp v2, v1 row_shr:1 row_mask:0xf bank_mask:0xf
	v_max_i32_e32 v1, v1, v2
	v_cmp_eq_u32_e32 vcc, 15, v22
	s_nop 0
	v_mov_b32_dpp v2, v1 row_shr:2 row_mask:0xf bank_mask:0xf
	v_max_i32_e32 v1, v1, v2
	s_nop 1
	v_mov_b32_dpp v2, v1 row_shr:4 row_mask:0xf bank_mask:0xe
	v_max_i32_e32 v1, v1, v2
	s_nop 1
	v_mov_b32_dpp v2, v1 row_shr:8 row_mask:0xf bank_mask:0xc
	s_and_saveexec_b64 s[0:1], vcc
; %bb.143:
	v_lshlrev_b32_e32 v3, 2, v21
	v_max_i32_e32 v1, v1, v2
	ds_write_b32 v3, v1 offset:256
; %bb.144:
	s_or_b64 exec, exec, s[0:1]
	v_cmp_gt_u32_e32 vcc, 32, v0
	s_waitcnt vmcnt(0) lgkmcnt(0)
	s_barrier
	s_and_saveexec_b64 s[0:1], vcc
	s_cbranch_execz .LBB11_146
; %bb.145:
	ds_read2_b32 v[1:2], v19 offset0:64 offset1:96
	s_waitcnt lgkmcnt(0)
	v_max_i32_e32 v1, v1, v2
	ds_write_b32 v19, v1 offset:256
.LBB11_146:
	s_or_b64 exec, exec, s[0:1]
	v_cmp_gt_u32_e32 vcc, 16, v0
	s_waitcnt lgkmcnt(0)
	s_barrier
	s_and_saveexec_b64 s[0:1], vcc
	s_cbranch_execz .LBB11_148
; %bb.147:
	ds_read2_b32 v[1:2], v19 offset0:64 offset1:80
	s_waitcnt lgkmcnt(0)
	v_max_i32_e32 v1, v1, v2
	ds_write_b32 v19, v1 offset:256
.LBB11_148:
	s_or_b64 exec, exec, s[0:1]
	v_cmp_gt_u32_e32 vcc, 8, v0
	s_waitcnt lgkmcnt(0)
	;; [unrolled: 12-line block ×4, first 2 shown]
	s_barrier
	s_and_saveexec_b64 s[0:1], vcc
	s_cbranch_execz .LBB11_154
; %bb.153:
	ds_read2_b32 v[1:2], v19 offset0:64 offset1:66
	s_waitcnt lgkmcnt(0)
	v_max_i32_e32 v1, v1, v2
	ds_write_b32 v19, v1 offset:256
.LBB11_154:
	s_or_b64 exec, exec, s[0:1]
	v_cmp_eq_u32_e32 vcc, 0, v0
	s_waitcnt lgkmcnt(0)
	s_barrier
	s_and_saveexec_b64 s[0:1], vcc
	s_cbranch_execz .LBB11_156
; %bb.155:
	v_mov_b32_e32 v3, 0
	ds_read_b64 v[1:2], v3 offset:256
	s_waitcnt lgkmcnt(0)
	v_max_i32_e32 v1, v1, v2
	ds_write_b32 v3, v1 offset:256
.LBB11_156:
	s_or_b64 exec, exec, s[0:1]
	s_waitcnt lgkmcnt(0)
	s_barrier
	s_and_saveexec_b64 s[0:1], vcc
	s_cbranch_execz .LBB11_159
; %bb.157:
	v_mbcnt_lo_u32_b32 v1, exec_lo, 0
	v_mbcnt_hi_u32_b32 v1, exec_hi, v1
	v_cmp_eq_u32_e32 vcc, 0, v1
	s_and_b64 exec, exec, vcc
	s_cbranch_execz .LBB11_159
; %bb.158:
	v_mov_b32_e32 v1, 0
	ds_read_b32 v2, v1 offset:256
	s_load_dwordx2 s[2:3], s[4:5], 0x8
	s_waitcnt lgkmcnt(0)
	v_add_u32_e32 v2, 1, v2
	global_atomic_smax v1, v2, s[2:3]
.LBB11_159:
	s_or_b64 exec, exec, s[0:1]
	v_cmp_eq_u32_e32 vcc, 0, v0
	s_and_b64 s[0:1], vcc, s[60:61]
	s_and_saveexec_b64 s[2:3], s[0:1]
	s_cbranch_execz .LBB11_166
.LBB11_160:
	s_mov_b64 s[0:1], exec
	v_mov_b32_e32 v0, 0x7fc00000
.LBB11_161:                             ; =>This Inner Loop Header: Depth=1
	s_ff1_i32_b64 s4, s[0:1]
	v_readlane_b32 s6, v24, s4
	s_lshl_b64 s[4:5], 1, s4
	v_max_f32_e32 v0, v0, v0
	v_max_f32_e64 v1, s6, s6
	s_andn2_b64 s[0:1], s[0:1], s[4:5]
	s_cmp_lg_u64 s[0:1], 0
	v_max_f32_e32 v0, v0, v1
	s_cbranch_scc1 .LBB11_161
; %bb.162:
	v_mbcnt_lo_u32_b32 v1, exec_lo, 0
	v_mbcnt_hi_u32_b32 v1, exec_hi, v1
	v_cmp_eq_u32_e64 s[0:1], 0, v1
	s_and_saveexec_b64 s[4:5], s[0:1]
	s_xor_b64 s[4:5], exec, s[4:5]
	s_cbranch_execz .LBB11_166
; %bb.163:
	v_mov_b32_e32 v2, 0
	s_waitcnt lgkmcnt(0)
	global_load_dword v1, v2, s[8:9]
	s_mov_b64 s[4:5], 0
	v_max_f32_e32 v3, v0, v0
.LBB11_164:                             ; =>This Inner Loop Header: Depth=1
	s_waitcnt vmcnt(0)
	v_max_f32_e32 v0, v1, v1
	v_max_f32_e32 v0, v0, v3
	global_atomic_cmpswap v0, v2, v[0:1], s[8:9] glc
	s_waitcnt vmcnt(0)
	v_cmp_eq_u32_e64 s[0:1], v0, v1
	s_or_b64 s[4:5], s[0:1], s[4:5]
	v_mov_b32_e32 v1, v0
	s_andn2_b64 exec, exec, s[4:5]
	s_cbranch_execnz .LBB11_164
; %bb.165:
	s_or_b64 exec, exec, s[4:5]
.LBB11_166:
	s_or_b64 exec, exec, s[2:3]
	s_and_b64 s[0:1], vcc, s[34:35]
	s_and_saveexec_b64 s[2:3], s[0:1]
	s_cbranch_execz .LBB11_172
; %bb.167:
	s_mov_b64 s[0:1], exec
	v_mov_b32_e32 v0, 0x7fc00000
.LBB11_168:                             ; =>This Inner Loop Header: Depth=1
	s_ff1_i32_b64 s2, s[0:1]
	v_readlane_b32 s4, v20, s2
	s_lshl_b64 s[2:3], 1, s2
	v_max_f32_e32 v0, v0, v0
	v_max_f32_e64 v1, s4, s4
	s_andn2_b64 s[0:1], s[0:1], s[2:3]
	s_cmp_lg_u64 s[0:1], 0
	v_max_f32_e32 v0, v0, v1
	s_cbranch_scc1 .LBB11_168
; %bb.169:
	v_mbcnt_lo_u32_b32 v1, exec_lo, 0
	v_mbcnt_hi_u32_b32 v1, exec_hi, v1
	v_cmp_eq_u32_e32 vcc, 0, v1
	s_and_saveexec_b64 s[0:1], vcc
	s_xor_b64 s[0:1], exec, s[0:1]
	s_cbranch_execz .LBB11_172
; %bb.170:
	v_mov_b32_e32 v2, 0
	s_waitcnt lgkmcnt(0)
	global_load_dword v1, v2, s[10:11]
	s_mov_b64 s[0:1], 0
	v_max_f32_e32 v3, v0, v0
.LBB11_171:                             ; =>This Inner Loop Header: Depth=1
	s_waitcnt vmcnt(0)
	v_max_f32_e32 v0, v1, v1
	v_max_f32_e32 v0, v0, v3
	global_atomic_cmpswap v0, v2, v[0:1], s[10:11] glc
	s_waitcnt vmcnt(0)
	v_cmp_eq_u32_e32 vcc, v0, v1
	s_or_b64 s[0:1], vcc, s[0:1]
	v_mov_b32_e32 v1, v0
	s_andn2_b64 exec, exec, s[0:1]
	s_cbranch_execnz .LBB11_171
.LBB11_172:
	s_endpgm
	.section	.rodata,"a",@progbits
	.p2align	6, 0x0
	.amdhsa_kernel _ZN9rocsparseL6kernelILi1024ELi16EfiiEEvbbbT3_PS1_NS_15floating_traitsIT1_E6data_tES1_T2_PKS7_S9_PKS1_PKS4_21rocsparse_index_base_S9_S9_SB_PS4_SF_SE_S9_S9_SB_SF_SF_SE_SF_SF_PS6_SG_PKS6_
		.amdhsa_group_segment_fixed_size 512
		.amdhsa_private_segment_fixed_size 0
		.amdhsa_kernarg_size 208
		.amdhsa_user_sgpr_count 6
		.amdhsa_user_sgpr_private_segment_buffer 1
		.amdhsa_user_sgpr_dispatch_ptr 0
		.amdhsa_user_sgpr_queue_ptr 0
		.amdhsa_user_sgpr_kernarg_segment_ptr 1
		.amdhsa_user_sgpr_dispatch_id 0
		.amdhsa_user_sgpr_flat_scratch_init 0
		.amdhsa_user_sgpr_private_segment_size 0
		.amdhsa_uses_dynamic_stack 0
		.amdhsa_system_sgpr_private_segment_wavefront_offset 0
		.amdhsa_system_sgpr_workgroup_id_x 1
		.amdhsa_system_sgpr_workgroup_id_y 0
		.amdhsa_system_sgpr_workgroup_id_z 0
		.amdhsa_system_sgpr_workgroup_info 0
		.amdhsa_system_vgpr_workitem_id 0
		.amdhsa_next_free_vgpr 44
		.amdhsa_next_free_sgpr 96
		.amdhsa_reserve_vcc 1
		.amdhsa_reserve_flat_scratch 0
		.amdhsa_float_round_mode_32 0
		.amdhsa_float_round_mode_16_64 0
		.amdhsa_float_denorm_mode_32 3
		.amdhsa_float_denorm_mode_16_64 3
		.amdhsa_dx10_clamp 1
		.amdhsa_ieee_mode 1
		.amdhsa_fp16_overflow 0
		.amdhsa_exception_fp_ieee_invalid_op 0
		.amdhsa_exception_fp_denorm_src 0
		.amdhsa_exception_fp_ieee_div_zero 0
		.amdhsa_exception_fp_ieee_overflow 0
		.amdhsa_exception_fp_ieee_underflow 0
		.amdhsa_exception_fp_ieee_inexact 0
		.amdhsa_exception_int_div_zero 0
	.end_amdhsa_kernel
	.section	.text._ZN9rocsparseL6kernelILi1024ELi16EfiiEEvbbbT3_PS1_NS_15floating_traitsIT1_E6data_tES1_T2_PKS7_S9_PKS1_PKS4_21rocsparse_index_base_S9_S9_SB_PS4_SF_SE_S9_S9_SB_SF_SF_SE_SF_SF_PS6_SG_PKS6_,"axG",@progbits,_ZN9rocsparseL6kernelILi1024ELi16EfiiEEvbbbT3_PS1_NS_15floating_traitsIT1_E6data_tES1_T2_PKS7_S9_PKS1_PKS4_21rocsparse_index_base_S9_S9_SB_PS4_SF_SE_S9_S9_SB_SF_SF_SE_SF_SF_PS6_SG_PKS6_,comdat
.Lfunc_end11:
	.size	_ZN9rocsparseL6kernelILi1024ELi16EfiiEEvbbbT3_PS1_NS_15floating_traitsIT1_E6data_tES1_T2_PKS7_S9_PKS1_PKS4_21rocsparse_index_base_S9_S9_SB_PS4_SF_SE_S9_S9_SB_SF_SF_SE_SF_SF_PS6_SG_PKS6_, .Lfunc_end11-_ZN9rocsparseL6kernelILi1024ELi16EfiiEEvbbbT3_PS1_NS_15floating_traitsIT1_E6data_tES1_T2_PKS7_S9_PKS1_PKS4_21rocsparse_index_base_S9_S9_SB_PS4_SF_SE_S9_S9_SB_SF_SF_SE_SF_SF_PS6_SG_PKS6_
                                        ; -- End function
	.set _ZN9rocsparseL6kernelILi1024ELi16EfiiEEvbbbT3_PS1_NS_15floating_traitsIT1_E6data_tES1_T2_PKS7_S9_PKS1_PKS4_21rocsparse_index_base_S9_S9_SB_PS4_SF_SE_S9_S9_SB_SF_SF_SE_SF_SF_PS6_SG_PKS6_.num_vgpr, 44
	.set _ZN9rocsparseL6kernelILi1024ELi16EfiiEEvbbbT3_PS1_NS_15floating_traitsIT1_E6data_tES1_T2_PKS7_S9_PKS1_PKS4_21rocsparse_index_base_S9_S9_SB_PS4_SF_SE_S9_S9_SB_SF_SF_SE_SF_SF_PS6_SG_PKS6_.num_agpr, 0
	.set _ZN9rocsparseL6kernelILi1024ELi16EfiiEEvbbbT3_PS1_NS_15floating_traitsIT1_E6data_tES1_T2_PKS7_S9_PKS1_PKS4_21rocsparse_index_base_S9_S9_SB_PS4_SF_SE_S9_S9_SB_SF_SF_SE_SF_SF_PS6_SG_PKS6_.numbered_sgpr, 96
	.set _ZN9rocsparseL6kernelILi1024ELi16EfiiEEvbbbT3_PS1_NS_15floating_traitsIT1_E6data_tES1_T2_PKS7_S9_PKS1_PKS4_21rocsparse_index_base_S9_S9_SB_PS4_SF_SE_S9_S9_SB_SF_SF_SE_SF_SF_PS6_SG_PKS6_.num_named_barrier, 0
	.set _ZN9rocsparseL6kernelILi1024ELi16EfiiEEvbbbT3_PS1_NS_15floating_traitsIT1_E6data_tES1_T2_PKS7_S9_PKS1_PKS4_21rocsparse_index_base_S9_S9_SB_PS4_SF_SE_S9_S9_SB_SF_SF_SE_SF_SF_PS6_SG_PKS6_.private_seg_size, 0
	.set _ZN9rocsparseL6kernelILi1024ELi16EfiiEEvbbbT3_PS1_NS_15floating_traitsIT1_E6data_tES1_T2_PKS7_S9_PKS1_PKS4_21rocsparse_index_base_S9_S9_SB_PS4_SF_SE_S9_S9_SB_SF_SF_SE_SF_SF_PS6_SG_PKS6_.uses_vcc, 1
	.set _ZN9rocsparseL6kernelILi1024ELi16EfiiEEvbbbT3_PS1_NS_15floating_traitsIT1_E6data_tES1_T2_PKS7_S9_PKS1_PKS4_21rocsparse_index_base_S9_S9_SB_PS4_SF_SE_S9_S9_SB_SF_SF_SE_SF_SF_PS6_SG_PKS6_.uses_flat_scratch, 0
	.set _ZN9rocsparseL6kernelILi1024ELi16EfiiEEvbbbT3_PS1_NS_15floating_traitsIT1_E6data_tES1_T2_PKS7_S9_PKS1_PKS4_21rocsparse_index_base_S9_S9_SB_PS4_SF_SE_S9_S9_SB_SF_SF_SE_SF_SF_PS6_SG_PKS6_.has_dyn_sized_stack, 0
	.set _ZN9rocsparseL6kernelILi1024ELi16EfiiEEvbbbT3_PS1_NS_15floating_traitsIT1_E6data_tES1_T2_PKS7_S9_PKS1_PKS4_21rocsparse_index_base_S9_S9_SB_PS4_SF_SE_S9_S9_SB_SF_SF_SE_SF_SF_PS6_SG_PKS6_.has_recursion, 0
	.set _ZN9rocsparseL6kernelILi1024ELi16EfiiEEvbbbT3_PS1_NS_15floating_traitsIT1_E6data_tES1_T2_PKS7_S9_PKS1_PKS4_21rocsparse_index_base_S9_S9_SB_PS4_SF_SE_S9_S9_SB_SF_SF_SE_SF_SF_PS6_SG_PKS6_.has_indirect_call, 0
	.section	.AMDGPU.csdata,"",@progbits
; Kernel info:
; codeLenInByte = 5184
; TotalNumSgprs: 100
; NumVgprs: 44
; ScratchSize: 0
; MemoryBound: 0
; FloatMode: 240
; IeeeMode: 1
; LDSByteSize: 512 bytes/workgroup (compile time only)
; SGPRBlocks: 12
; VGPRBlocks: 10
; NumSGPRsForWavesPerEU: 100
; NumVGPRsForWavesPerEU: 44
; Occupancy: 5
; WaveLimiterHint : 1
; COMPUTE_PGM_RSRC2:SCRATCH_EN: 0
; COMPUTE_PGM_RSRC2:USER_SGPR: 6
; COMPUTE_PGM_RSRC2:TRAP_HANDLER: 0
; COMPUTE_PGM_RSRC2:TGID_X_EN: 1
; COMPUTE_PGM_RSRC2:TGID_Y_EN: 0
; COMPUTE_PGM_RSRC2:TGID_Z_EN: 0
; COMPUTE_PGM_RSRC2:TIDIG_COMP_CNT: 0
	.section	.text._ZN9rocsparseL6kernelILi1024ELi32EfiiEEvbbbT3_PS1_NS_15floating_traitsIT1_E6data_tES1_T2_PKS7_S9_PKS1_PKS4_21rocsparse_index_base_S9_S9_SB_PS4_SF_SE_S9_S9_SB_SF_SF_SE_SF_SF_PS6_SG_PKS6_,"axG",@progbits,_ZN9rocsparseL6kernelILi1024ELi32EfiiEEvbbbT3_PS1_NS_15floating_traitsIT1_E6data_tES1_T2_PKS7_S9_PKS1_PKS4_21rocsparse_index_base_S9_S9_SB_PS4_SF_SE_S9_S9_SB_SF_SF_SE_SF_SF_PS6_SG_PKS6_,comdat
	.globl	_ZN9rocsparseL6kernelILi1024ELi32EfiiEEvbbbT3_PS1_NS_15floating_traitsIT1_E6data_tES1_T2_PKS7_S9_PKS1_PKS4_21rocsparse_index_base_S9_S9_SB_PS4_SF_SE_S9_S9_SB_SF_SF_SE_SF_SF_PS6_SG_PKS6_ ; -- Begin function _ZN9rocsparseL6kernelILi1024ELi32EfiiEEvbbbT3_PS1_NS_15floating_traitsIT1_E6data_tES1_T2_PKS7_S9_PKS1_PKS4_21rocsparse_index_base_S9_S9_SB_PS4_SF_SE_S9_S9_SB_SF_SF_SE_SF_SF_PS6_SG_PKS6_
	.p2align	8
	.type	_ZN9rocsparseL6kernelILi1024ELi32EfiiEEvbbbT3_PS1_NS_15floating_traitsIT1_E6data_tES1_T2_PKS7_S9_PKS1_PKS4_21rocsparse_index_base_S9_S9_SB_PS4_SF_SE_S9_S9_SB_SF_SF_SE_SF_SF_PS6_SG_PKS6_,@function
_ZN9rocsparseL6kernelILi1024ELi32EfiiEEvbbbT3_PS1_NS_15floating_traitsIT1_E6data_tES1_T2_PKS7_S9_PKS1_PKS4_21rocsparse_index_base_S9_S9_SB_PS4_SF_SE_S9_S9_SB_SF_SF_SE_SF_SF_PS6_SG_PKS6_: ; @_ZN9rocsparseL6kernelILi1024ELi32EfiiEEvbbbT3_PS1_NS_15floating_traitsIT1_E6data_tES1_T2_PKS7_S9_PKS1_PKS4_21rocsparse_index_base_S9_S9_SB_PS4_SF_SE_S9_S9_SB_SF_SF_SE_SF_SF_PS6_SG_PKS6_
; %bb.0:
	s_load_dword s0, s[4:5], 0x0
	s_load_dwordx2 s[2:3], s[4:5], 0x0
	s_load_dwordx2 s[64:65], s[4:5], 0x10
	s_load_dwordx4 s[8:11], s[4:5], 0xb8
	s_mov_b64 s[20:21], s[4:5]
	s_waitcnt lgkmcnt(0)
	s_bitcmp1_b32 s0, 0
	s_cselect_b64 s[60:61], -1, 0
	s_bitcmp1_b32 s0, 8
	s_cselect_b64 s[34:35], -1, 0
	;; [unrolled: 2-line block ×3, first 2 shown]
	v_lshrrev_b32_e32 v21, 5, v0
	s_lshl_b32 s5, s6, 10
	s_mov_b32 s1, s3
                                        ; implicit-def: $vgpr43 : SGPR spill to VGPR lane
	v_or_b32_e32 v23, s5, v21
	v_writelane_b32 v43, s0, 0
	s_cmp_gt_i32 s3, 0
	v_cmp_gt_i32_e32 vcc, s65, v23
	v_writelane_b32 v43, s1, 1
	s_cselect_b64 s[0:1], -1, 0
	v_and_b32_e32 v22, 31, v0
	v_lshlrev_b32_e32 v19, 2, v0
	s_mov_b32 s33, 0
	v_mov_b32_e32 v20, 0
	s_and_b64 s[0:1], s[0:1], vcc
	v_mov_b32_e32 v24, 0
	v_mov_b32_e32 v1, 0
	ds_write_b32 v19, v20
	s_waitcnt lgkmcnt(0)
	s_barrier
	s_and_saveexec_b64 s[2:3], s[0:1]
	s_cbranch_execnz .LBB12_3
; %bb.1:
	s_or_b64 exec, exec, s[2:3]
	s_andn2_b64 vcc, exec, s[60:61]
	s_cbranch_vccz .LBB12_138
.LBB12_2:
	v_cmp_eq_u32_e32 vcc, 0, v0
	s_and_b64 s[0:1], vcc, s[34:35]
	s_and_saveexec_b64 s[2:3], s[0:1]
	s_cbranch_execnz .LBB12_154
	s_branch .LBB12_160
.LBB12_3:
	s_load_dwordx2 s[0:1], s[20:21], 0xc8
	v_writelane_b32 v43, s2, 2
	v_writelane_b32 v43, s3, 3
	s_and_b64 s[18:19], s[34:35], s[22:23]
	s_xor_b64 s[18:19], s[18:19], -1
	s_waitcnt lgkmcnt(0)
	v_writelane_b32 v43, s0, 4
	v_writelane_b32 v43, s1, 5
	s_xor_b64 s[0:1], s[34:35], -1
	v_writelane_b32 v43, s0, 6
	v_writelane_b32 v43, s1, 7
	;; [unrolled: 1-line block ×3, first 2 shown]
	s_load_dwordx4 s[56:59], s[20:21], 0xa8
	s_load_dwordx8 s[24:31], s[20:21], 0x78
	s_load_dwordx8 s[36:43], s[20:21], 0x48
	s_load_dword s62, s[20:21], 0x40
	s_load_dwordx2 s[72:73], s[20:21], 0x68
	s_load_dword s63, s[20:21], 0x70
	s_load_dwordx2 s[74:75], s[20:21], 0x98
	s_load_dword s4, s[20:21], 0xa0
	v_writelane_b32 v43, s19, 9
	v_writelane_b32 v43, s20, 10
	s_load_dwordx8 s[44:51], s[20:21], 0x20
	s_addk_i32 s5, 0x400
	s_waitcnt lgkmcnt(0)
	v_subrev_u32_e32 v25, s62, v22
	v_cmp_gt_u32_e64 s[0:1], s5, v23
	v_cmp_eq_u32_e64 s[2:3], 31, v22
	v_lshlrev_b32_e32 v26, 2, v21
	v_cmp_gt_u32_e64 s[6:7], 16, v0
	v_cmp_gt_u32_e64 s[8:9], 8, v0
	v_cmp_gt_u32_e64 s[10:11], 4, v0
	v_cmp_gt_u32_e64 s[12:13], 2, v0
	v_cmp_eq_u32_e64 s[14:15], 0, v0
	v_subrev_u32_e32 v27, s63, v22
	v_subrev_u32_e32 v28, s4, v22
	v_cmp_eq_u32_e64 s[16:17], 0, v22
	v_mov_b32_e32 v2, 0
	s_mov_b64 s[78:79], 0
	s_movk_i32 s52, 0x1f8
	v_mov_b32_e32 v24, 0
	v_mov_b32_e32 v20, 0
	v_writelane_b32 v43, s21, 11
	s_branch .LBB12_5
.LBB12_4:                               ;   in Loop: Header=BB12_5 Depth=1
	s_or_b64 exec, exec, s[18:19]
	s_and_b64 s[18:19], exec, s[20:21]
	s_or_b64 s[78:79], s[18:19], s[78:79]
	s_andn2_b64 exec, exec, s[78:79]
	s_cbranch_execz .LBB12_137
.LBB12_5:                               ; =>This Loop Header: Depth=1
                                        ;     Child Loop BB12_9 Depth 2
                                        ;       Child Loop BB12_14 Depth 3
                                        ;         Child Loop BB12_18 Depth 4
                                        ;         Child Loop BB12_39 Depth 4
                                        ;         Child Loop BB12_53 Depth 4
                                        ;         Child Loop BB12_72 Depth 4
                                        ;         Child Loop BB12_80 Depth 4
                                        ;     Child Loop BB12_116 Depth 2
                                        ;       Child Loop BB12_119 Depth 3
                                        ;       Child Loop BB12_122 Depth 3
	v_cndmask_b32_e64 v24, v24, 0, s[34:35]
	v_cndmask_b32_e64 v20, v20, 0, s[22:23]
	s_mov_b32 s53, 0
	s_branch .LBB12_9
.LBB12_6:                               ;   in Loop: Header=BB12_9 Depth=2
	s_or_b64 exec, exec, s[84:85]
.LBB12_7:                               ;   in Loop: Header=BB12_9 Depth=2
	s_or_b64 exec, exec, s[82:83]
.LBB12_8:                               ;   in Loop: Header=BB12_9 Depth=2
	s_or_b64 exec, exec, s[80:81]
	s_add_i32 s53, s53, 1
	s_cmp_eq_u32 s53, 32
	s_cbranch_scc1 .LBB12_85
.LBB12_9:                               ;   Parent Loop BB12_5 Depth=1
                                        ; =>  This Loop Header: Depth=2
                                        ;       Child Loop BB12_14 Depth 3
                                        ;         Child Loop BB12_18 Depth 4
                                        ;         Child Loop BB12_39 Depth 4
                                        ;         Child Loop BB12_53 Depth 4
                                        ;         Child Loop BB12_72 Depth 4
                                        ;         Child Loop BB12_80 Depth 4
	v_lshl_add_u32 v3, s53, 5, v23
	v_cmp_gt_i32_e32 vcc, s65, v3
	s_and_saveexec_b64 s[80:81], vcc
	s_cbranch_execz .LBB12_8
; %bb.10:                               ;   in Loop: Header=BB12_9 Depth=2
	v_ashrrev_i32_e32 v4, 31, v3
	v_lshlrev_b64 v[5:6], 2, v[3:4]
	v_mov_b32_e32 v1, s45
	v_add_co_u32_e32 v7, vcc, s44, v5
	v_addc_co_u32_e32 v8, vcc, v1, v6, vcc
	global_load_dword v1, v[7:8], off
	v_mov_b32_e32 v4, s47
	v_add_co_u32_e32 v7, vcc, s46, v5
	v_addc_co_u32_e32 v8, vcc, v4, v6, vcc
	global_load_dword v7, v[7:8], off
	s_waitcnt vmcnt(1)
	v_add_u32_e32 v4, v25, v1
	s_waitcnt vmcnt(0)
	v_subrev_u32_e32 v29, s62, v7
	v_cmp_lt_i32_e32 vcc, v4, v29
	s_and_saveexec_b64 s[82:83], vcc
	s_cbranch_execz .LBB12_7
; %bb.11:                               ;   in Loop: Header=BB12_9 Depth=2
	v_mov_b32_e32 v1, s39
	v_add_co_u32_e32 v7, vcc, s38, v5
	v_addc_co_u32_e32 v8, vcc, v1, v6, vcc
	v_mov_b32_e32 v1, s37
	v_add_co_u32_e32 v5, vcc, s36, v5
	v_addc_co_u32_e32 v6, vcc, v1, v6, vcc
	global_load_dword v1, v[5:6], off
	s_nop 0
	global_load_dword v5, v[7:8], off
	v_mov_b32_e32 v9, s41
	v_mov_b32_e32 v10, s43
	s_mov_b64 s[84:85], 0
	s_waitcnt vmcnt(1)
	v_subrev_u32_e32 v6, s63, v1
	v_ashrrev_i32_e32 v7, 31, v6
	v_lshlrev_b64 v[7:8], 2, v[6:7]
	s_waitcnt vmcnt(0)
	v_sub_u32_e32 v30, v5, v1
	v_add_co_u32_e32 v31, vcc, s40, v7
	v_addc_co_u32_e32 v32, vcc, v9, v8, vcc
	v_add_co_u32_e32 v33, vcc, s42, v7
	v_cmp_lt_i32_e64 s[18:19], 0, v30
	v_addc_co_u32_e32 v34, vcc, v10, v8, vcc
	s_branch .LBB12_14
.LBB12_12:                              ;   in Loop: Header=BB12_14 Depth=3
	s_or_b64 exec, exec, s[66:67]
.LBB12_13:                              ;   in Loop: Header=BB12_14 Depth=3
	s_or_b64 exec, exec, s[20:21]
	v_add_u32_e32 v4, 32, v4
	v_cmp_ge_i32_e32 vcc, v4, v29
	s_or_b64 s[84:85], vcc, s[84:85]
	s_andn2_b64 exec, exec, s[84:85]
	s_cbranch_execz .LBB12_6
.LBB12_14:                              ;   Parent Loop BB12_5 Depth=1
                                        ;     Parent Loop BB12_9 Depth=2
                                        ; =>    This Loop Header: Depth=3
                                        ;         Child Loop BB12_18 Depth 4
                                        ;         Child Loop BB12_39 Depth 4
	;; [unrolled: 1-line block ×5, first 2 shown]
	v_ashrrev_i32_e32 v5, 31, v4
	v_lshlrev_b64 v[13:14], 2, v[4:5]
	v_mov_b32_e32 v1, s49
	v_add_co_u32_e32 v7, vcc, s48, v13
	v_addc_co_u32_e32 v8, vcc, v1, v14, vcc
	global_load_dword v1, v[7:8], off
	v_mov_b32_e32 v5, s25
	v_mov_b32_e32 v12, s27
	s_waitcnt vmcnt(0)
	v_subrev_u32_e32 v9, s62, v1
	v_ashrrev_i32_e32 v10, 31, v9
	v_lshlrev_b64 v[7:8], 2, v[9:10]
	v_add_co_u32_e32 v10, vcc, s24, v7
	v_addc_co_u32_e32 v11, vcc, v5, v8, vcc
	v_add_co_u32_e32 v15, vcc, s26, v7
	v_addc_co_u32_e32 v16, vcc, v12, v8, vcc
	global_load_dword v1, v[10:11], off
	global_load_dword v12, v[15:16], off
	v_mov_b32_e32 v11, 0
	v_mov_b32_e32 v5, 0
	s_waitcnt vmcnt(1)
	v_subrev_u32_e32 v10, s4, v1
	s_waitcnt vmcnt(0)
	v_sub_u32_e32 v35, v12, v1
	v_mov_b32_e32 v1, v11
	s_and_saveexec_b64 s[20:21], s[18:19]
	s_cbranch_execz .LBB12_22
; %bb.15:                               ;   in Loop: Header=BB12_14 Depth=3
	v_ashrrev_i32_e32 v11, 31, v10
	v_lshlrev_b64 v[11:12], 2, v[10:11]
	v_mov_b32_e32 v1, s29
	v_add_co_u32_e32 v36, vcc, s28, v11
	v_addc_co_u32_e32 v37, vcc, v1, v12, vcc
	v_mov_b32_e32 v1, s31
	v_add_co_u32_e32 v38, vcc, s30, v11
	v_addc_co_u32_e32 v39, vcc, v1, v12, vcc
	v_mov_b32_e32 v1, 0
	v_mov_b32_e32 v5, 0
	s_mov_b64 s[86:87], 0
	v_mov_b32_e32 v11, v1
                                        ; implicit-def: $sgpr88_sgpr89
	s_branch .LBB12_18
.LBB12_16:                              ;   in Loop: Header=BB12_18 Depth=4
	s_or_b64 exec, exec, s[68:69]
	v_cmp_le_i32_e32 vcc, v12, v40
	v_addc_co_u32_e32 v1, vcc, 0, v1, vcc
	v_cmp_ge_i32_e32 vcc, v12, v40
	v_addc_co_u32_e32 v11, vcc, 0, v11, vcc
	v_cmp_ge_i32_e32 vcc, v1, v30
	s_andn2_b64 s[54:55], s[88:89], exec
	s_and_b64 s[68:69], vcc, exec
	s_or_b64 s[88:89], s[54:55], s[68:69]
.LBB12_17:                              ;   in Loop: Header=BB12_18 Depth=4
	s_or_b64 exec, exec, s[66:67]
	s_and_b64 s[54:55], exec, s[88:89]
	s_or_b64 s[86:87], s[54:55], s[86:87]
	s_andn2_b64 exec, exec, s[86:87]
	s_cbranch_execz .LBB12_21
.LBB12_18:                              ;   Parent Loop BB12_5 Depth=1
                                        ;     Parent Loop BB12_9 Depth=2
                                        ;       Parent Loop BB12_14 Depth=3
                                        ; =>      This Inner Loop Header: Depth=4
	v_cmp_lt_i32_e32 vcc, v11, v35
	s_or_b64 s[88:89], s[88:89], exec
	s_and_saveexec_b64 s[66:67], vcc
	s_cbranch_execz .LBB12_17
; %bb.19:                               ;   in Loop: Header=BB12_18 Depth=4
	v_lshlrev_b64 v[15:16], 2, v[1:2]
	v_mov_b32_e32 v12, v2
	v_add_co_u32_e32 v17, vcc, v31, v15
	v_addc_co_u32_e32 v18, vcc, v32, v16, vcc
	global_load_dword v42, v[17:18], off
	v_lshlrev_b64 v[17:18], 2, v[11:12]
	v_add_co_u32_e32 v40, vcc, v36, v17
	v_addc_co_u32_e32 v41, vcc, v37, v18, vcc
	global_load_dword v40, v[40:41], off
	s_waitcnt vmcnt(1)
	v_subrev_u32_e32 v12, s63, v42
	s_waitcnt vmcnt(0)
	v_subrev_u32_e32 v40, s4, v40
	v_cmp_eq_u32_e32 vcc, v12, v40
	s_and_saveexec_b64 s[68:69], vcc
	s_cbranch_execz .LBB12_16
; %bb.20:                               ;   in Loop: Header=BB12_18 Depth=4
	v_add_co_u32_e32 v15, vcc, v33, v15
	v_addc_co_u32_e32 v16, vcc, v34, v16, vcc
	v_add_co_u32_e32 v17, vcc, v38, v17
	v_addc_co_u32_e32 v18, vcc, v39, v18, vcc
	global_load_dword v15, v[15:16], off
	s_nop 0
	global_load_dword v16, v[17:18], off
	s_waitcnt vmcnt(0)
	v_fmac_f32_e32 v5, v15, v16
	s_branch .LBB12_16
.LBB12_21:                              ;   in Loop: Header=BB12_14 Depth=3
	s_or_b64 exec, exec, s[86:87]
.LBB12_22:                              ;   in Loop: Header=BB12_14 Depth=3
	s_or_b64 exec, exec, s[20:21]
	v_mov_b32_e32 v15, s51
	v_add_co_u32_e32 v12, vcc, s50, v13
	v_addc_co_u32_e32 v13, vcc, v15, v14, vcc
	global_load_dword v14, v[12:13], off
	v_cmp_le_i32_e64 s[20:21], v3, v9
	v_cmp_gt_i32_e32 vcc, v3, v9
	s_waitcnt vmcnt(0)
	v_sub_f32_e32 v15, v14, v5
	s_and_saveexec_b64 s[66:67], vcc
	s_cbranch_execnz .LBB12_25
; %bb.23:                               ;   in Loop: Header=BB12_14 Depth=3
	s_or_b64 exec, exec, s[66:67]
	v_cmp_class_f32_e64 s[86:87], v15, s52
	s_and_saveexec_b64 s[88:89], s[86:87]
	s_cbranch_execnz .LBB12_28
.LBB12_24:                              ;   in Loop: Header=BB12_14 Depth=3
	s_or_b64 exec, exec, s[88:89]
	s_and_b64 s[54:55], s[22:23], s[86:87]
	s_and_saveexec_b64 s[20:21], s[54:55]
	s_cbranch_execz .LBB12_13
	s_branch .LBB12_63
.LBB12_25:                              ;   in Loop: Header=BB12_14 Depth=3
	v_mov_b32_e32 v13, s57
	v_add_co_u32_e32 v12, vcc, s56, v7
	v_addc_co_u32_e32 v13, vcc, v13, v8, vcc
	global_load_dword v12, v[12:13], off
	v_mov_b32_e32 v13, 0
	s_waitcnt vmcnt(0)
	v_cmp_lg_f32_e32 vcc, 0, v12
	s_and_saveexec_b64 s[68:69], vcc
	s_cbranch_execz .LBB12_27
; %bb.26:                               ;   in Loop: Header=BB12_14 Depth=3
	v_div_scale_f32 v13, s[54:55], v12, v12, v15
	v_div_scale_f32 v16, vcc, v15, v12, v15
	v_rcp_f32_e32 v17, v13
	v_fma_f32 v18, -v13, v17, 1.0
	v_fmac_f32_e32 v17, v18, v17
	v_mul_f32_e32 v18, v16, v17
	v_fma_f32 v36, -v13, v18, v16
	v_fmac_f32_e32 v18, v36, v17
	v_fma_f32 v13, -v13, v18, v16
	v_div_fmas_f32 v13, v13, v17, v18
	v_div_fixup_f32 v13, v13, v12, v15
.LBB12_27:                              ;   in Loop: Header=BB12_14 Depth=3
	s_or_b64 exec, exec, s[68:69]
	v_mov_b32_e32 v15, v13
	s_or_b64 exec, exec, s[66:67]
	v_cmp_class_f32_e64 s[86:87], v15, s52
	s_and_saveexec_b64 s[88:89], s[86:87]
	s_cbranch_execz .LBB12_24
.LBB12_28:                              ;   in Loop: Header=BB12_14 Depth=3
	s_and_saveexec_b64 s[54:55], s[20:21]
	s_xor_b64 s[20:21], exec, s[54:55]
	s_cbranch_execz .LBB12_49
; %bb.29:                               ;   in Loop: Header=BB12_14 Depth=3
	v_cmp_ge_i32_e32 vcc, v3, v9
	s_and_saveexec_b64 s[54:55], vcc
	s_xor_b64 s[66:67], exec, s[54:55]
	s_cbranch_execz .LBB12_35
; %bb.30:                               ;   in Loop: Header=BB12_14 Depth=3
	v_mov_b32_e32 v13, s59
	v_add_co_u32_e32 v12, vcc, s58, v7
	v_addc_co_u32_e32 v13, vcc, v13, v8, vcc
	s_andn2_b64 vcc, exec, s[34:35]
	global_store_dword v[12:13], v15, off
	s_cbranch_vccnz .LBB12_34
; %bb.31:                               ;   in Loop: Header=BB12_14 Depth=3
	v_mov_b32_e32 v13, s57
	v_add_co_u32_e32 v12, vcc, s56, v7
	v_addc_co_u32_e32 v13, vcc, v13, v8, vcc
	global_load_dword v12, v[12:13], off
	s_waitcnt vmcnt(0)
	v_sub_f32_e32 v12, v12, v15
	v_cmp_class_f32_e64 s[54:55], v12, s52
	s_and_saveexec_b64 s[68:69], s[54:55]
; %bb.32:                               ;   in Loop: Header=BB12_14 Depth=3
	v_cmp_lt_f32_e64 s[54:55], v24, |v12|
	v_cndmask_b32_e64 v24, v24, |v12|, s[54:55]
; %bb.33:                               ;   in Loop: Header=BB12_14 Depth=3
	s_or_b64 exec, exec, s[68:69]
.LBB12_34:                              ;   in Loop: Header=BB12_14 Depth=3
                                        ; implicit-def: $vgpr15
.LBB12_35:                              ;   in Loop: Header=BB12_14 Depth=3
	s_andn2_saveexec_b64 s[90:91], s[66:67]
	s_cbranch_execz .LBB12_48
; %bb.36:                               ;   in Loop: Header=BB12_14 Depth=3
	v_cmp_lt_i32_e32 vcc, v11, v35
	s_and_saveexec_b64 s[92:93], vcc
	s_cbranch_execz .LBB12_47
; %bb.37:                               ;   in Loop: Header=BB12_14 Depth=3
	s_mov_b64 s[94:95], 0
	v_mov_b32_e32 v16, v11
                                        ; implicit-def: $sgpr66_sgpr67
                                        ; implicit-def: $sgpr68_sgpr69
                                        ; implicit-def: $sgpr70_sgpr71
	s_branch .LBB12_39
.LBB12_38:                              ;   in Loop: Header=BB12_39 Depth=4
	s_or_b64 exec, exec, s[76:77]
	s_and_b64 s[54:55], exec, s[68:69]
	s_or_b64 s[94:95], s[54:55], s[94:95]
	s_andn2_b64 s[54:55], s[66:67], exec
	s_and_b64 s[66:67], s[70:71], exec
	s_or_b64 s[66:67], s[54:55], s[66:67]
	s_andn2_b64 exec, exec, s[94:95]
	s_cbranch_execz .LBB12_41
.LBB12_39:                              ;   Parent Loop BB12_5 Depth=1
                                        ;     Parent Loop BB12_9 Depth=2
                                        ;       Parent Loop BB12_14 Depth=3
                                        ; =>      This Inner Loop Header: Depth=4
	v_add_u32_e32 v12, v10, v16
	v_ashrrev_i32_e32 v13, 31, v12
	v_lshlrev_b64 v[12:13], 2, v[12:13]
	v_mov_b32_e32 v18, s29
	v_add_co_u32_e32 v17, vcc, s28, v12
	v_addc_co_u32_e32 v18, vcc, v18, v13, vcc
	global_load_dword v17, v[17:18], off
	s_or_b64 s[70:71], s[70:71], exec
	s_or_b64 s[68:69], s[68:69], exec
	s_waitcnt vmcnt(0)
	v_subrev_u32_e32 v17, s4, v17
	v_cmp_ne_u32_e32 vcc, v17, v3
	s_and_saveexec_b64 s[76:77], vcc
	s_cbranch_execz .LBB12_38
; %bb.40:                               ;   in Loop: Header=BB12_39 Depth=4
	v_add_u32_e32 v16, 1, v16
	v_cmp_ge_i32_e32 vcc, v16, v35
	s_andn2_b64 s[54:55], s[68:69], exec
	s_and_b64 s[68:69], vcc, exec
	s_andn2_b64 s[70:71], s[70:71], exec
	s_or_b64 s[68:69], s[54:55], s[68:69]
	s_branch .LBB12_38
.LBB12_41:                              ;   in Loop: Header=BB12_14 Depth=3
	s_or_b64 exec, exec, s[94:95]
	s_and_saveexec_b64 s[54:55], s[66:67]
	s_xor_b64 s[66:67], exec, s[54:55]
	s_cbranch_execz .LBB12_46
; %bb.42:                               ;   in Loop: Header=BB12_14 Depth=3
	v_mov_b32_e32 v17, s75
	v_add_co_u32_e32 v16, vcc, s74, v12
	v_addc_co_u32_e32 v17, vcc, v17, v13, vcc
	s_andn2_b64 vcc, exec, s[34:35]
	global_store_dword v[16:17], v15, off
	s_cbranch_vccnz .LBB12_46
; %bb.43:                               ;   in Loop: Header=BB12_14 Depth=3
	v_mov_b32_e32 v16, s31
	v_add_co_u32_e32 v12, vcc, s30, v12
	v_addc_co_u32_e32 v13, vcc, v16, v13, vcc
	global_load_dword v12, v[12:13], off
	s_waitcnt vmcnt(0)
	v_sub_f32_e32 v12, v12, v15
	v_cmp_class_f32_e64 s[54:55], v12, s52
	s_and_saveexec_b64 s[68:69], s[54:55]
; %bb.44:                               ;   in Loop: Header=BB12_14 Depth=3
	v_cmp_lt_f32_e64 s[54:55], v24, |v12|
	v_cndmask_b32_e64 v24, v24, |v12|, s[54:55]
; %bb.45:                               ;   in Loop: Header=BB12_14 Depth=3
	s_or_b64 exec, exec, s[68:69]
.LBB12_46:                              ;   in Loop: Header=BB12_14 Depth=3
	s_or_b64 exec, exec, s[66:67]
.LBB12_47:                              ;   in Loop: Header=BB12_14 Depth=3
	s_or_b64 exec, exec, s[92:93]
.LBB12_48:                              ;   in Loop: Header=BB12_14 Depth=3
	s_or_b64 exec, exec, s[90:91]
                                        ; implicit-def: $vgpr15
.LBB12_49:                              ;   in Loop: Header=BB12_14 Depth=3
	s_andn2_saveexec_b64 s[20:21], s[20:21]
	s_cbranch_execz .LBB12_62
; %bb.50:                               ;   in Loop: Header=BB12_14 Depth=3
	v_cmp_lt_i32_e32 vcc, v1, v30
	s_and_saveexec_b64 s[90:91], vcc
	s_cbranch_execz .LBB12_61
; %bb.51:                               ;   in Loop: Header=BB12_14 Depth=3
	s_mov_b64 s[92:93], 0
	v_mov_b32_e32 v16, v1
                                        ; implicit-def: $sgpr66_sgpr67
                                        ; implicit-def: $sgpr68_sgpr69
                                        ; implicit-def: $sgpr70_sgpr71
	s_branch .LBB12_53
.LBB12_52:                              ;   in Loop: Header=BB12_53 Depth=4
	s_or_b64 exec, exec, s[94:95]
	s_and_b64 s[54:55], exec, s[68:69]
	s_or_b64 s[92:93], s[54:55], s[92:93]
	s_andn2_b64 s[54:55], s[66:67], exec
	s_and_b64 s[66:67], s[70:71], exec
	s_or_b64 s[66:67], s[54:55], s[66:67]
	s_andn2_b64 exec, exec, s[92:93]
	s_cbranch_execz .LBB12_55
.LBB12_53:                              ;   Parent Loop BB12_5 Depth=1
                                        ;     Parent Loop BB12_9 Depth=2
                                        ;       Parent Loop BB12_14 Depth=3
                                        ; =>      This Inner Loop Header: Depth=4
	v_add_u32_e32 v12, v6, v16
	v_ashrrev_i32_e32 v13, 31, v12
	v_lshlrev_b64 v[12:13], 2, v[12:13]
	v_mov_b32_e32 v18, s41
	v_add_co_u32_e32 v17, vcc, s40, v12
	v_addc_co_u32_e32 v18, vcc, v18, v13, vcc
	global_load_dword v17, v[17:18], off
	s_or_b64 s[70:71], s[70:71], exec
	s_or_b64 s[68:69], s[68:69], exec
	s_waitcnt vmcnt(0)
	v_subrev_u32_e32 v17, s63, v17
	v_cmp_ne_u32_e32 vcc, v17, v9
	s_and_saveexec_b64 s[94:95], vcc
	s_cbranch_execz .LBB12_52
; %bb.54:                               ;   in Loop: Header=BB12_53 Depth=4
	v_add_u32_e32 v16, 1, v16
	v_cmp_ge_i32_e32 vcc, v16, v30
	s_andn2_b64 s[54:55], s[68:69], exec
	s_and_b64 s[68:69], vcc, exec
	s_andn2_b64 s[70:71], s[70:71], exec
	s_or_b64 s[68:69], s[54:55], s[68:69]
	s_branch .LBB12_52
.LBB12_55:                              ;   in Loop: Header=BB12_14 Depth=3
	s_or_b64 exec, exec, s[92:93]
	s_and_saveexec_b64 s[54:55], s[66:67]
	s_xor_b64 s[66:67], exec, s[54:55]
	s_cbranch_execz .LBB12_60
; %bb.56:                               ;   in Loop: Header=BB12_14 Depth=3
	v_mov_b32_e32 v17, s73
	v_add_co_u32_e32 v16, vcc, s72, v12
	v_addc_co_u32_e32 v17, vcc, v17, v13, vcc
	s_andn2_b64 vcc, exec, s[34:35]
	global_store_dword v[16:17], v15, off
	s_cbranch_vccnz .LBB12_60
; %bb.57:                               ;   in Loop: Header=BB12_14 Depth=3
	v_mov_b32_e32 v16, s43
	v_add_co_u32_e32 v12, vcc, s42, v12
	v_addc_co_u32_e32 v13, vcc, v16, v13, vcc
	global_load_dword v12, v[12:13], off
	s_waitcnt vmcnt(0)
	v_sub_f32_e32 v12, v12, v15
	v_cmp_class_f32_e64 s[54:55], v12, s52
	s_and_saveexec_b64 s[68:69], s[54:55]
; %bb.58:                               ;   in Loop: Header=BB12_14 Depth=3
	v_cmp_lt_f32_e64 s[54:55], v24, |v12|
	v_cndmask_b32_e64 v24, v24, |v12|, s[54:55]
; %bb.59:                               ;   in Loop: Header=BB12_14 Depth=3
	s_or_b64 exec, exec, s[68:69]
.LBB12_60:                              ;   in Loop: Header=BB12_14 Depth=3
	s_or_b64 exec, exec, s[66:67]
.LBB12_61:                              ;   in Loop: Header=BB12_14 Depth=3
	s_or_b64 exec, exec, s[90:91]
.LBB12_62:                              ;   in Loop: Header=BB12_14 Depth=3
	s_or_b64 exec, exec, s[20:21]
	s_or_b64 exec, exec, s[88:89]
	s_and_b64 s[54:55], s[22:23], s[86:87]
	s_and_saveexec_b64 s[20:21], s[54:55]
	s_cbranch_execz .LBB12_13
.LBB12_63:                              ;   in Loop: Header=BB12_14 Depth=3
	v_cmp_ge_i32_e32 vcc, v11, v35
	s_and_saveexec_b64 s[54:55], vcc
	s_xor_b64 s[86:87], exec, s[54:55]
	s_cbranch_execnz .LBB12_69
; %bb.64:                               ;   in Loop: Header=BB12_14 Depth=3
	s_andn2_saveexec_b64 s[86:87], s[86:87]
	s_cbranch_execnz .LBB12_78
.LBB12_65:                              ;   in Loop: Header=BB12_14 Depth=3
	s_or_b64 exec, exec, s[86:87]
	v_cmp_eq_u32_e32 vcc, v3, v9
	s_and_saveexec_b64 s[66:67], vcc
	s_cbranch_execz .LBB12_67
.LBB12_66:                              ;   in Loop: Header=BB12_14 Depth=3
	v_mov_b32_e32 v1, s57
	v_add_co_u32_e32 v7, vcc, s56, v7
	v_addc_co_u32_e32 v8, vcc, v1, v8, vcc
	global_load_dword v1, v[7:8], off
	s_waitcnt vmcnt(0)
	v_add_f32_e32 v5, v5, v1
.LBB12_67:                              ;   in Loop: Header=BB12_14 Depth=3
	s_or_b64 exec, exec, s[66:67]
	v_sub_f32_e32 v1, v14, v5
	v_cmp_class_f32_e64 s[54:55], v1, s52
	s_and_saveexec_b64 s[66:67], s[54:55]
	s_cbranch_execz .LBB12_12
; %bb.68:                               ;   in Loop: Header=BB12_14 Depth=3
	v_cmp_lt_f32_e64 s[54:55], v20, |v1|
	v_cndmask_b32_e64 v20, v20, |v1|, s[54:55]
	s_branch .LBB12_12
.LBB12_69:                              ;   in Loop: Header=BB12_14 Depth=3
	v_cmp_lt_i32_e32 vcc, v1, v30
	s_and_saveexec_b64 s[88:89], vcc
	s_cbranch_execz .LBB12_77
; %bb.70:                               ;   in Loop: Header=BB12_14 Depth=3
	s_mov_b64 s[90:91], 0
                                        ; implicit-def: $sgpr66_sgpr67
                                        ; implicit-def: $sgpr68_sgpr69
                                        ; implicit-def: $sgpr70_sgpr71
	s_branch .LBB12_72
.LBB12_71:                              ;   in Loop: Header=BB12_72 Depth=4
	s_or_b64 exec, exec, s[76:77]
	s_and_b64 s[54:55], exec, s[68:69]
	s_or_b64 s[90:91], s[54:55], s[90:91]
	s_andn2_b64 s[54:55], s[66:67], exec
	s_and_b64 s[66:67], s[70:71], exec
	s_or_b64 s[66:67], s[54:55], s[66:67]
	s_andn2_b64 exec, exec, s[90:91]
	s_cbranch_execz .LBB12_74
.LBB12_72:                              ;   Parent Loop BB12_5 Depth=1
                                        ;     Parent Loop BB12_9 Depth=2
                                        ;       Parent Loop BB12_14 Depth=3
                                        ; =>      This Inner Loop Header: Depth=4
	v_add_u32_e32 v10, v6, v1
	v_ashrrev_i32_e32 v11, 31, v10
	v_lshlrev_b64 v[10:11], 2, v[10:11]
	v_mov_b32_e32 v13, s41
	v_add_co_u32_e32 v12, vcc, s40, v10
	v_addc_co_u32_e32 v13, vcc, v13, v11, vcc
	global_load_dword v12, v[12:13], off
	s_or_b64 s[70:71], s[70:71], exec
	s_or_b64 s[68:69], s[68:69], exec
	s_waitcnt vmcnt(0)
	v_subrev_u32_e32 v12, s63, v12
	v_cmp_ne_u32_e32 vcc, v12, v9
	s_and_saveexec_b64 s[76:77], vcc
	s_cbranch_execz .LBB12_71
; %bb.73:                               ;   in Loop: Header=BB12_72 Depth=4
	v_add_u32_e32 v1, 1, v1
	v_cmp_ge_i32_e32 vcc, v1, v30
	s_andn2_b64 s[54:55], s[68:69], exec
	s_and_b64 s[68:69], vcc, exec
	s_andn2_b64 s[70:71], s[70:71], exec
	s_or_b64 s[68:69], s[54:55], s[68:69]
	s_branch .LBB12_71
.LBB12_74:                              ;   in Loop: Header=BB12_14 Depth=3
	s_or_b64 exec, exec, s[90:91]
	s_and_saveexec_b64 s[54:55], s[66:67]
	s_xor_b64 s[66:67], exec, s[54:55]
	s_cbranch_execz .LBB12_76
; %bb.75:                               ;   in Loop: Header=BB12_14 Depth=3
	v_mov_b32_e32 v1, s43
	v_add_co_u32_e32 v10, vcc, s42, v10
	v_addc_co_u32_e32 v11, vcc, v1, v11, vcc
	global_load_dword v1, v[10:11], off
	v_mov_b32_e32 v11, s57
	v_add_co_u32_e32 v10, vcc, s56, v7
	v_addc_co_u32_e32 v11, vcc, v11, v8, vcc
	global_load_dword v10, v[10:11], off
	s_waitcnt vmcnt(0)
	v_fmac_f32_e32 v5, v1, v10
.LBB12_76:                              ;   in Loop: Header=BB12_14 Depth=3
	s_or_b64 exec, exec, s[66:67]
.LBB12_77:                              ;   in Loop: Header=BB12_14 Depth=3
	s_or_b64 exec, exec, s[88:89]
                                        ; implicit-def: $vgpr11
                                        ; implicit-def: $vgpr10
                                        ; implicit-def: $vgpr35
	s_andn2_saveexec_b64 s[86:87], s[86:87]
	s_cbranch_execz .LBB12_65
.LBB12_78:                              ;   in Loop: Header=BB12_14 Depth=3
	s_mov_b64 s[88:89], 0
                                        ; implicit-def: $sgpr66_sgpr67
                                        ; implicit-def: $sgpr68_sgpr69
                                        ; implicit-def: $sgpr70_sgpr71
	s_branch .LBB12_80
.LBB12_79:                              ;   in Loop: Header=BB12_80 Depth=4
	s_or_b64 exec, exec, s[76:77]
	s_and_b64 s[54:55], exec, s[68:69]
	s_or_b64 s[88:89], s[54:55], s[88:89]
	s_andn2_b64 s[54:55], s[66:67], exec
	s_and_b64 s[66:67], s[70:71], exec
	s_or_b64 s[66:67], s[54:55], s[66:67]
	s_andn2_b64 exec, exec, s[88:89]
	s_cbranch_execz .LBB12_82
.LBB12_80:                              ;   Parent Loop BB12_5 Depth=1
                                        ;     Parent Loop BB12_9 Depth=2
                                        ;       Parent Loop BB12_14 Depth=3
                                        ; =>      This Inner Loop Header: Depth=4
	v_add_u32_e32 v12, v10, v11
	v_ashrrev_i32_e32 v13, 31, v12
	v_lshlrev_b64 v[12:13], 2, v[12:13]
	v_mov_b32_e32 v1, s29
	v_add_co_u32_e32 v15, vcc, s28, v12
	v_addc_co_u32_e32 v16, vcc, v1, v13, vcc
	global_load_dword v1, v[15:16], off
	s_or_b64 s[70:71], s[70:71], exec
	s_or_b64 s[68:69], s[68:69], exec
	s_waitcnt vmcnt(0)
	v_subrev_u32_e32 v1, s4, v1
	v_cmp_ne_u32_e32 vcc, v1, v3
	s_and_saveexec_b64 s[76:77], vcc
	s_cbranch_execz .LBB12_79
; %bb.81:                               ;   in Loop: Header=BB12_80 Depth=4
	v_add_u32_e32 v11, 1, v11
	v_cmp_ge_i32_e32 vcc, v11, v35
	s_andn2_b64 s[54:55], s[68:69], exec
	s_and_b64 s[68:69], vcc, exec
	s_andn2_b64 s[70:71], s[70:71], exec
	s_or_b64 s[68:69], s[54:55], s[68:69]
	s_branch .LBB12_79
.LBB12_82:                              ;   in Loop: Header=BB12_14 Depth=3
	s_or_b64 exec, exec, s[88:89]
	s_and_saveexec_b64 s[54:55], s[66:67]
	s_xor_b64 s[66:67], exec, s[54:55]
	s_cbranch_execz .LBB12_84
; %bb.83:                               ;   in Loop: Header=BB12_14 Depth=3
	v_mov_b32_e32 v1, s31
	v_add_co_u32_e32 v10, vcc, s30, v12
	v_addc_co_u32_e32 v11, vcc, v1, v13, vcc
	global_load_dword v1, v[10:11], off
	s_waitcnt vmcnt(0)
	v_add_f32_e32 v5, v5, v1
.LBB12_84:                              ;   in Loop: Header=BB12_14 Depth=3
	s_or_b64 exec, exec, s[66:67]
	s_or_b64 exec, exec, s[86:87]
	v_cmp_eq_u32_e32 vcc, v3, v9
	s_and_saveexec_b64 s[66:67], vcc
	s_cbranch_execnz .LBB12_66
	s_branch .LBB12_67
.LBB12_85:                              ;   in Loop: Header=BB12_5 Depth=1
	s_and_b64 vcc, exec, s[34:35]
	s_cbranch_vccnz .LBB12_88
; %bb.86:                               ;   in Loop: Header=BB12_5 Depth=1
	s_andn2_b64 vcc, exec, s[22:23]
	s_cbranch_vccz .LBB12_101
.LBB12_87:                              ;   in Loop: Header=BB12_5 Depth=1
	s_and_saveexec_b64 s[18:19], s[0:1]
	s_cbranch_execnz .LBB12_114
	s_branch .LBB12_125
.LBB12_88:                              ;   in Loop: Header=BB12_5 Depth=1
	v_mov_b32_dpp v1, v24 row_shr:1 row_mask:0xf bank_mask:0xf
	v_cmp_lt_f32_e32 vcc, v24, v1
	v_cndmask_b32_e32 v1, v24, v1, vcc
	s_nop 1
	v_mov_b32_dpp v3, v1 row_shr:2 row_mask:0xf bank_mask:0xf
	v_cmp_lt_f32_e32 vcc, v1, v3
	v_cndmask_b32_e32 v1, v1, v3, vcc
	s_nop 1
	;; [unrolled: 4-line block ×4, first 2 shown]
	v_mov_b32_dpp v3, v1 row_bcast:15 row_mask:0xa bank_mask:0xf
	s_and_saveexec_b64 s[18:19], s[2:3]
; %bb.89:                               ;   in Loop: Header=BB12_5 Depth=1
	v_cmp_lt_f32_e32 vcc, v1, v3
	v_cndmask_b32_e32 v1, v1, v3, vcc
	ds_write_b32 v26, v1
; %bb.90:                               ;   in Loop: Header=BB12_5 Depth=1
	s_or_b64 exec, exec, s[18:19]
	s_waitcnt vmcnt(0) lgkmcnt(0)
	s_barrier
	s_and_saveexec_b64 s[18:19], s[6:7]
	s_cbranch_execz .LBB12_92
; %bb.91:                               ;   in Loop: Header=BB12_5 Depth=1
	ds_read2_b32 v[3:4], v19 offset1:16
	s_waitcnt lgkmcnt(0)
	v_cmp_lt_f32_e32 vcc, v3, v4
	v_cndmask_b32_e32 v1, v3, v4, vcc
	ds_write_b32 v19, v1
.LBB12_92:                              ;   in Loop: Header=BB12_5 Depth=1
	s_or_b64 exec, exec, s[18:19]
	s_waitcnt lgkmcnt(0)
	s_barrier
	s_and_saveexec_b64 s[18:19], s[8:9]
	s_cbranch_execz .LBB12_94
; %bb.93:                               ;   in Loop: Header=BB12_5 Depth=1
	ds_read2_b32 v[3:4], v19 offset1:8
	s_waitcnt lgkmcnt(0)
	v_cmp_lt_f32_e32 vcc, v3, v4
	v_cndmask_b32_e32 v1, v3, v4, vcc
	ds_write_b32 v19, v1
.LBB12_94:                              ;   in Loop: Header=BB12_5 Depth=1
	s_or_b64 exec, exec, s[18:19]
	s_waitcnt lgkmcnt(0)
	;; [unrolled: 12-line block ×4, first 2 shown]
	s_barrier
	s_and_saveexec_b64 s[18:19], s[14:15]
	s_cbranch_execz .LBB12_100
; %bb.99:                               ;   in Loop: Header=BB12_5 Depth=1
	ds_read_b64 v[3:4], v2
	s_waitcnt lgkmcnt(0)
	v_cmp_lt_f32_e32 vcc, v3, v4
	v_cndmask_b32_e32 v1, v3, v4, vcc
	ds_write_b32 v2, v1
.LBB12_100:                             ;   in Loop: Header=BB12_5 Depth=1
	s_or_b64 exec, exec, s[18:19]
	v_readlane_b32 s18, v43, 4
	v_readlane_b32 s19, v43, 5
	s_waitcnt lgkmcnt(0)
	s_barrier
	ds_read_b32 v1, v2
	s_load_dword s20, s[18:19], 0x0
	s_waitcnt lgkmcnt(0)
	v_div_scale_f32 v3, s[18:19], s20, s20, v1
	v_div_scale_f32 v4, vcc, v1, s20, v1
	v_rcp_f32_e32 v5, v3
	v_fma_f32 v6, -v3, v5, 1.0
	v_fmac_f32_e32 v5, v6, v5
	v_mul_f32_e32 v6, v4, v5
	v_fma_f32 v7, -v3, v6, v4
	v_fmac_f32_e32 v6, v7, v5
	v_fma_f32 v3, -v3, v6, v4
	v_div_fmas_f32 v3, v3, v5, v6
	v_div_fixup_f32 v24, v3, s20, v1
	s_andn2_b64 vcc, exec, s[22:23]
	s_cbranch_vccnz .LBB12_87
.LBB12_101:                             ;   in Loop: Header=BB12_5 Depth=1
	v_mov_b32_dpp v1, v20 row_shr:1 row_mask:0xf bank_mask:0xf
	v_cmp_lt_f32_e32 vcc, v20, v1
	v_cndmask_b32_e32 v1, v20, v1, vcc
	s_nop 1
	v_mov_b32_dpp v3, v1 row_shr:2 row_mask:0xf bank_mask:0xf
	v_cmp_lt_f32_e32 vcc, v1, v3
	v_cndmask_b32_e32 v1, v1, v3, vcc
	s_nop 1
	;; [unrolled: 4-line block ×4, first 2 shown]
	v_mov_b32_dpp v3, v1 row_bcast:15 row_mask:0xa bank_mask:0xf
	s_and_saveexec_b64 s[18:19], s[2:3]
; %bb.102:                              ;   in Loop: Header=BB12_5 Depth=1
	v_cmp_lt_f32_e32 vcc, v1, v3
	v_cndmask_b32_e32 v1, v1, v3, vcc
	ds_write_b32 v26, v1
; %bb.103:                              ;   in Loop: Header=BB12_5 Depth=1
	s_or_b64 exec, exec, s[18:19]
	s_waitcnt vmcnt(0) lgkmcnt(0)
	s_barrier
	s_and_saveexec_b64 s[18:19], s[6:7]
	s_cbranch_execz .LBB12_105
; %bb.104:                              ;   in Loop: Header=BB12_5 Depth=1
	ds_read2_b32 v[3:4], v19 offset1:16
	s_waitcnt lgkmcnt(0)
	v_cmp_lt_f32_e32 vcc, v3, v4
	v_cndmask_b32_e32 v1, v3, v4, vcc
	ds_write_b32 v19, v1
.LBB12_105:                             ;   in Loop: Header=BB12_5 Depth=1
	s_or_b64 exec, exec, s[18:19]
	s_waitcnt lgkmcnt(0)
	s_barrier
	s_and_saveexec_b64 s[18:19], s[8:9]
	s_cbranch_execz .LBB12_107
; %bb.106:                              ;   in Loop: Header=BB12_5 Depth=1
	ds_read2_b32 v[3:4], v19 offset1:8
	s_waitcnt lgkmcnt(0)
	v_cmp_lt_f32_e32 vcc, v3, v4
	v_cndmask_b32_e32 v1, v3, v4, vcc
	ds_write_b32 v19, v1
.LBB12_107:                             ;   in Loop: Header=BB12_5 Depth=1
	s_or_b64 exec, exec, s[18:19]
	s_waitcnt lgkmcnt(0)
	;; [unrolled: 12-line block ×4, first 2 shown]
	s_barrier
	s_and_saveexec_b64 s[18:19], s[14:15]
	s_cbranch_execz .LBB12_113
; %bb.112:                              ;   in Loop: Header=BB12_5 Depth=1
	ds_read_b64 v[3:4], v2
	s_waitcnt lgkmcnt(0)
	v_cmp_lt_f32_e32 vcc, v3, v4
	v_cndmask_b32_e32 v1, v3, v4, vcc
	ds_write_b32 v2, v1
.LBB12_113:                             ;   in Loop: Header=BB12_5 Depth=1
	s_or_b64 exec, exec, s[18:19]
	v_readlane_b32 s18, v43, 4
	v_readlane_b32 s19, v43, 5
	s_waitcnt lgkmcnt(0)
	s_barrier
	ds_read_b32 v1, v2
	s_load_dword s20, s[18:19], 0x0
	s_waitcnt lgkmcnt(0)
	v_div_scale_f32 v3, s[18:19], s20, s20, v1
	v_div_scale_f32 v4, vcc, v1, s20, v1
	v_rcp_f32_e32 v5, v3
	v_fma_f32 v6, -v3, v5, 1.0
	v_fmac_f32_e32 v5, v6, v5
	v_mul_f32_e32 v6, v4, v5
	v_fma_f32 v7, -v3, v6, v4
	v_fmac_f32_e32 v6, v7, v5
	v_fma_f32 v3, -v3, v6, v4
	v_div_fmas_f32 v3, v3, v5, v6
	v_div_fixup_f32 v20, v3, s20, v1
	s_and_saveexec_b64 s[18:19], s[0:1]
	s_cbranch_execz .LBB12_125
.LBB12_114:                             ;   in Loop: Header=BB12_5 Depth=1
	s_mov_b64 s[20:21], 0
	v_mov_b32_e32 v3, v23
	s_branch .LBB12_116
.LBB12_115:                             ;   in Loop: Header=BB12_116 Depth=2
	s_or_b64 exec, exec, s[80:81]
	v_add_u32_e32 v3, 32, v3
	v_cmp_le_u32_e32 vcc, s5, v3
	s_or_b64 s[20:21], vcc, s[20:21]
	s_andn2_b64 exec, exec, s[20:21]
	s_cbranch_execz .LBB12_125
.LBB12_116:                             ;   Parent Loop BB12_5 Depth=1
                                        ; =>  This Loop Header: Depth=2
                                        ;       Child Loop BB12_119 Depth 3
                                        ;       Child Loop BB12_122 Depth 3
	v_cmp_gt_i32_e32 vcc, s65, v3
	s_and_saveexec_b64 s[80:81], vcc
	s_cbranch_execz .LBB12_115
; %bb.117:                              ;   in Loop: Header=BB12_116 Depth=2
	v_ashrrev_i32_e32 v4, 31, v3
	v_lshlrev_b64 v[4:5], 2, v[3:4]
	v_mov_b32_e32 v1, s37
	v_add_co_u32_e32 v6, vcc, s36, v4
	v_addc_co_u32_e32 v7, vcc, v1, v5, vcc
	global_load_dword v1, v[6:7], off
	v_mov_b32_e32 v7, s39
	v_add_co_u32_e32 v6, vcc, s38, v4
	v_addc_co_u32_e32 v7, vcc, v7, v5, vcc
	global_load_dword v7, v[6:7], off
	s_waitcnt vmcnt(1)
	v_add_u32_e32 v6, v27, v1
	s_waitcnt vmcnt(0)
	v_subrev_u32_e32 v1, s63, v7
	v_cmp_lt_i32_e32 vcc, v6, v1
	s_and_saveexec_b64 s[66:67], vcc
	s_cbranch_execz .LBB12_120
; %bb.118:                              ;   in Loop: Header=BB12_116 Depth=2
	v_ashrrev_i32_e32 v7, 31, v6
	v_lshlrev_b64 v[9:10], 2, v[6:7]
	v_mov_b32_e32 v8, s73
	v_add_co_u32_e32 v7, vcc, s72, v9
	v_addc_co_u32_e32 v8, vcc, v8, v10, vcc
	v_mov_b32_e32 v11, s43
	v_add_co_u32_e32 v9, vcc, s42, v9
	v_addc_co_u32_e32 v10, vcc, v11, v10, vcc
	s_mov_b64 s[68:69], 0
.LBB12_119:                             ;   Parent Loop BB12_5 Depth=1
                                        ;     Parent Loop BB12_116 Depth=2
                                        ; =>    This Inner Loop Header: Depth=3
	global_load_dword v11, v[7:8], off
	v_add_co_u32_e32 v7, vcc, 0x80, v7
	v_add_u32_e32 v6, 32, v6
	v_addc_co_u32_e32 v8, vcc, 0, v8, vcc
	v_cmp_ge_i32_e32 vcc, v6, v1
	s_or_b64 s[68:69], vcc, s[68:69]
	s_waitcnt vmcnt(0)
	global_store_dword v[9:10], v11, off
	v_add_co_u32_e32 v9, vcc, 0x80, v9
	v_addc_co_u32_e32 v10, vcc, 0, v10, vcc
	s_andn2_b64 exec, exec, s[68:69]
	s_cbranch_execnz .LBB12_119
.LBB12_120:                             ;   in Loop: Header=BB12_116 Depth=2
	s_or_b64 exec, exec, s[66:67]
	v_mov_b32_e32 v1, s25
	v_add_co_u32_e32 v6, vcc, s24, v4
	v_addc_co_u32_e32 v7, vcc, v1, v5, vcc
	global_load_dword v1, v[6:7], off
	v_mov_b32_e32 v7, s27
	v_add_co_u32_e32 v6, vcc, s26, v4
	v_addc_co_u32_e32 v7, vcc, v7, v5, vcc
	global_load_dword v7, v[6:7], off
	s_waitcnt vmcnt(1)
	v_add_u32_e32 v6, v28, v1
	s_waitcnt vmcnt(0)
	v_subrev_u32_e32 v1, s4, v7
	v_cmp_lt_i32_e32 vcc, v6, v1
	s_and_saveexec_b64 s[66:67], vcc
	s_cbranch_execz .LBB12_123
; %bb.121:                              ;   in Loop: Header=BB12_116 Depth=2
	v_ashrrev_i32_e32 v7, 31, v6
	v_lshlrev_b64 v[9:10], 2, v[6:7]
	v_mov_b32_e32 v8, s75
	v_add_co_u32_e32 v7, vcc, s74, v9
	v_addc_co_u32_e32 v8, vcc, v8, v10, vcc
	v_mov_b32_e32 v11, s31
	v_add_co_u32_e32 v9, vcc, s30, v9
	v_addc_co_u32_e32 v10, vcc, v11, v10, vcc
	s_mov_b64 s[68:69], 0
.LBB12_122:                             ;   Parent Loop BB12_5 Depth=1
                                        ;     Parent Loop BB12_116 Depth=2
                                        ; =>    This Inner Loop Header: Depth=3
	global_load_dword v11, v[7:8], off
	v_add_co_u32_e32 v7, vcc, 0x80, v7
	v_add_u32_e32 v6, 32, v6
	v_addc_co_u32_e32 v8, vcc, 0, v8, vcc
	v_cmp_ge_i32_e32 vcc, v6, v1
	s_or_b64 s[68:69], vcc, s[68:69]
	s_waitcnt vmcnt(0)
	global_store_dword v[9:10], v11, off
	v_add_co_u32_e32 v9, vcc, 0x80, v9
	v_addc_co_u32_e32 v10, vcc, 0, v10, vcc
	s_andn2_b64 exec, exec, s[68:69]
	s_cbranch_execnz .LBB12_122
.LBB12_123:                             ;   in Loop: Header=BB12_116 Depth=2
	s_or_b64 exec, exec, s[66:67]
	s_and_b64 exec, exec, s[16:17]
	s_cbranch_execz .LBB12_115
; %bb.124:                              ;   in Loop: Header=BB12_116 Depth=2
	v_mov_b32_e32 v1, s59
	v_add_co_u32_e32 v6, vcc, s58, v4
	v_addc_co_u32_e32 v7, vcc, v1, v5, vcc
	global_load_dword v1, v[6:7], off
	v_mov_b32_e32 v6, s57
	v_add_co_u32_e32 v4, vcc, s56, v4
	v_addc_co_u32_e32 v5, vcc, v6, v5, vcc
	s_waitcnt vmcnt(0)
	global_store_dword v[4:5], v1, off
	s_branch .LBB12_115
.LBB12_125:                             ;   in Loop: Header=BB12_5 Depth=1
	s_or_b64 exec, exec, s[18:19]
	s_mov_b64 s[20:21], -1
	s_and_b64 vcc, exec, s[60:61]
	s_mov_b64 s[66:67], -1
	s_cbranch_vccz .LBB12_135
; %bb.126:                              ;   in Loop: Header=BB12_5 Depth=1
	v_readlane_b32 s54, v43, 8
	v_readlane_b32 s55, v43, 9
	s_mov_b64 s[18:19], -1
	s_and_b64 vcc, exec, s[54:55]
                                        ; implicit-def: $sgpr66_sgpr67
	s_cbranch_vccz .LBB12_132
; %bb.127:                              ;   in Loop: Header=BB12_5 Depth=1
	v_readlane_b32 s54, v43, 6
	v_readlane_b32 s55, v43, 7
	s_and_b64 vcc, exec, s[54:55]
                                        ; implicit-def: $sgpr66_sgpr67
	s_cbranch_vccz .LBB12_129
; %bb.128:                              ;   in Loop: Header=BB12_5 Depth=1
	v_cmp_ge_f32_e64 s[66:67], s64, v20
	s_mov_b64 s[18:19], 0
.LBB12_129:                             ;   in Loop: Header=BB12_5 Depth=1
	s_andn2_b64 vcc, exec, s[18:19]
	s_cbranch_vccnz .LBB12_131
; %bb.130:                              ;   in Loop: Header=BB12_5 Depth=1
	v_cmp_ge_f32_e32 vcc, s64, v24
	s_andn2_b64 s[18:19], s[66:67], exec
	s_and_b64 s[54:55], vcc, exec
	s_or_b64 s[66:67], s[18:19], s[54:55]
.LBB12_131:                             ;   in Loop: Header=BB12_5 Depth=1
	s_mov_b64 s[18:19], 0
.LBB12_132:                             ;   in Loop: Header=BB12_5 Depth=1
	s_andn2_b64 vcc, exec, s[18:19]
	s_cbranch_vccnz .LBB12_134
; %bb.133:                              ;   in Loop: Header=BB12_5 Depth=1
	v_cmp_ge_f32_e32 vcc, s64, v24
	v_cmp_ge_f32_e64 s[18:19], s64, v20
	s_and_b64 s[18:19], vcc, s[18:19]
	s_andn2_b64 s[54:55], s[66:67], exec
	s_and_b64 s[18:19], s[18:19], exec
	s_or_b64 s[66:67], s[54:55], s[18:19]
.LBB12_134:                             ;   in Loop: Header=BB12_5 Depth=1
	s_xor_b64 s[66:67], s[66:67], -1
.LBB12_135:                             ;   in Loop: Header=BB12_5 Depth=1
	v_mov_b32_e32 v1, s33
	s_and_saveexec_b64 s[18:19], s[66:67]
	s_cbranch_execz .LBB12_4
; %bb.136:                              ;   in Loop: Header=BB12_5 Depth=1
	v_readlane_b32 s20, v43, 0
	s_add_i32 s33, s33, 1
	v_readlane_b32 s21, v43, 1
	s_cmp_eq_u32 s33, s21
	s_mov_b32 s53, s21
	s_cselect_b64 s[20:21], -1, 0
	v_mov_b32_e32 v1, s53
	s_orn2_b64 s[20:21], s[20:21], exec
	s_branch .LBB12_4
.LBB12_137:
	s_or_b64 exec, exec, s[78:79]
	v_readlane_b32 s20, v43, 10
	v_readlane_b32 s21, v43, 11
	s_load_dwordx4 s[8:11], s[20:21], 0xb8
	v_readlane_b32 s2, v43, 2
	v_readlane_b32 s3, v43, 3
	s_or_b64 exec, exec, s[2:3]
	s_andn2_b64 vcc, exec, s[60:61]
	s_cbranch_vccnz .LBB12_2
.LBB12_138:
	v_mov_b32_dpp v2, v1 row_shr:1 row_mask:0xf bank_mask:0xf
	v_max_i32_e32 v1, v1, v2
	v_cmp_eq_u32_e32 vcc, 31, v22
	s_nop 0
	v_mov_b32_dpp v2, v1 row_shr:2 row_mask:0xf bank_mask:0xf
	v_max_i32_e32 v1, v1, v2
	s_nop 1
	v_mov_b32_dpp v2, v1 row_shr:4 row_mask:0xf bank_mask:0xe
	v_max_i32_e32 v1, v1, v2
	;; [unrolled: 3-line block ×3, first 2 shown]
	s_nop 1
	v_mov_b32_dpp v2, v1 row_bcast:15 row_mask:0xa bank_mask:0xf
	s_and_saveexec_b64 s[0:1], vcc
; %bb.139:
	v_lshlrev_b32_e32 v3, 2, v21
	v_max_i32_e32 v1, v1, v2
	ds_write_b32 v3, v1 offset:128
; %bb.140:
	s_or_b64 exec, exec, s[0:1]
	v_cmp_gt_u32_e32 vcc, 16, v0
	s_waitcnt vmcnt(0) lgkmcnt(0)
	s_barrier
	s_and_saveexec_b64 s[0:1], vcc
	s_cbranch_execz .LBB12_142
; %bb.141:
	ds_read2_b32 v[1:2], v19 offset0:32 offset1:48
	s_waitcnt lgkmcnt(0)
	v_max_i32_e32 v1, v1, v2
	ds_write_b32 v19, v1 offset:128
.LBB12_142:
	s_or_b64 exec, exec, s[0:1]
	v_cmp_gt_u32_e32 vcc, 8, v0
	s_waitcnt lgkmcnt(0)
	s_barrier
	s_and_saveexec_b64 s[0:1], vcc
	s_cbranch_execz .LBB12_144
; %bb.143:
	ds_read2_b32 v[1:2], v19 offset0:32 offset1:40
	s_waitcnt lgkmcnt(0)
	v_max_i32_e32 v1, v1, v2
	ds_write_b32 v19, v1 offset:128
.LBB12_144:
	s_or_b64 exec, exec, s[0:1]
	v_cmp_gt_u32_e32 vcc, 4, v0
	s_waitcnt lgkmcnt(0)
	s_barrier
	s_and_saveexec_b64 s[0:1], vcc
	s_cbranch_execz .LBB12_146
; %bb.145:
	ds_read2_b32 v[1:2], v19 offset0:32 offset1:36
	s_waitcnt lgkmcnt(0)
	v_max_i32_e32 v1, v1, v2
	ds_write_b32 v19, v1 offset:128
.LBB12_146:
	s_or_b64 exec, exec, s[0:1]
	v_cmp_gt_u32_e32 vcc, 2, v0
	s_waitcnt lgkmcnt(0)
	s_barrier
	s_and_saveexec_b64 s[0:1], vcc
	s_cbranch_execz .LBB12_148
; %bb.147:
	ds_read2_b32 v[1:2], v19 offset0:32 offset1:34
	s_waitcnt lgkmcnt(0)
	v_max_i32_e32 v1, v1, v2
	ds_write_b32 v19, v1 offset:128
.LBB12_148:
	s_or_b64 exec, exec, s[0:1]
	v_cmp_eq_u32_e32 vcc, 0, v0
	s_waitcnt lgkmcnt(0)
	s_barrier
	s_and_saveexec_b64 s[0:1], vcc
	s_cbranch_execz .LBB12_150
; %bb.149:
	v_mov_b32_e32 v3, 0
	ds_read_b64 v[1:2], v3 offset:128
	s_waitcnt lgkmcnt(0)
	v_max_i32_e32 v1, v1, v2
	ds_write_b32 v3, v1 offset:128
.LBB12_150:
	s_or_b64 exec, exec, s[0:1]
	s_waitcnt lgkmcnt(0)
	s_barrier
	s_and_saveexec_b64 s[0:1], vcc
	s_cbranch_execz .LBB12_153
; %bb.151:
	v_mbcnt_lo_u32_b32 v1, exec_lo, 0
	v_mbcnt_hi_u32_b32 v1, exec_hi, v1
	v_cmp_eq_u32_e32 vcc, 0, v1
	s_and_b64 exec, exec, vcc
	s_cbranch_execz .LBB12_153
; %bb.152:
	v_mov_b32_e32 v1, 0
	ds_read_b32 v2, v1 offset:128
	s_load_dwordx2 s[2:3], s[20:21], 0x8
	s_waitcnt lgkmcnt(0)
	v_add_u32_e32 v2, 1, v2
	global_atomic_smax v1, v2, s[2:3]
.LBB12_153:
	s_or_b64 exec, exec, s[0:1]
	v_cmp_eq_u32_e32 vcc, 0, v0
	s_and_b64 s[0:1], vcc, s[34:35]
	s_and_saveexec_b64 s[2:3], s[0:1]
	s_cbranch_execz .LBB12_160
.LBB12_154:
	s_mov_b64 s[0:1], exec
	v_mov_b32_e32 v0, 0x7fc00000
.LBB12_155:                             ; =>This Inner Loop Header: Depth=1
	s_ff1_i32_b64 s4, s[0:1]
	v_readlane_b32 s6, v24, s4
	s_lshl_b64 s[4:5], 1, s4
	v_max_f32_e32 v0, v0, v0
	v_max_f32_e64 v1, s6, s6
	s_andn2_b64 s[0:1], s[0:1], s[4:5]
	s_cmp_lg_u64 s[0:1], 0
	v_max_f32_e32 v0, v0, v1
	s_cbranch_scc1 .LBB12_155
; %bb.156:
	v_mbcnt_lo_u32_b32 v1, exec_lo, 0
	v_mbcnt_hi_u32_b32 v1, exec_hi, v1
	v_cmp_eq_u32_e64 s[0:1], 0, v1
	s_and_saveexec_b64 s[4:5], s[0:1]
	s_xor_b64 s[4:5], exec, s[4:5]
	s_cbranch_execz .LBB12_160
; %bb.157:
	v_mov_b32_e32 v2, 0
	s_waitcnt lgkmcnt(0)
	global_load_dword v1, v2, s[8:9]
	s_mov_b64 s[4:5], 0
	v_max_f32_e32 v3, v0, v0
.LBB12_158:                             ; =>This Inner Loop Header: Depth=1
	s_waitcnt vmcnt(0)
	v_max_f32_e32 v0, v1, v1
	v_max_f32_e32 v0, v0, v3
	global_atomic_cmpswap v0, v2, v[0:1], s[8:9] glc
	s_waitcnt vmcnt(0)
	v_cmp_eq_u32_e64 s[0:1], v0, v1
	s_or_b64 s[4:5], s[0:1], s[4:5]
	v_mov_b32_e32 v1, v0
	s_andn2_b64 exec, exec, s[4:5]
	s_cbranch_execnz .LBB12_158
; %bb.159:
	s_or_b64 exec, exec, s[4:5]
.LBB12_160:
	s_or_b64 exec, exec, s[2:3]
	s_and_b64 s[0:1], vcc, s[22:23]
	s_and_saveexec_b64 s[2:3], s[0:1]
	s_cbranch_execz .LBB12_166
; %bb.161:
	s_mov_b64 s[0:1], exec
	v_mov_b32_e32 v0, 0x7fc00000
.LBB12_162:                             ; =>This Inner Loop Header: Depth=1
	s_ff1_i32_b64 s2, s[0:1]
	v_readlane_b32 s4, v20, s2
	s_lshl_b64 s[2:3], 1, s2
	v_max_f32_e32 v0, v0, v0
	v_max_f32_e64 v1, s4, s4
	s_andn2_b64 s[0:1], s[0:1], s[2:3]
	s_cmp_lg_u64 s[0:1], 0
	v_max_f32_e32 v0, v0, v1
	s_cbranch_scc1 .LBB12_162
; %bb.163:
	v_mbcnt_lo_u32_b32 v1, exec_lo, 0
	v_mbcnt_hi_u32_b32 v1, exec_hi, v1
	v_cmp_eq_u32_e32 vcc, 0, v1
	s_and_saveexec_b64 s[0:1], vcc
	s_xor_b64 s[0:1], exec, s[0:1]
	s_cbranch_execz .LBB12_166
; %bb.164:
	v_mov_b32_e32 v2, 0
	s_waitcnt lgkmcnt(0)
	global_load_dword v1, v2, s[10:11]
	s_mov_b64 s[0:1], 0
	v_max_f32_e32 v3, v0, v0
.LBB12_165:                             ; =>This Inner Loop Header: Depth=1
	s_waitcnt vmcnt(0)
	v_max_f32_e32 v0, v1, v1
	v_max_f32_e32 v0, v0, v3
	global_atomic_cmpswap v0, v2, v[0:1], s[10:11] glc
	s_waitcnt vmcnt(0)
	v_cmp_eq_u32_e32 vcc, v0, v1
	s_or_b64 s[0:1], vcc, s[0:1]
	v_mov_b32_e32 v1, v0
	s_andn2_b64 exec, exec, s[0:1]
	s_cbranch_execnz .LBB12_165
.LBB12_166:
	s_endpgm
	.section	.rodata,"a",@progbits
	.p2align	6, 0x0
	.amdhsa_kernel _ZN9rocsparseL6kernelILi1024ELi32EfiiEEvbbbT3_PS1_NS_15floating_traitsIT1_E6data_tES1_T2_PKS7_S9_PKS1_PKS4_21rocsparse_index_base_S9_S9_SB_PS4_SF_SE_S9_S9_SB_SF_SF_SE_SF_SF_PS6_SG_PKS6_
		.amdhsa_group_segment_fixed_size 256
		.amdhsa_private_segment_fixed_size 0
		.amdhsa_kernarg_size 208
		.amdhsa_user_sgpr_count 6
		.amdhsa_user_sgpr_private_segment_buffer 1
		.amdhsa_user_sgpr_dispatch_ptr 0
		.amdhsa_user_sgpr_queue_ptr 0
		.amdhsa_user_sgpr_kernarg_segment_ptr 1
		.amdhsa_user_sgpr_dispatch_id 0
		.amdhsa_user_sgpr_flat_scratch_init 0
		.amdhsa_user_sgpr_private_segment_size 0
		.amdhsa_uses_dynamic_stack 0
		.amdhsa_system_sgpr_private_segment_wavefront_offset 0
		.amdhsa_system_sgpr_workgroup_id_x 1
		.amdhsa_system_sgpr_workgroup_id_y 0
		.amdhsa_system_sgpr_workgroup_id_z 0
		.amdhsa_system_sgpr_workgroup_info 0
		.amdhsa_system_vgpr_workitem_id 0
		.amdhsa_next_free_vgpr 44
		.amdhsa_next_free_sgpr 96
		.amdhsa_reserve_vcc 1
		.amdhsa_reserve_flat_scratch 0
		.amdhsa_float_round_mode_32 0
		.amdhsa_float_round_mode_16_64 0
		.amdhsa_float_denorm_mode_32 3
		.amdhsa_float_denorm_mode_16_64 3
		.amdhsa_dx10_clamp 1
		.amdhsa_ieee_mode 1
		.amdhsa_fp16_overflow 0
		.amdhsa_exception_fp_ieee_invalid_op 0
		.amdhsa_exception_fp_denorm_src 0
		.amdhsa_exception_fp_ieee_div_zero 0
		.amdhsa_exception_fp_ieee_overflow 0
		.amdhsa_exception_fp_ieee_underflow 0
		.amdhsa_exception_fp_ieee_inexact 0
		.amdhsa_exception_int_div_zero 0
	.end_amdhsa_kernel
	.section	.text._ZN9rocsparseL6kernelILi1024ELi32EfiiEEvbbbT3_PS1_NS_15floating_traitsIT1_E6data_tES1_T2_PKS7_S9_PKS1_PKS4_21rocsparse_index_base_S9_S9_SB_PS4_SF_SE_S9_S9_SB_SF_SF_SE_SF_SF_PS6_SG_PKS6_,"axG",@progbits,_ZN9rocsparseL6kernelILi1024ELi32EfiiEEvbbbT3_PS1_NS_15floating_traitsIT1_E6data_tES1_T2_PKS7_S9_PKS1_PKS4_21rocsparse_index_base_S9_S9_SB_PS4_SF_SE_S9_S9_SB_SF_SF_SE_SF_SF_PS6_SG_PKS6_,comdat
.Lfunc_end12:
	.size	_ZN9rocsparseL6kernelILi1024ELi32EfiiEEvbbbT3_PS1_NS_15floating_traitsIT1_E6data_tES1_T2_PKS7_S9_PKS1_PKS4_21rocsparse_index_base_S9_S9_SB_PS4_SF_SE_S9_S9_SB_SF_SF_SE_SF_SF_PS6_SG_PKS6_, .Lfunc_end12-_ZN9rocsparseL6kernelILi1024ELi32EfiiEEvbbbT3_PS1_NS_15floating_traitsIT1_E6data_tES1_T2_PKS7_S9_PKS1_PKS4_21rocsparse_index_base_S9_S9_SB_PS4_SF_SE_S9_S9_SB_SF_SF_SE_SF_SF_PS6_SG_PKS6_
                                        ; -- End function
	.set _ZN9rocsparseL6kernelILi1024ELi32EfiiEEvbbbT3_PS1_NS_15floating_traitsIT1_E6data_tES1_T2_PKS7_S9_PKS1_PKS4_21rocsparse_index_base_S9_S9_SB_PS4_SF_SE_S9_S9_SB_SF_SF_SE_SF_SF_PS6_SG_PKS6_.num_vgpr, 44
	.set _ZN9rocsparseL6kernelILi1024ELi32EfiiEEvbbbT3_PS1_NS_15floating_traitsIT1_E6data_tES1_T2_PKS7_S9_PKS1_PKS4_21rocsparse_index_base_S9_S9_SB_PS4_SF_SE_S9_S9_SB_SF_SF_SE_SF_SF_PS6_SG_PKS6_.num_agpr, 0
	.set _ZN9rocsparseL6kernelILi1024ELi32EfiiEEvbbbT3_PS1_NS_15floating_traitsIT1_E6data_tES1_T2_PKS7_S9_PKS1_PKS4_21rocsparse_index_base_S9_S9_SB_PS4_SF_SE_S9_S9_SB_SF_SF_SE_SF_SF_PS6_SG_PKS6_.numbered_sgpr, 96
	.set _ZN9rocsparseL6kernelILi1024ELi32EfiiEEvbbbT3_PS1_NS_15floating_traitsIT1_E6data_tES1_T2_PKS7_S9_PKS1_PKS4_21rocsparse_index_base_S9_S9_SB_PS4_SF_SE_S9_S9_SB_SF_SF_SE_SF_SF_PS6_SG_PKS6_.num_named_barrier, 0
	.set _ZN9rocsparseL6kernelILi1024ELi32EfiiEEvbbbT3_PS1_NS_15floating_traitsIT1_E6data_tES1_T2_PKS7_S9_PKS1_PKS4_21rocsparse_index_base_S9_S9_SB_PS4_SF_SE_S9_S9_SB_SF_SF_SE_SF_SF_PS6_SG_PKS6_.private_seg_size, 0
	.set _ZN9rocsparseL6kernelILi1024ELi32EfiiEEvbbbT3_PS1_NS_15floating_traitsIT1_E6data_tES1_T2_PKS7_S9_PKS1_PKS4_21rocsparse_index_base_S9_S9_SB_PS4_SF_SE_S9_S9_SB_SF_SF_SE_SF_SF_PS6_SG_PKS6_.uses_vcc, 1
	.set _ZN9rocsparseL6kernelILi1024ELi32EfiiEEvbbbT3_PS1_NS_15floating_traitsIT1_E6data_tES1_T2_PKS7_S9_PKS1_PKS4_21rocsparse_index_base_S9_S9_SB_PS4_SF_SE_S9_S9_SB_SF_SF_SE_SF_SF_PS6_SG_PKS6_.uses_flat_scratch, 0
	.set _ZN9rocsparseL6kernelILi1024ELi32EfiiEEvbbbT3_PS1_NS_15floating_traitsIT1_E6data_tES1_T2_PKS7_S9_PKS1_PKS4_21rocsparse_index_base_S9_S9_SB_PS4_SF_SE_S9_S9_SB_SF_SF_SE_SF_SF_PS6_SG_PKS6_.has_dyn_sized_stack, 0
	.set _ZN9rocsparseL6kernelILi1024ELi32EfiiEEvbbbT3_PS1_NS_15floating_traitsIT1_E6data_tES1_T2_PKS7_S9_PKS1_PKS4_21rocsparse_index_base_S9_S9_SB_PS4_SF_SE_S9_S9_SB_SF_SF_SE_SF_SF_PS6_SG_PKS6_.has_recursion, 0
	.set _ZN9rocsparseL6kernelILi1024ELi32EfiiEEvbbbT3_PS1_NS_15floating_traitsIT1_E6data_tES1_T2_PKS7_S9_PKS1_PKS4_21rocsparse_index_base_S9_S9_SB_PS4_SF_SE_S9_S9_SB_SF_SF_SE_SF_SF_PS6_SG_PKS6_.has_indirect_call, 0
	.section	.AMDGPU.csdata,"",@progbits
; Kernel info:
; codeLenInByte = 5120
; TotalNumSgprs: 100
; NumVgprs: 44
; ScratchSize: 0
; MemoryBound: 0
; FloatMode: 240
; IeeeMode: 1
; LDSByteSize: 256 bytes/workgroup (compile time only)
; SGPRBlocks: 12
; VGPRBlocks: 10
; NumSGPRsForWavesPerEU: 100
; NumVGPRsForWavesPerEU: 44
; Occupancy: 5
; WaveLimiterHint : 1
; COMPUTE_PGM_RSRC2:SCRATCH_EN: 0
; COMPUTE_PGM_RSRC2:USER_SGPR: 6
; COMPUTE_PGM_RSRC2:TRAP_HANDLER: 0
; COMPUTE_PGM_RSRC2:TGID_X_EN: 1
; COMPUTE_PGM_RSRC2:TGID_Y_EN: 0
; COMPUTE_PGM_RSRC2:TGID_Z_EN: 0
; COMPUTE_PGM_RSRC2:TIDIG_COMP_CNT: 0
	.section	.text._ZN9rocsparseL6kernelILi1024ELi64EfiiEEvbbbT3_PS1_NS_15floating_traitsIT1_E6data_tES1_T2_PKS7_S9_PKS1_PKS4_21rocsparse_index_base_S9_S9_SB_PS4_SF_SE_S9_S9_SB_SF_SF_SE_SF_SF_PS6_SG_PKS6_,"axG",@progbits,_ZN9rocsparseL6kernelILi1024ELi64EfiiEEvbbbT3_PS1_NS_15floating_traitsIT1_E6data_tES1_T2_PKS7_S9_PKS1_PKS4_21rocsparse_index_base_S9_S9_SB_PS4_SF_SE_S9_S9_SB_SF_SF_SE_SF_SF_PS6_SG_PKS6_,comdat
	.globl	_ZN9rocsparseL6kernelILi1024ELi64EfiiEEvbbbT3_PS1_NS_15floating_traitsIT1_E6data_tES1_T2_PKS7_S9_PKS1_PKS4_21rocsparse_index_base_S9_S9_SB_PS4_SF_SE_S9_S9_SB_SF_SF_SE_SF_SF_PS6_SG_PKS6_ ; -- Begin function _ZN9rocsparseL6kernelILi1024ELi64EfiiEEvbbbT3_PS1_NS_15floating_traitsIT1_E6data_tES1_T2_PKS7_S9_PKS1_PKS4_21rocsparse_index_base_S9_S9_SB_PS4_SF_SE_S9_S9_SB_SF_SF_SE_SF_SF_PS6_SG_PKS6_
	.p2align	8
	.type	_ZN9rocsparseL6kernelILi1024ELi64EfiiEEvbbbT3_PS1_NS_15floating_traitsIT1_E6data_tES1_T2_PKS7_S9_PKS1_PKS4_21rocsparse_index_base_S9_S9_SB_PS4_SF_SE_S9_S9_SB_SF_SF_SE_SF_SF_PS6_SG_PKS6_,@function
_ZN9rocsparseL6kernelILi1024ELi64EfiiEEvbbbT3_PS1_NS_15floating_traitsIT1_E6data_tES1_T2_PKS7_S9_PKS1_PKS4_21rocsparse_index_base_S9_S9_SB_PS4_SF_SE_S9_S9_SB_SF_SF_SE_SF_SF_PS6_SG_PKS6_: ; @_ZN9rocsparseL6kernelILi1024ELi64EfiiEEvbbbT3_PS1_NS_15floating_traitsIT1_E6data_tES1_T2_PKS7_S9_PKS1_PKS4_21rocsparse_index_base_S9_S9_SB_PS4_SF_SE_S9_S9_SB_SF_SF_SE_SF_SF_PS6_SG_PKS6_
; %bb.0:
	s_load_dword s0, s[4:5], 0x0
	s_load_dwordx2 s[2:3], s[4:5], 0x0
	s_load_dwordx2 s[62:63], s[4:5], 0x10
	s_load_dwordx4 s[8:11], s[4:5], 0xb8
	v_lshrrev_b32_e32 v21, 6, v0
	s_waitcnt lgkmcnt(0)
	s_bitcmp1_b32 s0, 0
	s_cselect_b64 s[58:59], -1, 0
	s_bitcmp1_b32 s0, 8
	s_cselect_b64 s[56:57], -1, 0
	;; [unrolled: 2-line block ×3, first 2 shown]
	s_lshl_b32 s61, s6, 10
	v_or_b32_e32 v23, s61, v21
	s_cmp_gt_i32 s3, 0
	v_cmp_gt_i32_e32 vcc, s63, v23
	s_cselect_b64 s[0:1], -1, 0
	v_and_b32_e32 v22, 63, v0
	v_lshlrev_b32_e32 v19, 2, v0
	s_mov_b32 s33, 0
	v_mov_b32_e32 v20, 0
	s_and_b64 s[0:1], s[0:1], vcc
	v_mov_b32_e32 v24, 0
	v_mov_b32_e32 v1, 0
	ds_write_b32 v19, v20
	s_waitcnt lgkmcnt(0)
	s_barrier
	s_and_saveexec_b64 s[2:3], s[0:1]
	s_cbranch_execnz .LBB13_3
; %bb.1:
	s_or_b64 exec, exec, s[2:3]
	s_andn2_b64 vcc, exec, s[58:59]
	s_cbranch_vccz .LBB13_134
.LBB13_2:
	v_cmp_eq_u32_e32 vcc, 0, v0
	s_and_b64 s[0:1], vcc, s[56:57]
	s_and_saveexec_b64 s[2:3], s[0:1]
	s_cbranch_execnz .LBB13_148
	s_branch .LBB13_154
.LBB13_3:
                                        ; implicit-def: $vgpr43 : SGPR spill to VGPR lane
	s_load_dwordx4 s[52:55], s[4:5], 0xa8
	s_load_dwordx8 s[20:27], s[4:5], 0x78
	s_load_dwordx8 s[36:43], s[4:5], 0x48
	s_load_dword s60, s[4:5], 0x40
	s_load_dwordx2 s[70:71], s[4:5], 0x68
	s_load_dword s74, s[4:5], 0x70
	s_load_dwordx2 s[72:73], s[4:5], 0x98
	s_load_dword s75, s[4:5], 0xa0
	v_writelane_b32 v43, s2, 0
	s_load_dwordx8 s[44:51], s[4:5], 0x20
	v_writelane_b32 v43, s3, 1
	s_xor_b64 s[0:1], s[56:57], -1
	v_writelane_b32 v43, s0, 2
	s_and_b64 s[16:17], s[56:57], s[34:35]
	v_writelane_b32 v43, s1, 3
	s_addk_i32 s61, 0x400
	s_xor_b64 s[16:17], s[16:17], -1
	s_waitcnt lgkmcnt(0)
	v_subrev_u32_e32 v25, s60, v22
	v_cmp_gt_u32_e64 s[0:1], s61, v23
	v_cmp_eq_u32_e64 s[2:3], 63, v22
	v_lshlrev_b32_e32 v26, 2, v21
	v_cmp_gt_u32_e64 s[6:7], 8, v0
	v_cmp_gt_u32_e64 s[8:9], 4, v0
	;; [unrolled: 1-line block ×3, first 2 shown]
	v_cmp_eq_u32_e64 s[12:13], 0, v0
	v_subrev_u32_e32 v27, s74, v22
	v_subrev_u32_e32 v28, s75, v22
	v_cmp_eq_u32_e64 s[14:15], 0, v22
	v_writelane_b32 v43, s16, 4
	v_mov_b32_e32 v2, 0
	s_mov_b64 s[76:77], 0
	s_movk_i32 s28, 0x1f8
	v_mov_b32_e32 v24, 0
	v_mov_b32_e32 v20, 0
	v_writelane_b32 v43, s17, 5
	s_branch .LBB13_5
.LBB13_4:                               ;   in Loop: Header=BB13_5 Depth=1
	s_or_b64 exec, exec, s[16:17]
	s_and_b64 s[16:17], exec, s[18:19]
	s_or_b64 s[76:77], s[16:17], s[76:77]
	s_andn2_b64 exec, exec, s[76:77]
	s_cbranch_execz .LBB13_133
.LBB13_5:                               ; =>This Loop Header: Depth=1
                                        ;     Child Loop BB13_9 Depth 2
                                        ;       Child Loop BB13_14 Depth 3
                                        ;         Child Loop BB13_18 Depth 4
                                        ;         Child Loop BB13_39 Depth 4
                                        ;         Child Loop BB13_53 Depth 4
                                        ;         Child Loop BB13_72 Depth 4
                                        ;         Child Loop BB13_80 Depth 4
                                        ;     Child Loop BB13_112 Depth 2
                                        ;       Child Loop BB13_115 Depth 3
                                        ;       Child Loop BB13_118 Depth 3
	v_cndmask_b32_e64 v24, v24, 0, s[56:57]
	v_cndmask_b32_e64 v20, v20, 0, s[34:35]
	s_mov_b32 s29, 0
	s_branch .LBB13_9
.LBB13_6:                               ;   in Loop: Header=BB13_9 Depth=2
	s_or_b64 exec, exec, s[82:83]
.LBB13_7:                               ;   in Loop: Header=BB13_9 Depth=2
	s_or_b64 exec, exec, s[80:81]
.LBB13_8:                               ;   in Loop: Header=BB13_9 Depth=2
	s_or_b64 exec, exec, s[78:79]
	s_add_i32 s29, s29, 1
	s_cmp_eq_u32 s29, 64
	s_cbranch_scc1 .LBB13_85
.LBB13_9:                               ;   Parent Loop BB13_5 Depth=1
                                        ; =>  This Loop Header: Depth=2
                                        ;       Child Loop BB13_14 Depth 3
                                        ;         Child Loop BB13_18 Depth 4
                                        ;         Child Loop BB13_39 Depth 4
	;; [unrolled: 1-line block ×5, first 2 shown]
	v_lshl_add_u32 v3, s29, 4, v23
	v_cmp_gt_i32_e32 vcc, s63, v3
	s_and_saveexec_b64 s[78:79], vcc
	s_cbranch_execz .LBB13_8
; %bb.10:                               ;   in Loop: Header=BB13_9 Depth=2
	v_ashrrev_i32_e32 v4, 31, v3
	v_lshlrev_b64 v[5:6], 2, v[3:4]
	v_mov_b32_e32 v1, s45
	v_add_co_u32_e32 v7, vcc, s44, v5
	v_addc_co_u32_e32 v8, vcc, v1, v6, vcc
	global_load_dword v1, v[7:8], off
	v_mov_b32_e32 v4, s47
	v_add_co_u32_e32 v7, vcc, s46, v5
	v_addc_co_u32_e32 v8, vcc, v4, v6, vcc
	global_load_dword v7, v[7:8], off
	s_waitcnt vmcnt(1)
	v_add_u32_e32 v4, v25, v1
	s_waitcnt vmcnt(0)
	v_subrev_u32_e32 v29, s60, v7
	v_cmp_lt_i32_e32 vcc, v4, v29
	s_and_saveexec_b64 s[80:81], vcc
	s_cbranch_execz .LBB13_7
; %bb.11:                               ;   in Loop: Header=BB13_9 Depth=2
	v_mov_b32_e32 v1, s39
	v_add_co_u32_e32 v7, vcc, s38, v5
	v_addc_co_u32_e32 v8, vcc, v1, v6, vcc
	v_mov_b32_e32 v1, s37
	v_add_co_u32_e32 v5, vcc, s36, v5
	v_addc_co_u32_e32 v6, vcc, v1, v6, vcc
	global_load_dword v1, v[5:6], off
	s_nop 0
	global_load_dword v5, v[7:8], off
	v_mov_b32_e32 v9, s41
	v_mov_b32_e32 v10, s43
	s_mov_b64 s[82:83], 0
	s_waitcnt vmcnt(1)
	v_subrev_u32_e32 v6, s74, v1
	v_ashrrev_i32_e32 v7, 31, v6
	v_lshlrev_b64 v[7:8], 2, v[6:7]
	s_waitcnt vmcnt(0)
	v_sub_u32_e32 v30, v5, v1
	v_add_co_u32_e32 v31, vcc, s40, v7
	v_addc_co_u32_e32 v32, vcc, v9, v8, vcc
	v_add_co_u32_e32 v33, vcc, s42, v7
	v_cmp_lt_i32_e64 s[16:17], 0, v30
	v_addc_co_u32_e32 v34, vcc, v10, v8, vcc
	s_branch .LBB13_14
.LBB13_12:                              ;   in Loop: Header=BB13_14 Depth=3
	s_or_b64 exec, exec, s[64:65]
.LBB13_13:                              ;   in Loop: Header=BB13_14 Depth=3
	s_or_b64 exec, exec, s[18:19]
	v_add_u32_e32 v4, 64, v4
	v_cmp_ge_i32_e32 vcc, v4, v29
	s_or_b64 s[82:83], vcc, s[82:83]
	s_andn2_b64 exec, exec, s[82:83]
	s_cbranch_execz .LBB13_6
.LBB13_14:                              ;   Parent Loop BB13_5 Depth=1
                                        ;     Parent Loop BB13_9 Depth=2
                                        ; =>    This Loop Header: Depth=3
                                        ;         Child Loop BB13_18 Depth 4
                                        ;         Child Loop BB13_39 Depth 4
                                        ;         Child Loop BB13_53 Depth 4
                                        ;         Child Loop BB13_72 Depth 4
                                        ;         Child Loop BB13_80 Depth 4
	v_ashrrev_i32_e32 v5, 31, v4
	v_lshlrev_b64 v[13:14], 2, v[4:5]
	v_mov_b32_e32 v1, s49
	v_add_co_u32_e32 v7, vcc, s48, v13
	v_addc_co_u32_e32 v8, vcc, v1, v14, vcc
	global_load_dword v1, v[7:8], off
	v_mov_b32_e32 v5, s21
	v_mov_b32_e32 v12, s23
	s_waitcnt vmcnt(0)
	v_subrev_u32_e32 v9, s60, v1
	v_ashrrev_i32_e32 v10, 31, v9
	v_lshlrev_b64 v[7:8], 2, v[9:10]
	v_add_co_u32_e32 v10, vcc, s20, v7
	v_addc_co_u32_e32 v11, vcc, v5, v8, vcc
	v_add_co_u32_e32 v15, vcc, s22, v7
	v_addc_co_u32_e32 v16, vcc, v12, v8, vcc
	global_load_dword v1, v[10:11], off
	global_load_dword v12, v[15:16], off
	v_mov_b32_e32 v11, 0
	v_mov_b32_e32 v5, 0
	s_waitcnt vmcnt(1)
	v_subrev_u32_e32 v10, s75, v1
	s_waitcnt vmcnt(0)
	v_sub_u32_e32 v35, v12, v1
	v_mov_b32_e32 v1, v11
	s_and_saveexec_b64 s[18:19], s[16:17]
	s_cbranch_execz .LBB13_22
; %bb.15:                               ;   in Loop: Header=BB13_14 Depth=3
	v_ashrrev_i32_e32 v11, 31, v10
	v_lshlrev_b64 v[11:12], 2, v[10:11]
	v_mov_b32_e32 v1, s25
	v_add_co_u32_e32 v36, vcc, s24, v11
	v_addc_co_u32_e32 v37, vcc, v1, v12, vcc
	v_mov_b32_e32 v1, s27
	v_add_co_u32_e32 v38, vcc, s26, v11
	v_addc_co_u32_e32 v39, vcc, v1, v12, vcc
	v_mov_b32_e32 v1, 0
	v_mov_b32_e32 v5, 0
	s_mov_b64 s[84:85], 0
	v_mov_b32_e32 v11, v1
                                        ; implicit-def: $sgpr86_sgpr87
	s_branch .LBB13_18
.LBB13_16:                              ;   in Loop: Header=BB13_18 Depth=4
	s_or_b64 exec, exec, s[68:69]
	v_cmp_le_i32_e32 vcc, v12, v40
	v_addc_co_u32_e32 v1, vcc, 0, v1, vcc
	v_cmp_ge_i32_e32 vcc, v12, v40
	v_addc_co_u32_e32 v11, vcc, 0, v11, vcc
	v_cmp_ge_i32_e32 vcc, v1, v30
	s_andn2_b64 s[30:31], s[86:87], exec
	s_and_b64 s[66:67], vcc, exec
	s_or_b64 s[86:87], s[30:31], s[66:67]
.LBB13_17:                              ;   in Loop: Header=BB13_18 Depth=4
	s_or_b64 exec, exec, s[64:65]
	s_and_b64 s[30:31], exec, s[86:87]
	s_or_b64 s[84:85], s[30:31], s[84:85]
	s_andn2_b64 exec, exec, s[84:85]
	s_cbranch_execz .LBB13_21
.LBB13_18:                              ;   Parent Loop BB13_5 Depth=1
                                        ;     Parent Loop BB13_9 Depth=2
                                        ;       Parent Loop BB13_14 Depth=3
                                        ; =>      This Inner Loop Header: Depth=4
	v_cmp_lt_i32_e32 vcc, v11, v35
	s_or_b64 s[86:87], s[86:87], exec
	s_and_saveexec_b64 s[64:65], vcc
	s_cbranch_execz .LBB13_17
; %bb.19:                               ;   in Loop: Header=BB13_18 Depth=4
	v_lshlrev_b64 v[15:16], 2, v[1:2]
	v_mov_b32_e32 v12, v2
	v_add_co_u32_e32 v17, vcc, v31, v15
	v_addc_co_u32_e32 v18, vcc, v32, v16, vcc
	global_load_dword v42, v[17:18], off
	v_lshlrev_b64 v[17:18], 2, v[11:12]
	v_add_co_u32_e32 v40, vcc, v36, v17
	v_addc_co_u32_e32 v41, vcc, v37, v18, vcc
	global_load_dword v40, v[40:41], off
	s_waitcnt vmcnt(1)
	v_subrev_u32_e32 v12, s74, v42
	s_waitcnt vmcnt(0)
	v_subrev_u32_e32 v40, s75, v40
	v_cmp_eq_u32_e32 vcc, v12, v40
	s_and_saveexec_b64 s[68:69], vcc
	s_cbranch_execz .LBB13_16
; %bb.20:                               ;   in Loop: Header=BB13_18 Depth=4
	v_add_co_u32_e32 v15, vcc, v33, v15
	v_addc_co_u32_e32 v16, vcc, v34, v16, vcc
	v_add_co_u32_e32 v17, vcc, v38, v17
	v_addc_co_u32_e32 v18, vcc, v39, v18, vcc
	global_load_dword v15, v[15:16], off
	s_nop 0
	global_load_dword v16, v[17:18], off
	s_waitcnt vmcnt(0)
	v_fmac_f32_e32 v5, v15, v16
	s_branch .LBB13_16
.LBB13_21:                              ;   in Loop: Header=BB13_14 Depth=3
	s_or_b64 exec, exec, s[84:85]
.LBB13_22:                              ;   in Loop: Header=BB13_14 Depth=3
	s_or_b64 exec, exec, s[18:19]
	v_mov_b32_e32 v15, s51
	v_add_co_u32_e32 v12, vcc, s50, v13
	v_addc_co_u32_e32 v13, vcc, v15, v14, vcc
	global_load_dword v14, v[12:13], off
	v_cmp_le_i32_e64 s[18:19], v3, v9
	v_cmp_gt_i32_e32 vcc, v3, v9
	s_waitcnt vmcnt(0)
	v_sub_f32_e32 v15, v14, v5
	s_and_saveexec_b64 s[64:65], vcc
	s_cbranch_execnz .LBB13_25
; %bb.23:                               ;   in Loop: Header=BB13_14 Depth=3
	s_or_b64 exec, exec, s[64:65]
	v_cmp_class_f32_e64 s[84:85], v15, s28
	s_and_saveexec_b64 s[86:87], s[84:85]
	s_cbranch_execnz .LBB13_28
.LBB13_24:                              ;   in Loop: Header=BB13_14 Depth=3
	s_or_b64 exec, exec, s[86:87]
	s_and_b64 s[30:31], s[34:35], s[84:85]
	s_and_saveexec_b64 s[18:19], s[30:31]
	s_cbranch_execz .LBB13_13
	s_branch .LBB13_63
.LBB13_25:                              ;   in Loop: Header=BB13_14 Depth=3
	v_mov_b32_e32 v13, s53
	v_add_co_u32_e32 v12, vcc, s52, v7
	v_addc_co_u32_e32 v13, vcc, v13, v8, vcc
	global_load_dword v12, v[12:13], off
	v_mov_b32_e32 v13, 0
	s_waitcnt vmcnt(0)
	v_cmp_lg_f32_e32 vcc, 0, v12
	s_and_saveexec_b64 s[68:69], vcc
	s_cbranch_execz .LBB13_27
; %bb.26:                               ;   in Loop: Header=BB13_14 Depth=3
	v_div_scale_f32 v13, s[30:31], v12, v12, v15
	v_div_scale_f32 v16, vcc, v15, v12, v15
	v_rcp_f32_e32 v17, v13
	v_fma_f32 v18, -v13, v17, 1.0
	v_fmac_f32_e32 v17, v18, v17
	v_mul_f32_e32 v18, v16, v17
	v_fma_f32 v36, -v13, v18, v16
	v_fmac_f32_e32 v18, v36, v17
	v_fma_f32 v13, -v13, v18, v16
	v_div_fmas_f32 v13, v13, v17, v18
	v_div_fixup_f32 v13, v13, v12, v15
.LBB13_27:                              ;   in Loop: Header=BB13_14 Depth=3
	s_or_b64 exec, exec, s[68:69]
	v_mov_b32_e32 v15, v13
	s_or_b64 exec, exec, s[64:65]
	v_cmp_class_f32_e64 s[84:85], v15, s28
	s_and_saveexec_b64 s[86:87], s[84:85]
	s_cbranch_execz .LBB13_24
.LBB13_28:                              ;   in Loop: Header=BB13_14 Depth=3
	s_and_saveexec_b64 s[30:31], s[18:19]
	s_xor_b64 s[18:19], exec, s[30:31]
	s_cbranch_execz .LBB13_49
; %bb.29:                               ;   in Loop: Header=BB13_14 Depth=3
	v_cmp_ge_i32_e32 vcc, v3, v9
	s_and_saveexec_b64 s[30:31], vcc
	s_xor_b64 s[64:65], exec, s[30:31]
	s_cbranch_execz .LBB13_35
; %bb.30:                               ;   in Loop: Header=BB13_14 Depth=3
	v_mov_b32_e32 v13, s55
	v_add_co_u32_e32 v12, vcc, s54, v7
	v_addc_co_u32_e32 v13, vcc, v13, v8, vcc
	s_andn2_b64 vcc, exec, s[56:57]
	global_store_dword v[12:13], v15, off
	s_cbranch_vccnz .LBB13_34
; %bb.31:                               ;   in Loop: Header=BB13_14 Depth=3
	v_mov_b32_e32 v13, s53
	v_add_co_u32_e32 v12, vcc, s52, v7
	v_addc_co_u32_e32 v13, vcc, v13, v8, vcc
	global_load_dword v12, v[12:13], off
	s_waitcnt vmcnt(0)
	v_sub_f32_e32 v12, v12, v15
	v_cmp_class_f32_e64 s[30:31], v12, s28
	s_and_saveexec_b64 s[66:67], s[30:31]
; %bb.32:                               ;   in Loop: Header=BB13_14 Depth=3
	v_cmp_lt_f32_e64 s[30:31], v24, |v12|
	v_cndmask_b32_e64 v24, v24, |v12|, s[30:31]
; %bb.33:                               ;   in Loop: Header=BB13_14 Depth=3
	s_or_b64 exec, exec, s[66:67]
.LBB13_34:                              ;   in Loop: Header=BB13_14 Depth=3
                                        ; implicit-def: $vgpr15
.LBB13_35:                              ;   in Loop: Header=BB13_14 Depth=3
	s_andn2_saveexec_b64 s[88:89], s[64:65]
	s_cbranch_execz .LBB13_48
; %bb.36:                               ;   in Loop: Header=BB13_14 Depth=3
	v_cmp_lt_i32_e32 vcc, v11, v35
	s_and_saveexec_b64 s[90:91], vcc
	s_cbranch_execz .LBB13_47
; %bb.37:                               ;   in Loop: Header=BB13_14 Depth=3
	s_mov_b64 s[92:93], 0
	v_mov_b32_e32 v16, v11
                                        ; implicit-def: $sgpr94_sgpr95
                                        ; implicit-def: $sgpr68_sgpr69
                                        ; implicit-def: $sgpr64_sgpr65
	s_branch .LBB13_39
.LBB13_38:                              ;   in Loop: Header=BB13_39 Depth=4
	s_or_b64 exec, exec, s[66:67]
	s_and_b64 s[30:31], exec, s[68:69]
	s_or_b64 s[92:93], s[30:31], s[92:93]
	s_andn2_b64 s[30:31], s[94:95], exec
	s_and_b64 s[66:67], s[64:65], exec
	s_or_b64 s[94:95], s[30:31], s[66:67]
	s_andn2_b64 exec, exec, s[92:93]
	s_cbranch_execz .LBB13_41
.LBB13_39:                              ;   Parent Loop BB13_5 Depth=1
                                        ;     Parent Loop BB13_9 Depth=2
                                        ;       Parent Loop BB13_14 Depth=3
                                        ; =>      This Inner Loop Header: Depth=4
	v_add_u32_e32 v12, v10, v16
	v_ashrrev_i32_e32 v13, 31, v12
	v_lshlrev_b64 v[12:13], 2, v[12:13]
	v_mov_b32_e32 v18, s25
	v_add_co_u32_e32 v17, vcc, s24, v12
	v_addc_co_u32_e32 v18, vcc, v18, v13, vcc
	global_load_dword v17, v[17:18], off
	s_or_b64 s[64:65], s[64:65], exec
	s_or_b64 s[68:69], s[68:69], exec
	s_waitcnt vmcnt(0)
	v_subrev_u32_e32 v17, s75, v17
	v_cmp_ne_u32_e32 vcc, v17, v3
	s_and_saveexec_b64 s[66:67], vcc
	s_cbranch_execz .LBB13_38
; %bb.40:                               ;   in Loop: Header=BB13_39 Depth=4
	v_add_u32_e32 v16, 1, v16
	v_cmp_ge_i32_e32 vcc, v16, v35
	s_andn2_b64 s[30:31], s[68:69], exec
	s_and_b64 s[68:69], vcc, exec
	s_andn2_b64 s[64:65], s[64:65], exec
	s_or_b64 s[68:69], s[30:31], s[68:69]
	s_branch .LBB13_38
.LBB13_41:                              ;   in Loop: Header=BB13_14 Depth=3
	s_or_b64 exec, exec, s[92:93]
	s_and_saveexec_b64 s[30:31], s[94:95]
	s_xor_b64 s[64:65], exec, s[30:31]
	s_cbranch_execz .LBB13_46
; %bb.42:                               ;   in Loop: Header=BB13_14 Depth=3
	v_mov_b32_e32 v17, s73
	v_add_co_u32_e32 v16, vcc, s72, v12
	v_addc_co_u32_e32 v17, vcc, v17, v13, vcc
	s_andn2_b64 vcc, exec, s[56:57]
	global_store_dword v[16:17], v15, off
	s_cbranch_vccnz .LBB13_46
; %bb.43:                               ;   in Loop: Header=BB13_14 Depth=3
	v_mov_b32_e32 v16, s27
	v_add_co_u32_e32 v12, vcc, s26, v12
	v_addc_co_u32_e32 v13, vcc, v16, v13, vcc
	global_load_dword v12, v[12:13], off
	s_waitcnt vmcnt(0)
	v_sub_f32_e32 v12, v12, v15
	v_cmp_class_f32_e64 s[30:31], v12, s28
	s_and_saveexec_b64 s[66:67], s[30:31]
; %bb.44:                               ;   in Loop: Header=BB13_14 Depth=3
	v_cmp_lt_f32_e64 s[30:31], v24, |v12|
	v_cndmask_b32_e64 v24, v24, |v12|, s[30:31]
; %bb.45:                               ;   in Loop: Header=BB13_14 Depth=3
	s_or_b64 exec, exec, s[66:67]
.LBB13_46:                              ;   in Loop: Header=BB13_14 Depth=3
	s_or_b64 exec, exec, s[64:65]
.LBB13_47:                              ;   in Loop: Header=BB13_14 Depth=3
	s_or_b64 exec, exec, s[90:91]
.LBB13_48:                              ;   in Loop: Header=BB13_14 Depth=3
	s_or_b64 exec, exec, s[88:89]
                                        ; implicit-def: $vgpr15
.LBB13_49:                              ;   in Loop: Header=BB13_14 Depth=3
	s_andn2_saveexec_b64 s[18:19], s[18:19]
	s_cbranch_execz .LBB13_62
; %bb.50:                               ;   in Loop: Header=BB13_14 Depth=3
	v_cmp_lt_i32_e32 vcc, v1, v30
	s_and_saveexec_b64 s[88:89], vcc
	s_cbranch_execz .LBB13_61
; %bb.51:                               ;   in Loop: Header=BB13_14 Depth=3
	s_mov_b64 s[90:91], 0
	v_mov_b32_e32 v16, v1
                                        ; implicit-def: $sgpr92_sgpr93
                                        ; implicit-def: $sgpr68_sgpr69
                                        ; implicit-def: $sgpr64_sgpr65
	s_branch .LBB13_53
.LBB13_52:                              ;   in Loop: Header=BB13_53 Depth=4
	s_or_b64 exec, exec, s[94:95]
	s_and_b64 s[30:31], exec, s[68:69]
	s_or_b64 s[90:91], s[30:31], s[90:91]
	s_andn2_b64 s[30:31], s[92:93], exec
	s_and_b64 s[66:67], s[64:65], exec
	s_or_b64 s[92:93], s[30:31], s[66:67]
	s_andn2_b64 exec, exec, s[90:91]
	s_cbranch_execz .LBB13_55
.LBB13_53:                              ;   Parent Loop BB13_5 Depth=1
                                        ;     Parent Loop BB13_9 Depth=2
                                        ;       Parent Loop BB13_14 Depth=3
                                        ; =>      This Inner Loop Header: Depth=4
	v_add_u32_e32 v12, v6, v16
	v_ashrrev_i32_e32 v13, 31, v12
	v_lshlrev_b64 v[12:13], 2, v[12:13]
	v_mov_b32_e32 v18, s41
	v_add_co_u32_e32 v17, vcc, s40, v12
	v_addc_co_u32_e32 v18, vcc, v18, v13, vcc
	global_load_dword v17, v[17:18], off
	s_or_b64 s[64:65], s[64:65], exec
	s_or_b64 s[68:69], s[68:69], exec
	s_waitcnt vmcnt(0)
	v_subrev_u32_e32 v17, s74, v17
	v_cmp_ne_u32_e32 vcc, v17, v9
	s_and_saveexec_b64 s[94:95], vcc
	s_cbranch_execz .LBB13_52
; %bb.54:                               ;   in Loop: Header=BB13_53 Depth=4
	v_add_u32_e32 v16, 1, v16
	v_cmp_ge_i32_e32 vcc, v16, v30
	s_andn2_b64 s[30:31], s[68:69], exec
	s_and_b64 s[66:67], vcc, exec
	s_andn2_b64 s[64:65], s[64:65], exec
	s_or_b64 s[68:69], s[30:31], s[66:67]
	s_branch .LBB13_52
.LBB13_55:                              ;   in Loop: Header=BB13_14 Depth=3
	s_or_b64 exec, exec, s[90:91]
	s_and_saveexec_b64 s[30:31], s[92:93]
	s_xor_b64 s[64:65], exec, s[30:31]
	s_cbranch_execz .LBB13_60
; %bb.56:                               ;   in Loop: Header=BB13_14 Depth=3
	v_mov_b32_e32 v17, s71
	v_add_co_u32_e32 v16, vcc, s70, v12
	v_addc_co_u32_e32 v17, vcc, v17, v13, vcc
	s_andn2_b64 vcc, exec, s[56:57]
	global_store_dword v[16:17], v15, off
	s_cbranch_vccnz .LBB13_60
; %bb.57:                               ;   in Loop: Header=BB13_14 Depth=3
	v_mov_b32_e32 v16, s43
	v_add_co_u32_e32 v12, vcc, s42, v12
	v_addc_co_u32_e32 v13, vcc, v16, v13, vcc
	global_load_dword v12, v[12:13], off
	s_waitcnt vmcnt(0)
	v_sub_f32_e32 v12, v12, v15
	v_cmp_class_f32_e64 s[30:31], v12, s28
	s_and_saveexec_b64 s[66:67], s[30:31]
; %bb.58:                               ;   in Loop: Header=BB13_14 Depth=3
	v_cmp_lt_f32_e64 s[30:31], v24, |v12|
	v_cndmask_b32_e64 v24, v24, |v12|, s[30:31]
; %bb.59:                               ;   in Loop: Header=BB13_14 Depth=3
	s_or_b64 exec, exec, s[66:67]
.LBB13_60:                              ;   in Loop: Header=BB13_14 Depth=3
	s_or_b64 exec, exec, s[64:65]
.LBB13_61:                              ;   in Loop: Header=BB13_14 Depth=3
	s_or_b64 exec, exec, s[88:89]
.LBB13_62:                              ;   in Loop: Header=BB13_14 Depth=3
	s_or_b64 exec, exec, s[18:19]
	s_or_b64 exec, exec, s[86:87]
	s_and_b64 s[30:31], s[34:35], s[84:85]
	s_and_saveexec_b64 s[18:19], s[30:31]
	s_cbranch_execz .LBB13_13
.LBB13_63:                              ;   in Loop: Header=BB13_14 Depth=3
	v_cmp_ge_i32_e32 vcc, v11, v35
	s_and_saveexec_b64 s[30:31], vcc
	s_xor_b64 s[84:85], exec, s[30:31]
	s_cbranch_execnz .LBB13_69
; %bb.64:                               ;   in Loop: Header=BB13_14 Depth=3
	s_andn2_saveexec_b64 s[84:85], s[84:85]
	s_cbranch_execnz .LBB13_78
.LBB13_65:                              ;   in Loop: Header=BB13_14 Depth=3
	s_or_b64 exec, exec, s[84:85]
	v_cmp_eq_u32_e32 vcc, v3, v9
	s_and_saveexec_b64 s[64:65], vcc
	s_cbranch_execz .LBB13_67
.LBB13_66:                              ;   in Loop: Header=BB13_14 Depth=3
	v_mov_b32_e32 v1, s53
	v_add_co_u32_e32 v7, vcc, s52, v7
	v_addc_co_u32_e32 v8, vcc, v1, v8, vcc
	global_load_dword v1, v[7:8], off
	s_waitcnt vmcnt(0)
	v_add_f32_e32 v5, v5, v1
.LBB13_67:                              ;   in Loop: Header=BB13_14 Depth=3
	s_or_b64 exec, exec, s[64:65]
	v_sub_f32_e32 v1, v14, v5
	v_cmp_class_f32_e64 s[30:31], v1, s28
	s_and_saveexec_b64 s[64:65], s[30:31]
	s_cbranch_execz .LBB13_12
; %bb.68:                               ;   in Loop: Header=BB13_14 Depth=3
	v_cmp_lt_f32_e64 s[30:31], v20, |v1|
	v_cndmask_b32_e64 v20, v20, |v1|, s[30:31]
	s_branch .LBB13_12
.LBB13_69:                              ;   in Loop: Header=BB13_14 Depth=3
	v_cmp_lt_i32_e32 vcc, v1, v30
	s_and_saveexec_b64 s[86:87], vcc
	s_cbranch_execz .LBB13_77
; %bb.70:                               ;   in Loop: Header=BB13_14 Depth=3
	s_mov_b64 s[88:89], 0
                                        ; implicit-def: $sgpr90_sgpr91
                                        ; implicit-def: $sgpr68_sgpr69
                                        ; implicit-def: $sgpr64_sgpr65
	s_branch .LBB13_72
.LBB13_71:                              ;   in Loop: Header=BB13_72 Depth=4
	s_or_b64 exec, exec, s[66:67]
	s_and_b64 s[30:31], exec, s[68:69]
	s_or_b64 s[88:89], s[30:31], s[88:89]
	s_andn2_b64 s[30:31], s[90:91], exec
	s_and_b64 s[66:67], s[64:65], exec
	s_or_b64 s[90:91], s[30:31], s[66:67]
	s_andn2_b64 exec, exec, s[88:89]
	s_cbranch_execz .LBB13_74
.LBB13_72:                              ;   Parent Loop BB13_5 Depth=1
                                        ;     Parent Loop BB13_9 Depth=2
                                        ;       Parent Loop BB13_14 Depth=3
                                        ; =>      This Inner Loop Header: Depth=4
	v_add_u32_e32 v10, v6, v1
	v_ashrrev_i32_e32 v11, 31, v10
	v_lshlrev_b64 v[10:11], 2, v[10:11]
	v_mov_b32_e32 v13, s41
	v_add_co_u32_e32 v12, vcc, s40, v10
	v_addc_co_u32_e32 v13, vcc, v13, v11, vcc
	global_load_dword v12, v[12:13], off
	s_or_b64 s[64:65], s[64:65], exec
	s_or_b64 s[68:69], s[68:69], exec
	s_waitcnt vmcnt(0)
	v_subrev_u32_e32 v12, s74, v12
	v_cmp_ne_u32_e32 vcc, v12, v9
	s_and_saveexec_b64 s[66:67], vcc
	s_cbranch_execz .LBB13_71
; %bb.73:                               ;   in Loop: Header=BB13_72 Depth=4
	v_add_u32_e32 v1, 1, v1
	v_cmp_ge_i32_e32 vcc, v1, v30
	s_andn2_b64 s[30:31], s[68:69], exec
	s_and_b64 s[68:69], vcc, exec
	s_andn2_b64 s[64:65], s[64:65], exec
	s_or_b64 s[68:69], s[30:31], s[68:69]
	s_branch .LBB13_71
.LBB13_74:                              ;   in Loop: Header=BB13_14 Depth=3
	s_or_b64 exec, exec, s[88:89]
	s_and_saveexec_b64 s[30:31], s[90:91]
	s_xor_b64 s[64:65], exec, s[30:31]
	s_cbranch_execz .LBB13_76
; %bb.75:                               ;   in Loop: Header=BB13_14 Depth=3
	v_mov_b32_e32 v1, s43
	v_add_co_u32_e32 v10, vcc, s42, v10
	v_addc_co_u32_e32 v11, vcc, v1, v11, vcc
	global_load_dword v1, v[10:11], off
	v_mov_b32_e32 v11, s53
	v_add_co_u32_e32 v10, vcc, s52, v7
	v_addc_co_u32_e32 v11, vcc, v11, v8, vcc
	global_load_dword v10, v[10:11], off
	s_waitcnt vmcnt(0)
	v_fmac_f32_e32 v5, v1, v10
.LBB13_76:                              ;   in Loop: Header=BB13_14 Depth=3
	s_or_b64 exec, exec, s[64:65]
.LBB13_77:                              ;   in Loop: Header=BB13_14 Depth=3
	s_or_b64 exec, exec, s[86:87]
                                        ; implicit-def: $vgpr11
                                        ; implicit-def: $vgpr10
                                        ; implicit-def: $vgpr35
	s_andn2_saveexec_b64 s[84:85], s[84:85]
	s_cbranch_execz .LBB13_65
.LBB13_78:                              ;   in Loop: Header=BB13_14 Depth=3
	s_mov_b64 s[86:87], 0
                                        ; implicit-def: $sgpr88_sgpr89
                                        ; implicit-def: $sgpr68_sgpr69
                                        ; implicit-def: $sgpr64_sgpr65
	s_branch .LBB13_80
.LBB13_79:                              ;   in Loop: Header=BB13_80 Depth=4
	s_or_b64 exec, exec, s[66:67]
	s_and_b64 s[30:31], exec, s[68:69]
	s_or_b64 s[86:87], s[30:31], s[86:87]
	s_andn2_b64 s[30:31], s[88:89], exec
	s_and_b64 s[66:67], s[64:65], exec
	s_or_b64 s[88:89], s[30:31], s[66:67]
	s_andn2_b64 exec, exec, s[86:87]
	s_cbranch_execz .LBB13_82
.LBB13_80:                              ;   Parent Loop BB13_5 Depth=1
                                        ;     Parent Loop BB13_9 Depth=2
                                        ;       Parent Loop BB13_14 Depth=3
                                        ; =>      This Inner Loop Header: Depth=4
	v_add_u32_e32 v12, v10, v11
	v_ashrrev_i32_e32 v13, 31, v12
	v_lshlrev_b64 v[12:13], 2, v[12:13]
	v_mov_b32_e32 v1, s25
	v_add_co_u32_e32 v15, vcc, s24, v12
	v_addc_co_u32_e32 v16, vcc, v1, v13, vcc
	global_load_dword v1, v[15:16], off
	s_or_b64 s[64:65], s[64:65], exec
	s_or_b64 s[68:69], s[68:69], exec
	s_waitcnt vmcnt(0)
	v_subrev_u32_e32 v1, s75, v1
	v_cmp_ne_u32_e32 vcc, v1, v3
	s_and_saveexec_b64 s[66:67], vcc
	s_cbranch_execz .LBB13_79
; %bb.81:                               ;   in Loop: Header=BB13_80 Depth=4
	v_add_u32_e32 v11, 1, v11
	v_cmp_ge_i32_e32 vcc, v11, v35
	s_andn2_b64 s[30:31], s[68:69], exec
	s_and_b64 s[68:69], vcc, exec
	s_andn2_b64 s[64:65], s[64:65], exec
	s_or_b64 s[68:69], s[30:31], s[68:69]
	s_branch .LBB13_79
.LBB13_82:                              ;   in Loop: Header=BB13_14 Depth=3
	s_or_b64 exec, exec, s[86:87]
	s_and_saveexec_b64 s[30:31], s[88:89]
	s_xor_b64 s[64:65], exec, s[30:31]
	s_cbranch_execz .LBB13_84
; %bb.83:                               ;   in Loop: Header=BB13_14 Depth=3
	v_mov_b32_e32 v1, s27
	v_add_co_u32_e32 v10, vcc, s26, v12
	v_addc_co_u32_e32 v11, vcc, v1, v13, vcc
	global_load_dword v1, v[10:11], off
	s_waitcnt vmcnt(0)
	v_add_f32_e32 v5, v5, v1
.LBB13_84:                              ;   in Loop: Header=BB13_14 Depth=3
	s_or_b64 exec, exec, s[64:65]
	s_or_b64 exec, exec, s[84:85]
	v_cmp_eq_u32_e32 vcc, v3, v9
	s_and_saveexec_b64 s[64:65], vcc
	s_cbranch_execnz .LBB13_66
	s_branch .LBB13_67
.LBB13_85:                              ;   in Loop: Header=BB13_5 Depth=1
	s_and_b64 vcc, exec, s[56:57]
	s_cbranch_vccnz .LBB13_88
; %bb.86:                               ;   in Loop: Header=BB13_5 Depth=1
	s_andn2_b64 vcc, exec, s[34:35]
	s_cbranch_vccz .LBB13_99
.LBB13_87:                              ;   in Loop: Header=BB13_5 Depth=1
	s_and_saveexec_b64 s[16:17], s[0:1]
	s_cbranch_execnz .LBB13_110
	s_branch .LBB13_121
.LBB13_88:                              ;   in Loop: Header=BB13_5 Depth=1
	v_mov_b32_dpp v1, v24 row_shr:1 row_mask:0xf bank_mask:0xf
	v_cmp_lt_f32_e32 vcc, v24, v1
	v_cndmask_b32_e32 v1, v24, v1, vcc
	s_nop 1
	v_mov_b32_dpp v3, v1 row_shr:2 row_mask:0xf bank_mask:0xf
	v_cmp_lt_f32_e32 vcc, v1, v3
	v_cndmask_b32_e32 v1, v1, v3, vcc
	s_nop 1
	;; [unrolled: 4-line block ×4, first 2 shown]
	v_mov_b32_dpp v3, v1 row_bcast:15 row_mask:0xa bank_mask:0xf
	v_cmp_lt_f32_e32 vcc, v1, v3
	v_cndmask_b32_e32 v1, v1, v3, vcc
	s_nop 1
	v_mov_b32_dpp v3, v1 row_bcast:31 row_mask:0xc bank_mask:0xf
	s_and_saveexec_b64 s[16:17], s[2:3]
; %bb.89:                               ;   in Loop: Header=BB13_5 Depth=1
	v_cmp_lt_f32_e32 vcc, v1, v3
	v_cndmask_b32_e32 v1, v1, v3, vcc
	ds_write_b32 v26, v1
; %bb.90:                               ;   in Loop: Header=BB13_5 Depth=1
	s_or_b64 exec, exec, s[16:17]
	s_waitcnt vmcnt(0) lgkmcnt(0)
	s_barrier
	s_and_saveexec_b64 s[16:17], s[6:7]
	s_cbranch_execz .LBB13_92
; %bb.91:                               ;   in Loop: Header=BB13_5 Depth=1
	ds_read2_b32 v[3:4], v19 offset1:8
	s_waitcnt lgkmcnt(0)
	v_cmp_lt_f32_e32 vcc, v3, v4
	v_cndmask_b32_e32 v1, v3, v4, vcc
	ds_write_b32 v19, v1
.LBB13_92:                              ;   in Loop: Header=BB13_5 Depth=1
	s_or_b64 exec, exec, s[16:17]
	s_waitcnt lgkmcnt(0)
	s_barrier
	s_and_saveexec_b64 s[16:17], s[8:9]
	s_cbranch_execz .LBB13_94
; %bb.93:                               ;   in Loop: Header=BB13_5 Depth=1
	ds_read2_b32 v[3:4], v19 offset1:4
	s_waitcnt lgkmcnt(0)
	v_cmp_lt_f32_e32 vcc, v3, v4
	v_cndmask_b32_e32 v1, v3, v4, vcc
	ds_write_b32 v19, v1
.LBB13_94:                              ;   in Loop: Header=BB13_5 Depth=1
	s_or_b64 exec, exec, s[16:17]
	s_waitcnt lgkmcnt(0)
	;; [unrolled: 12-line block ×3, first 2 shown]
	s_barrier
	s_and_saveexec_b64 s[16:17], s[12:13]
	s_cbranch_execz .LBB13_98
; %bb.97:                               ;   in Loop: Header=BB13_5 Depth=1
	ds_read_b64 v[3:4], v2
	s_waitcnt lgkmcnt(0)
	v_cmp_lt_f32_e32 vcc, v3, v4
	v_cndmask_b32_e32 v1, v3, v4, vcc
	ds_write_b32 v2, v1
.LBB13_98:                              ;   in Loop: Header=BB13_5 Depth=1
	s_or_b64 exec, exec, s[16:17]
	s_load_dwordx2 s[16:17], s[4:5], 0xc8
	s_waitcnt lgkmcnt(0)
	s_barrier
	ds_read_b32 v1, v2
	s_load_dword s18, s[16:17], 0x0
	s_waitcnt lgkmcnt(0)
	v_div_scale_f32 v3, s[16:17], s18, s18, v1
	v_div_scale_f32 v4, vcc, v1, s18, v1
	v_rcp_f32_e32 v5, v3
	v_fma_f32 v6, -v3, v5, 1.0
	v_fmac_f32_e32 v5, v6, v5
	v_mul_f32_e32 v6, v4, v5
	v_fma_f32 v7, -v3, v6, v4
	v_fmac_f32_e32 v6, v7, v5
	v_fma_f32 v3, -v3, v6, v4
	v_div_fmas_f32 v3, v3, v5, v6
	v_div_fixup_f32 v24, v3, s18, v1
	s_andn2_b64 vcc, exec, s[34:35]
	s_cbranch_vccnz .LBB13_87
.LBB13_99:                              ;   in Loop: Header=BB13_5 Depth=1
	v_mov_b32_dpp v1, v20 row_shr:1 row_mask:0xf bank_mask:0xf
	v_cmp_lt_f32_e32 vcc, v20, v1
	v_cndmask_b32_e32 v1, v20, v1, vcc
	s_nop 1
	v_mov_b32_dpp v3, v1 row_shr:2 row_mask:0xf bank_mask:0xf
	v_cmp_lt_f32_e32 vcc, v1, v3
	v_cndmask_b32_e32 v1, v1, v3, vcc
	s_nop 1
	;; [unrolled: 4-line block ×4, first 2 shown]
	v_mov_b32_dpp v3, v1 row_bcast:15 row_mask:0xa bank_mask:0xf
	v_cmp_lt_f32_e32 vcc, v1, v3
	v_cndmask_b32_e32 v1, v1, v3, vcc
	s_nop 1
	v_mov_b32_dpp v3, v1 row_bcast:31 row_mask:0xc bank_mask:0xf
	s_and_saveexec_b64 s[16:17], s[2:3]
; %bb.100:                              ;   in Loop: Header=BB13_5 Depth=1
	v_cmp_lt_f32_e32 vcc, v1, v3
	v_cndmask_b32_e32 v1, v1, v3, vcc
	ds_write_b32 v26, v1
; %bb.101:                              ;   in Loop: Header=BB13_5 Depth=1
	s_or_b64 exec, exec, s[16:17]
	s_waitcnt vmcnt(0) lgkmcnt(0)
	s_barrier
	s_and_saveexec_b64 s[16:17], s[6:7]
	s_cbranch_execz .LBB13_103
; %bb.102:                              ;   in Loop: Header=BB13_5 Depth=1
	ds_read2_b32 v[3:4], v19 offset1:8
	s_waitcnt lgkmcnt(0)
	v_cmp_lt_f32_e32 vcc, v3, v4
	v_cndmask_b32_e32 v1, v3, v4, vcc
	ds_write_b32 v19, v1
.LBB13_103:                             ;   in Loop: Header=BB13_5 Depth=1
	s_or_b64 exec, exec, s[16:17]
	s_waitcnt lgkmcnt(0)
	s_barrier
	s_and_saveexec_b64 s[16:17], s[8:9]
	s_cbranch_execz .LBB13_105
; %bb.104:                              ;   in Loop: Header=BB13_5 Depth=1
	ds_read2_b32 v[3:4], v19 offset1:4
	s_waitcnt lgkmcnt(0)
	v_cmp_lt_f32_e32 vcc, v3, v4
	v_cndmask_b32_e32 v1, v3, v4, vcc
	ds_write_b32 v19, v1
.LBB13_105:                             ;   in Loop: Header=BB13_5 Depth=1
	s_or_b64 exec, exec, s[16:17]
	s_waitcnt lgkmcnt(0)
	;; [unrolled: 12-line block ×3, first 2 shown]
	s_barrier
	s_and_saveexec_b64 s[16:17], s[12:13]
	s_cbranch_execz .LBB13_109
; %bb.108:                              ;   in Loop: Header=BB13_5 Depth=1
	ds_read_b64 v[3:4], v2
	s_waitcnt lgkmcnt(0)
	v_cmp_lt_f32_e32 vcc, v3, v4
	v_cndmask_b32_e32 v1, v3, v4, vcc
	ds_write_b32 v2, v1
.LBB13_109:                             ;   in Loop: Header=BB13_5 Depth=1
	s_or_b64 exec, exec, s[16:17]
	s_load_dwordx2 s[16:17], s[4:5], 0xc8
	s_waitcnt lgkmcnt(0)
	s_barrier
	ds_read_b32 v1, v2
	s_load_dword s18, s[16:17], 0x0
	s_waitcnt lgkmcnt(0)
	v_div_scale_f32 v3, s[16:17], s18, s18, v1
	v_div_scale_f32 v4, vcc, v1, s18, v1
	v_rcp_f32_e32 v5, v3
	v_fma_f32 v6, -v3, v5, 1.0
	v_fmac_f32_e32 v5, v6, v5
	v_mul_f32_e32 v6, v4, v5
	v_fma_f32 v7, -v3, v6, v4
	v_fmac_f32_e32 v6, v7, v5
	v_fma_f32 v3, -v3, v6, v4
	v_div_fmas_f32 v3, v3, v5, v6
	v_div_fixup_f32 v20, v3, s18, v1
	s_and_saveexec_b64 s[16:17], s[0:1]
	s_cbranch_execz .LBB13_121
.LBB13_110:                             ;   in Loop: Header=BB13_5 Depth=1
	s_mov_b64 s[18:19], 0
	v_mov_b32_e32 v3, v23
	s_branch .LBB13_112
.LBB13_111:                             ;   in Loop: Header=BB13_112 Depth=2
	s_or_b64 exec, exec, s[78:79]
	v_add_u32_e32 v3, 16, v3
	v_cmp_le_u32_e32 vcc, s61, v3
	s_or_b64 s[18:19], vcc, s[18:19]
	s_andn2_b64 exec, exec, s[18:19]
	s_cbranch_execz .LBB13_121
.LBB13_112:                             ;   Parent Loop BB13_5 Depth=1
                                        ; =>  This Loop Header: Depth=2
                                        ;       Child Loop BB13_115 Depth 3
                                        ;       Child Loop BB13_118 Depth 3
	v_cmp_gt_i32_e32 vcc, s63, v3
	s_and_saveexec_b64 s[78:79], vcc
	s_cbranch_execz .LBB13_111
; %bb.113:                              ;   in Loop: Header=BB13_112 Depth=2
	v_ashrrev_i32_e32 v4, 31, v3
	v_lshlrev_b64 v[4:5], 2, v[3:4]
	v_mov_b32_e32 v1, s37
	v_add_co_u32_e32 v6, vcc, s36, v4
	v_addc_co_u32_e32 v7, vcc, v1, v5, vcc
	global_load_dword v1, v[6:7], off
	v_mov_b32_e32 v7, s39
	v_add_co_u32_e32 v6, vcc, s38, v4
	v_addc_co_u32_e32 v7, vcc, v7, v5, vcc
	global_load_dword v7, v[6:7], off
	s_waitcnt vmcnt(1)
	v_add_u32_e32 v6, v27, v1
	s_waitcnt vmcnt(0)
	v_subrev_u32_e32 v1, s74, v7
	v_cmp_lt_i32_e32 vcc, v6, v1
	s_and_saveexec_b64 s[64:65], vcc
	s_cbranch_execz .LBB13_116
; %bb.114:                              ;   in Loop: Header=BB13_112 Depth=2
	v_ashrrev_i32_e32 v7, 31, v6
	v_lshlrev_b64 v[9:10], 2, v[6:7]
	v_mov_b32_e32 v8, s71
	v_add_co_u32_e32 v7, vcc, s70, v9
	v_addc_co_u32_e32 v8, vcc, v8, v10, vcc
	v_mov_b32_e32 v11, s43
	v_add_co_u32_e32 v9, vcc, s42, v9
	v_addc_co_u32_e32 v10, vcc, v11, v10, vcc
	s_mov_b64 s[68:69], 0
.LBB13_115:                             ;   Parent Loop BB13_5 Depth=1
                                        ;     Parent Loop BB13_112 Depth=2
                                        ; =>    This Inner Loop Header: Depth=3
	global_load_dword v11, v[7:8], off
	v_add_co_u32_e32 v7, vcc, 0x100, v7
	v_add_u32_e32 v6, 64, v6
	v_addc_co_u32_e32 v8, vcc, 0, v8, vcc
	v_cmp_ge_i32_e32 vcc, v6, v1
	s_or_b64 s[68:69], vcc, s[68:69]
	s_waitcnt vmcnt(0)
	global_store_dword v[9:10], v11, off
	v_add_co_u32_e32 v9, vcc, 0x100, v9
	v_addc_co_u32_e32 v10, vcc, 0, v10, vcc
	s_andn2_b64 exec, exec, s[68:69]
	s_cbranch_execnz .LBB13_115
.LBB13_116:                             ;   in Loop: Header=BB13_112 Depth=2
	s_or_b64 exec, exec, s[64:65]
	v_mov_b32_e32 v1, s21
	v_add_co_u32_e32 v6, vcc, s20, v4
	v_addc_co_u32_e32 v7, vcc, v1, v5, vcc
	global_load_dword v1, v[6:7], off
	v_mov_b32_e32 v7, s23
	v_add_co_u32_e32 v6, vcc, s22, v4
	v_addc_co_u32_e32 v7, vcc, v7, v5, vcc
	global_load_dword v7, v[6:7], off
	s_waitcnt vmcnt(1)
	v_add_u32_e32 v6, v28, v1
	s_waitcnt vmcnt(0)
	v_subrev_u32_e32 v1, s75, v7
	v_cmp_lt_i32_e32 vcc, v6, v1
	s_and_saveexec_b64 s[64:65], vcc
	s_cbranch_execz .LBB13_119
; %bb.117:                              ;   in Loop: Header=BB13_112 Depth=2
	v_ashrrev_i32_e32 v7, 31, v6
	v_lshlrev_b64 v[9:10], 2, v[6:7]
	v_mov_b32_e32 v8, s73
	v_add_co_u32_e32 v7, vcc, s72, v9
	v_addc_co_u32_e32 v8, vcc, v8, v10, vcc
	v_mov_b32_e32 v11, s27
	v_add_co_u32_e32 v9, vcc, s26, v9
	v_addc_co_u32_e32 v10, vcc, v11, v10, vcc
	s_mov_b64 s[68:69], 0
.LBB13_118:                             ;   Parent Loop BB13_5 Depth=1
                                        ;     Parent Loop BB13_112 Depth=2
                                        ; =>    This Inner Loop Header: Depth=3
	global_load_dword v11, v[7:8], off
	v_add_co_u32_e32 v7, vcc, 0x100, v7
	v_add_u32_e32 v6, 64, v6
	v_addc_co_u32_e32 v8, vcc, 0, v8, vcc
	v_cmp_ge_i32_e32 vcc, v6, v1
	s_or_b64 s[68:69], vcc, s[68:69]
	s_waitcnt vmcnt(0)
	global_store_dword v[9:10], v11, off
	v_add_co_u32_e32 v9, vcc, 0x100, v9
	v_addc_co_u32_e32 v10, vcc, 0, v10, vcc
	s_andn2_b64 exec, exec, s[68:69]
	s_cbranch_execnz .LBB13_118
.LBB13_119:                             ;   in Loop: Header=BB13_112 Depth=2
	s_or_b64 exec, exec, s[64:65]
	s_and_b64 exec, exec, s[14:15]
	s_cbranch_execz .LBB13_111
; %bb.120:                              ;   in Loop: Header=BB13_112 Depth=2
	v_mov_b32_e32 v1, s55
	v_add_co_u32_e32 v6, vcc, s54, v4
	v_addc_co_u32_e32 v7, vcc, v1, v5, vcc
	global_load_dword v1, v[6:7], off
	v_mov_b32_e32 v6, s53
	v_add_co_u32_e32 v4, vcc, s52, v4
	v_addc_co_u32_e32 v5, vcc, v6, v5, vcc
	s_waitcnt vmcnt(0)
	global_store_dword v[4:5], v1, off
	s_branch .LBB13_111
.LBB13_121:                             ;   in Loop: Header=BB13_5 Depth=1
	s_or_b64 exec, exec, s[16:17]
	s_mov_b64 s[18:19], -1
	s_and_b64 vcc, exec, s[58:59]
	s_mov_b64 s[64:65], -1
	s_cbranch_vccz .LBB13_131
; %bb.122:                              ;   in Loop: Header=BB13_5 Depth=1
	v_readlane_b32 s30, v43, 4
	v_readlane_b32 s31, v43, 5
	s_mov_b64 s[16:17], -1
	s_and_b64 vcc, exec, s[30:31]
                                        ; implicit-def: $sgpr64_sgpr65
	s_cbranch_vccz .LBB13_128
; %bb.123:                              ;   in Loop: Header=BB13_5 Depth=1
	v_readlane_b32 s30, v43, 2
	v_readlane_b32 s31, v43, 3
	s_and_b64 vcc, exec, s[30:31]
                                        ; implicit-def: $sgpr64_sgpr65
	s_cbranch_vccz .LBB13_125
; %bb.124:                              ;   in Loop: Header=BB13_5 Depth=1
	v_cmp_ge_f32_e64 s[64:65], s62, v20
	s_mov_b64 s[16:17], 0
.LBB13_125:                             ;   in Loop: Header=BB13_5 Depth=1
	s_andn2_b64 vcc, exec, s[16:17]
	s_cbranch_vccnz .LBB13_127
; %bb.126:                              ;   in Loop: Header=BB13_5 Depth=1
	v_cmp_ge_f32_e32 vcc, s62, v24
	s_andn2_b64 s[16:17], s[64:65], exec
	s_and_b64 s[30:31], vcc, exec
	s_or_b64 s[64:65], s[16:17], s[30:31]
.LBB13_127:                             ;   in Loop: Header=BB13_5 Depth=1
	s_mov_b64 s[16:17], 0
.LBB13_128:                             ;   in Loop: Header=BB13_5 Depth=1
	s_andn2_b64 vcc, exec, s[16:17]
	s_cbranch_vccnz .LBB13_130
; %bb.129:                              ;   in Loop: Header=BB13_5 Depth=1
	v_cmp_ge_f32_e32 vcc, s62, v24
	v_cmp_ge_f32_e64 s[16:17], s62, v20
	s_and_b64 s[16:17], vcc, s[16:17]
	s_andn2_b64 s[30:31], s[64:65], exec
	s_and_b64 s[16:17], s[16:17], exec
	s_or_b64 s[64:65], s[30:31], s[16:17]
.LBB13_130:                             ;   in Loop: Header=BB13_5 Depth=1
	s_xor_b64 s[64:65], s[64:65], -1
.LBB13_131:                             ;   in Loop: Header=BB13_5 Depth=1
	v_mov_b32_e32 v1, s33
	s_and_saveexec_b64 s[16:17], s[64:65]
	s_cbranch_execz .LBB13_4
; %bb.132:                              ;   in Loop: Header=BB13_5 Depth=1
	s_load_dwordx2 s[18:19], s[4:5], 0x0
	s_add_i32 s33, s33, 1
	s_waitcnt lgkmcnt(0)
	s_cmp_eq_u32 s33, s19
	s_mov_b32 s29, s19
	s_cselect_b64 s[18:19], -1, 0
	v_mov_b32_e32 v1, s29
	s_orn2_b64 s[18:19], s[18:19], exec
	s_branch .LBB13_4
.LBB13_133:
	s_or_b64 exec, exec, s[76:77]
	s_load_dwordx4 s[8:11], s[4:5], 0xb8
	v_readlane_b32 s2, v43, 0
	v_readlane_b32 s3, v43, 1
	s_or_b64 exec, exec, s[2:3]
	s_andn2_b64 vcc, exec, s[58:59]
	s_cbranch_vccnz .LBB13_2
.LBB13_134:
	v_mov_b32_dpp v2, v1 row_shr:1 row_mask:0xf bank_mask:0xf
	v_max_i32_e32 v1, v1, v2
	v_cmp_eq_u32_e32 vcc, 63, v22
	s_nop 0
	v_mov_b32_dpp v2, v1 row_shr:2 row_mask:0xf bank_mask:0xf
	v_max_i32_e32 v1, v1, v2
	s_nop 1
	v_mov_b32_dpp v2, v1 row_shr:4 row_mask:0xf bank_mask:0xe
	v_max_i32_e32 v1, v1, v2
	;; [unrolled: 3-line block ×3, first 2 shown]
	s_nop 1
	v_mov_b32_dpp v2, v1 row_bcast:15 row_mask:0xa bank_mask:0xf
	v_max_i32_e32 v1, v1, v2
	s_nop 1
	v_mov_b32_dpp v2, v1 row_bcast:31 row_mask:0xc bank_mask:0xf
	s_and_saveexec_b64 s[0:1], vcc
; %bb.135:
	v_lshlrev_b32_e32 v3, 2, v21
	v_max_i32_e32 v1, v1, v2
	ds_write_b32 v3, v1 offset:64
; %bb.136:
	s_or_b64 exec, exec, s[0:1]
	v_cmp_gt_u32_e32 vcc, 8, v0
	s_waitcnt vmcnt(0) lgkmcnt(0)
	s_barrier
	s_and_saveexec_b64 s[0:1], vcc
	s_cbranch_execz .LBB13_138
; %bb.137:
	ds_read2_b32 v[1:2], v19 offset0:16 offset1:24
	s_waitcnt lgkmcnt(0)
	v_max_i32_e32 v1, v1, v2
	ds_write_b32 v19, v1 offset:64
.LBB13_138:
	s_or_b64 exec, exec, s[0:1]
	v_cmp_gt_u32_e32 vcc, 4, v0
	s_waitcnt lgkmcnt(0)
	s_barrier
	s_and_saveexec_b64 s[0:1], vcc
	s_cbranch_execz .LBB13_140
; %bb.139:
	ds_read2_b32 v[1:2], v19 offset0:16 offset1:20
	s_waitcnt lgkmcnt(0)
	v_max_i32_e32 v1, v1, v2
	ds_write_b32 v19, v1 offset:64
.LBB13_140:
	s_or_b64 exec, exec, s[0:1]
	v_cmp_gt_u32_e32 vcc, 2, v0
	s_waitcnt lgkmcnt(0)
	s_barrier
	s_and_saveexec_b64 s[0:1], vcc
	s_cbranch_execz .LBB13_142
; %bb.141:
	ds_read2_b32 v[1:2], v19 offset0:16 offset1:18
	s_waitcnt lgkmcnt(0)
	v_max_i32_e32 v1, v1, v2
	ds_write_b32 v19, v1 offset:64
.LBB13_142:
	s_or_b64 exec, exec, s[0:1]
	v_cmp_eq_u32_e32 vcc, 0, v0
	s_waitcnt lgkmcnt(0)
	s_barrier
	s_and_saveexec_b64 s[0:1], vcc
	s_cbranch_execz .LBB13_144
; %bb.143:
	v_mov_b32_e32 v3, 0
	ds_read_b64 v[1:2], v3 offset:64
	s_waitcnt lgkmcnt(0)
	v_max_i32_e32 v1, v1, v2
	ds_write_b32 v3, v1 offset:64
.LBB13_144:
	s_or_b64 exec, exec, s[0:1]
	s_waitcnt lgkmcnt(0)
	s_barrier
	s_and_saveexec_b64 s[0:1], vcc
	s_cbranch_execz .LBB13_147
; %bb.145:
	v_mbcnt_lo_u32_b32 v1, exec_lo, 0
	v_mbcnt_hi_u32_b32 v1, exec_hi, v1
	v_cmp_eq_u32_e32 vcc, 0, v1
	s_and_b64 exec, exec, vcc
	s_cbranch_execz .LBB13_147
; %bb.146:
	v_mov_b32_e32 v1, 0
	ds_read_b32 v2, v1 offset:64
	s_load_dwordx2 s[2:3], s[4:5], 0x8
	s_waitcnt lgkmcnt(0)
	v_add_u32_e32 v2, 1, v2
	global_atomic_smax v1, v2, s[2:3]
.LBB13_147:
	s_or_b64 exec, exec, s[0:1]
	v_cmp_eq_u32_e32 vcc, 0, v0
	s_and_b64 s[0:1], vcc, s[56:57]
	s_and_saveexec_b64 s[2:3], s[0:1]
	s_cbranch_execz .LBB13_154
.LBB13_148:
	s_mov_b64 s[0:1], exec
	v_mov_b32_e32 v0, 0x7fc00000
.LBB13_149:                             ; =>This Inner Loop Header: Depth=1
	s_ff1_i32_b64 s4, s[0:1]
	v_readlane_b32 s6, v24, s4
	s_lshl_b64 s[4:5], 1, s4
	v_max_f32_e32 v0, v0, v0
	v_max_f32_e64 v1, s6, s6
	s_andn2_b64 s[0:1], s[0:1], s[4:5]
	s_cmp_lg_u64 s[0:1], 0
	v_max_f32_e32 v0, v0, v1
	s_cbranch_scc1 .LBB13_149
; %bb.150:
	v_mbcnt_lo_u32_b32 v1, exec_lo, 0
	v_mbcnt_hi_u32_b32 v1, exec_hi, v1
	v_cmp_eq_u32_e64 s[0:1], 0, v1
	s_and_saveexec_b64 s[4:5], s[0:1]
	s_xor_b64 s[4:5], exec, s[4:5]
	s_cbranch_execz .LBB13_154
; %bb.151:
	v_mov_b32_e32 v2, 0
	s_waitcnt lgkmcnt(0)
	global_load_dword v1, v2, s[8:9]
	s_mov_b64 s[4:5], 0
	v_max_f32_e32 v3, v0, v0
.LBB13_152:                             ; =>This Inner Loop Header: Depth=1
	s_waitcnt vmcnt(0)
	v_max_f32_e32 v0, v1, v1
	v_max_f32_e32 v0, v0, v3
	global_atomic_cmpswap v0, v2, v[0:1], s[8:9] glc
	s_waitcnt vmcnt(0)
	v_cmp_eq_u32_e64 s[0:1], v0, v1
	s_or_b64 s[4:5], s[0:1], s[4:5]
	v_mov_b32_e32 v1, v0
	s_andn2_b64 exec, exec, s[4:5]
	s_cbranch_execnz .LBB13_152
; %bb.153:
	s_or_b64 exec, exec, s[4:5]
.LBB13_154:
	s_or_b64 exec, exec, s[2:3]
	s_and_b64 s[0:1], vcc, s[34:35]
	s_and_saveexec_b64 s[2:3], s[0:1]
	s_cbranch_execz .LBB13_160
; %bb.155:
	s_mov_b64 s[0:1], exec
	v_mov_b32_e32 v0, 0x7fc00000
.LBB13_156:                             ; =>This Inner Loop Header: Depth=1
	s_ff1_i32_b64 s2, s[0:1]
	v_readlane_b32 s4, v20, s2
	s_lshl_b64 s[2:3], 1, s2
	v_max_f32_e32 v0, v0, v0
	v_max_f32_e64 v1, s4, s4
	s_andn2_b64 s[0:1], s[0:1], s[2:3]
	s_cmp_lg_u64 s[0:1], 0
	v_max_f32_e32 v0, v0, v1
	s_cbranch_scc1 .LBB13_156
; %bb.157:
	v_mbcnt_lo_u32_b32 v1, exec_lo, 0
	v_mbcnt_hi_u32_b32 v1, exec_hi, v1
	v_cmp_eq_u32_e32 vcc, 0, v1
	s_and_saveexec_b64 s[0:1], vcc
	s_xor_b64 s[0:1], exec, s[0:1]
	s_cbranch_execz .LBB13_160
; %bb.158:
	v_mov_b32_e32 v2, 0
	s_waitcnt lgkmcnt(0)
	global_load_dword v1, v2, s[10:11]
	s_mov_b64 s[0:1], 0
	v_max_f32_e32 v3, v0, v0
.LBB13_159:                             ; =>This Inner Loop Header: Depth=1
	s_waitcnt vmcnt(0)
	v_max_f32_e32 v0, v1, v1
	v_max_f32_e32 v0, v0, v3
	global_atomic_cmpswap v0, v2, v[0:1], s[10:11] glc
	s_waitcnt vmcnt(0)
	v_cmp_eq_u32_e32 vcc, v0, v1
	s_or_b64 s[0:1], vcc, s[0:1]
	v_mov_b32_e32 v1, v0
	s_andn2_b64 exec, exec, s[0:1]
	s_cbranch_execnz .LBB13_159
.LBB13_160:
	s_endpgm
	.section	.rodata,"a",@progbits
	.p2align	6, 0x0
	.amdhsa_kernel _ZN9rocsparseL6kernelILi1024ELi64EfiiEEvbbbT3_PS1_NS_15floating_traitsIT1_E6data_tES1_T2_PKS7_S9_PKS1_PKS4_21rocsparse_index_base_S9_S9_SB_PS4_SF_SE_S9_S9_SB_SF_SF_SE_SF_SF_PS6_SG_PKS6_
		.amdhsa_group_segment_fixed_size 128
		.amdhsa_private_segment_fixed_size 0
		.amdhsa_kernarg_size 208
		.amdhsa_user_sgpr_count 6
		.amdhsa_user_sgpr_private_segment_buffer 1
		.amdhsa_user_sgpr_dispatch_ptr 0
		.amdhsa_user_sgpr_queue_ptr 0
		.amdhsa_user_sgpr_kernarg_segment_ptr 1
		.amdhsa_user_sgpr_dispatch_id 0
		.amdhsa_user_sgpr_flat_scratch_init 0
		.amdhsa_user_sgpr_private_segment_size 0
		.amdhsa_uses_dynamic_stack 0
		.amdhsa_system_sgpr_private_segment_wavefront_offset 0
		.amdhsa_system_sgpr_workgroup_id_x 1
		.amdhsa_system_sgpr_workgroup_id_y 0
		.amdhsa_system_sgpr_workgroup_id_z 0
		.amdhsa_system_sgpr_workgroup_info 0
		.amdhsa_system_vgpr_workitem_id 0
		.amdhsa_next_free_vgpr 44
		.amdhsa_next_free_sgpr 96
		.amdhsa_reserve_vcc 1
		.amdhsa_reserve_flat_scratch 0
		.amdhsa_float_round_mode_32 0
		.amdhsa_float_round_mode_16_64 0
		.amdhsa_float_denorm_mode_32 3
		.amdhsa_float_denorm_mode_16_64 3
		.amdhsa_dx10_clamp 1
		.amdhsa_ieee_mode 1
		.amdhsa_fp16_overflow 0
		.amdhsa_exception_fp_ieee_invalid_op 0
		.amdhsa_exception_fp_denorm_src 0
		.amdhsa_exception_fp_ieee_div_zero 0
		.amdhsa_exception_fp_ieee_overflow 0
		.amdhsa_exception_fp_ieee_underflow 0
		.amdhsa_exception_fp_ieee_inexact 0
		.amdhsa_exception_int_div_zero 0
	.end_amdhsa_kernel
	.section	.text._ZN9rocsparseL6kernelILi1024ELi64EfiiEEvbbbT3_PS1_NS_15floating_traitsIT1_E6data_tES1_T2_PKS7_S9_PKS1_PKS4_21rocsparse_index_base_S9_S9_SB_PS4_SF_SE_S9_S9_SB_SF_SF_SE_SF_SF_PS6_SG_PKS6_,"axG",@progbits,_ZN9rocsparseL6kernelILi1024ELi64EfiiEEvbbbT3_PS1_NS_15floating_traitsIT1_E6data_tES1_T2_PKS7_S9_PKS1_PKS4_21rocsparse_index_base_S9_S9_SB_PS4_SF_SE_S9_S9_SB_SF_SF_SE_SF_SF_PS6_SG_PKS6_,comdat
.Lfunc_end13:
	.size	_ZN9rocsparseL6kernelILi1024ELi64EfiiEEvbbbT3_PS1_NS_15floating_traitsIT1_E6data_tES1_T2_PKS7_S9_PKS1_PKS4_21rocsparse_index_base_S9_S9_SB_PS4_SF_SE_S9_S9_SB_SF_SF_SE_SF_SF_PS6_SG_PKS6_, .Lfunc_end13-_ZN9rocsparseL6kernelILi1024ELi64EfiiEEvbbbT3_PS1_NS_15floating_traitsIT1_E6data_tES1_T2_PKS7_S9_PKS1_PKS4_21rocsparse_index_base_S9_S9_SB_PS4_SF_SE_S9_S9_SB_SF_SF_SE_SF_SF_PS6_SG_PKS6_
                                        ; -- End function
	.set _ZN9rocsparseL6kernelILi1024ELi64EfiiEEvbbbT3_PS1_NS_15floating_traitsIT1_E6data_tES1_T2_PKS7_S9_PKS1_PKS4_21rocsparse_index_base_S9_S9_SB_PS4_SF_SE_S9_S9_SB_SF_SF_SE_SF_SF_PS6_SG_PKS6_.num_vgpr, 44
	.set _ZN9rocsparseL6kernelILi1024ELi64EfiiEEvbbbT3_PS1_NS_15floating_traitsIT1_E6data_tES1_T2_PKS7_S9_PKS1_PKS4_21rocsparse_index_base_S9_S9_SB_PS4_SF_SE_S9_S9_SB_SF_SF_SE_SF_SF_PS6_SG_PKS6_.num_agpr, 0
	.set _ZN9rocsparseL6kernelILi1024ELi64EfiiEEvbbbT3_PS1_NS_15floating_traitsIT1_E6data_tES1_T2_PKS7_S9_PKS1_PKS4_21rocsparse_index_base_S9_S9_SB_PS4_SF_SE_S9_S9_SB_SF_SF_SE_SF_SF_PS6_SG_PKS6_.numbered_sgpr, 96
	.set _ZN9rocsparseL6kernelILi1024ELi64EfiiEEvbbbT3_PS1_NS_15floating_traitsIT1_E6data_tES1_T2_PKS7_S9_PKS1_PKS4_21rocsparse_index_base_S9_S9_SB_PS4_SF_SE_S9_S9_SB_SF_SF_SE_SF_SF_PS6_SG_PKS6_.num_named_barrier, 0
	.set _ZN9rocsparseL6kernelILi1024ELi64EfiiEEvbbbT3_PS1_NS_15floating_traitsIT1_E6data_tES1_T2_PKS7_S9_PKS1_PKS4_21rocsparse_index_base_S9_S9_SB_PS4_SF_SE_S9_S9_SB_SF_SF_SE_SF_SF_PS6_SG_PKS6_.private_seg_size, 0
	.set _ZN9rocsparseL6kernelILi1024ELi64EfiiEEvbbbT3_PS1_NS_15floating_traitsIT1_E6data_tES1_T2_PKS7_S9_PKS1_PKS4_21rocsparse_index_base_S9_S9_SB_PS4_SF_SE_S9_S9_SB_SF_SF_SE_SF_SF_PS6_SG_PKS6_.uses_vcc, 1
	.set _ZN9rocsparseL6kernelILi1024ELi64EfiiEEvbbbT3_PS1_NS_15floating_traitsIT1_E6data_tES1_T2_PKS7_S9_PKS1_PKS4_21rocsparse_index_base_S9_S9_SB_PS4_SF_SE_S9_S9_SB_SF_SF_SE_SF_SF_PS6_SG_PKS6_.uses_flat_scratch, 0
	.set _ZN9rocsparseL6kernelILi1024ELi64EfiiEEvbbbT3_PS1_NS_15floating_traitsIT1_E6data_tES1_T2_PKS7_S9_PKS1_PKS4_21rocsparse_index_base_S9_S9_SB_PS4_SF_SE_S9_S9_SB_SF_SF_SE_SF_SF_PS6_SG_PKS6_.has_dyn_sized_stack, 0
	.set _ZN9rocsparseL6kernelILi1024ELi64EfiiEEvbbbT3_PS1_NS_15floating_traitsIT1_E6data_tES1_T2_PKS7_S9_PKS1_PKS4_21rocsparse_index_base_S9_S9_SB_PS4_SF_SE_S9_S9_SB_SF_SF_SE_SF_SF_PS6_SG_PKS6_.has_recursion, 0
	.set _ZN9rocsparseL6kernelILi1024ELi64EfiiEEvbbbT3_PS1_NS_15floating_traitsIT1_E6data_tES1_T2_PKS7_S9_PKS1_PKS4_21rocsparse_index_base_S9_S9_SB_PS4_SF_SE_S9_S9_SB_SF_SF_SE_SF_SF_PS6_SG_PKS6_.has_indirect_call, 0
	.section	.AMDGPU.csdata,"",@progbits
; Kernel info:
; codeLenInByte = 4920
; TotalNumSgprs: 100
; NumVgprs: 44
; ScratchSize: 0
; MemoryBound: 0
; FloatMode: 240
; IeeeMode: 1
; LDSByteSize: 128 bytes/workgroup (compile time only)
; SGPRBlocks: 12
; VGPRBlocks: 10
; NumSGPRsForWavesPerEU: 100
; NumVGPRsForWavesPerEU: 44
; Occupancy: 5
; WaveLimiterHint : 1
; COMPUTE_PGM_RSRC2:SCRATCH_EN: 0
; COMPUTE_PGM_RSRC2:USER_SGPR: 6
; COMPUTE_PGM_RSRC2:TRAP_HANDLER: 0
; COMPUTE_PGM_RSRC2:TGID_X_EN: 1
; COMPUTE_PGM_RSRC2:TGID_Y_EN: 0
; COMPUTE_PGM_RSRC2:TGID_Z_EN: 0
; COMPUTE_PGM_RSRC2:TIDIG_COMP_CNT: 0
	.section	.text._ZN9rocsparseL14kernel_freerunILi1024ELi1EdiiEEvT3_S1_T2_PKS2_S4_PKS1_PKT1_21rocsparse_index_base_S4_S4_S6_PS7_SB_SA_S4_S4_S6_SB_SB_SA_SB_SB_,"axG",@progbits,_ZN9rocsparseL14kernel_freerunILi1024ELi1EdiiEEvT3_S1_T2_PKS2_S4_PKS1_PKT1_21rocsparse_index_base_S4_S4_S6_PS7_SB_SA_S4_S4_S6_SB_SB_SA_SB_SB_,comdat
	.globl	_ZN9rocsparseL14kernel_freerunILi1024ELi1EdiiEEvT3_S1_T2_PKS2_S4_PKS1_PKT1_21rocsparse_index_base_S4_S4_S6_PS7_SB_SA_S4_S4_S6_SB_SB_SA_SB_SB_ ; -- Begin function _ZN9rocsparseL14kernel_freerunILi1024ELi1EdiiEEvT3_S1_T2_PKS2_S4_PKS1_PKT1_21rocsparse_index_base_S4_S4_S6_PS7_SB_SA_S4_S4_S6_SB_SB_SA_SB_SB_
	.p2align	8
	.type	_ZN9rocsparseL14kernel_freerunILi1024ELi1EdiiEEvT3_S1_T2_PKS2_S4_PKS1_PKT1_21rocsparse_index_base_S4_S4_S6_PS7_SB_SA_S4_S4_S6_SB_SB_SA_SB_SB_,@function
_ZN9rocsparseL14kernel_freerunILi1024ELi1EdiiEEvT3_S1_T2_PKS2_S4_PKS1_PKT1_21rocsparse_index_base_S4_S4_S6_PS7_SB_SA_S4_S4_S6_SB_SB_SA_SB_SB_: ; @_ZN9rocsparseL14kernel_freerunILi1024ELi1EdiiEEvT3_S1_T2_PKS2_S4_PKS1_PKT1_21rocsparse_index_base_S4_S4_S6_PS7_SB_SA_S4_S4_S6_SB_SB_SA_SB_SB_
; %bb.0:
	s_load_dwordx2 s[34:35], s[4:5], 0x0
	s_lshl_b32 s63, s6, 10
	v_or_b32_e32 v0, s63, v0
	s_mov_b32 s33, 0
	s_waitcnt lgkmcnt(0)
	s_cmp_gt_i32 s34, 0
	v_cmp_gt_i32_e32 vcc, s35, v0
	s_cselect_b64 s[0:1], -1, 0
	s_and_b64 s[0:1], vcc, s[0:1]
	s_and_saveexec_b64 s[2:3], s[0:1]
	s_cbranch_execz .LBB14_51
; %bb.1:
	s_load_dwordx8 s[8:15], s[4:5], 0x38
	s_load_dwordx8 s[16:23], s[4:5], 0x10
	v_ashrrev_i32_e32 v1, 31, v0
	v_lshlrev_b64 v[1:2], 2, v[0:1]
	s_addk_i32 s63, 0x400
	s_waitcnt lgkmcnt(0)
	v_mov_b32_e32 v4, s11
	v_add_co_u32_e32 v3, vcc, s10, v1
	v_addc_co_u32_e32 v4, vcc, v4, v2, vcc
	global_load_dword v5, v[3:4], off
	v_mov_b32_e32 v4, s9
	v_add_co_u32_e32 v3, vcc, s8, v1
	v_addc_co_u32_e32 v4, vcc, v4, v2, vcc
	global_load_dword v6, v[3:4], off
	;; [unrolled: 4-line block ×4, first 2 shown]
	s_load_dwordx4 s[16:19], s[4:5], 0x98
	s_load_dwordx8 s[24:31], s[4:5], 0x68
	s_load_dword s60, s[4:5], 0x30
	s_load_dwordx2 s[36:37], s[4:5], 0x58
	s_load_dword s61, s[4:5], 0x60
	s_load_dwordx2 s[38:39], s[4:5], 0x88
	s_load_dword s62, s[4:5], 0x90
	v_mov_b32_e32 v9, s13
	v_mov_b32_e32 v10, s15
	;; [unrolled: 1-line block ×3, first 2 shown]
	v_cmp_gt_u32_e64 s[0:1], s63, v0
	s_movk_i32 s64, 0x1f8
	s_waitcnt vmcnt(2) lgkmcnt(0)
	v_subrev_u32_e32 v3, s61, v6
	v_sub_u32_e32 v16, v5, v6
	v_cmp_lt_i32_e64 s[4:5], 0, v16
	s_waitcnt vmcnt(1)
	v_subrev_u32_e32 v17, s60, v4
	s_waitcnt vmcnt(0)
	v_cmp_lt_i32_e64 s[2:3], v4, v1
	v_ashrrev_i32_e32 v4, 31, v3
	v_lshlrev_b64 v[5:6], 2, v[3:4]
	v_lshlrev_b64 v[7:8], 3, v[3:4]
	v_add_co_u32_e32 v19, vcc, s12, v5
	v_addc_co_u32_e32 v20, vcc, v9, v6, vcc
	v_add_co_u32_e32 v21, vcc, s14, v7
	v_subrev_u32_e32 v18, s60, v1
	v_addc_co_u32_e32 v22, vcc, v10, v8, vcc
	s_branch .LBB14_3
.LBB14_2:                               ;   in Loop: Header=BB14_3 Depth=1
	s_or_b64 exec, exec, s[6:7]
	s_add_i32 s33, s33, 1
	s_cmp_eq_u32 s33, s34
	s_cbranch_scc1 .LBB14_51
.LBB14_3:                               ; =>This Loop Header: Depth=1
                                        ;     Child Loop BB14_6 Depth 2
                                        ;       Child Loop BB14_10 Depth 3
                                        ;       Child Loop BB14_26 Depth 3
	;; [unrolled: 1-line block ×3, first 2 shown]
                                        ;     Child Loop BB14_44 Depth 2
                                        ;       Child Loop BB14_47 Depth 3
                                        ;       Child Loop BB14_50 Depth 3
	s_and_saveexec_b64 s[40:41], s[2:3]
	s_cbranch_execz .LBB14_40
; %bb.4:                                ;   in Loop: Header=BB14_3 Depth=1
	s_mov_b64 s[42:43], 0
	v_mov_b32_e32 v4, v17
	s_branch .LBB14_6
.LBB14_5:                               ;   in Loop: Header=BB14_6 Depth=2
	s_or_b64 exec, exec, s[44:45]
	v_add_u32_e32 v4, 1, v4
	v_cmp_ge_i32_e32 vcc, v4, v18
	s_or_b64 s[42:43], vcc, s[42:43]
	s_andn2_b64 exec, exec, s[42:43]
	s_cbranch_execz .LBB14_40
.LBB14_6:                               ;   Parent Loop BB14_3 Depth=1
                                        ; =>  This Loop Header: Depth=2
                                        ;       Child Loop BB14_10 Depth 3
                                        ;       Child Loop BB14_26 Depth 3
	;; [unrolled: 1-line block ×3, first 2 shown]
	v_ashrrev_i32_e32 v5, 31, v4
	v_lshlrev_b64 v[6:7], 2, v[4:5]
	v_mov_b32_e32 v1, s21
	v_add_co_u32_e32 v6, vcc, s20, v6
	v_addc_co_u32_e32 v7, vcc, v1, v7, vcc
	global_load_dword v1, v[6:7], off
	v_mov_b32_e32 v11, s25
	v_mov_b32_e32 v12, s27
	s_waitcnt vmcnt(0)
	v_subrev_u32_e32 v6, s60, v1
	v_ashrrev_i32_e32 v7, 31, v6
	v_lshlrev_b64 v[8:9], 2, v[6:7]
	v_add_co_u32_e32 v10, vcc, s24, v8
	v_addc_co_u32_e32 v11, vcc, v11, v9, vcc
	v_add_co_u32_e32 v8, vcc, s26, v8
	v_addc_co_u32_e32 v9, vcc, v12, v9, vcc
	global_load_dword v1, v[10:11], off
	s_nop 0
	global_load_dword v10, v[8:9], off
	v_mov_b32_e32 v9, 0
	v_mov_b32_e32 v11, 0
	v_mov_b32_e32 v12, 0
	s_waitcnt vmcnt(1)
	v_subrev_u32_e32 v8, s62, v1
	s_waitcnt vmcnt(0)
	v_sub_u32_e32 v23, v10, v1
	v_mov_b32_e32 v1, v9
	s_and_saveexec_b64 s[6:7], s[4:5]
	s_cbranch_execz .LBB14_14
; %bb.7:                                ;   in Loop: Header=BB14_6 Depth=2
	v_ashrrev_i32_e32 v9, 31, v8
	v_lshlrev_b64 v[10:11], 2, v[8:9]
	v_mov_b32_e32 v1, s29
	v_add_co_u32_e32 v13, vcc, s28, v10
	v_lshlrev_b64 v[9:10], 3, v[8:9]
	v_addc_co_u32_e32 v14, vcc, v1, v11, vcc
	v_mov_b32_e32 v1, s31
	v_add_co_u32_e32 v15, vcc, s30, v9
	v_addc_co_u32_e32 v24, vcc, v1, v10, vcc
	v_mov_b32_e32 v11, 0
	v_mov_b32_e32 v1, 0
	;; [unrolled: 1-line block ×3, first 2 shown]
	s_mov_b64 s[44:45], 0
	v_mov_b32_e32 v9, v1
                                        ; implicit-def: $sgpr46_sgpr47
	s_branch .LBB14_10
.LBB14_8:                               ;   in Loop: Header=BB14_10 Depth=3
	s_or_b64 exec, exec, s[50:51]
	v_cmp_le_i32_e32 vcc, v25, v26
	v_addc_co_u32_e32 v1, vcc, 0, v1, vcc
	v_cmp_ge_i32_e32 vcc, v25, v26
	v_addc_co_u32_e32 v9, vcc, 0, v9, vcc
	v_cmp_ge_i32_e32 vcc, v1, v16
	s_andn2_b64 s[46:47], s[46:47], exec
	s_and_b64 s[50:51], vcc, exec
	s_or_b64 s[46:47], s[46:47], s[50:51]
.LBB14_9:                               ;   in Loop: Header=BB14_10 Depth=3
	s_or_b64 exec, exec, s[48:49]
	s_and_b64 s[48:49], exec, s[46:47]
	s_or_b64 s[44:45], s[48:49], s[44:45]
	s_andn2_b64 exec, exec, s[44:45]
	s_cbranch_execz .LBB14_13
.LBB14_10:                              ;   Parent Loop BB14_3 Depth=1
                                        ;     Parent Loop BB14_6 Depth=2
                                        ; =>    This Inner Loop Header: Depth=3
	v_cmp_lt_i32_e32 vcc, v9, v23
	s_or_b64 s[46:47], s[46:47], exec
	s_and_saveexec_b64 s[48:49], vcc
	s_cbranch_execz .LBB14_9
; %bb.11:                               ;   in Loop: Header=BB14_10 Depth=3
	v_lshlrev_b64 v[25:26], 2, v[1:2]
	v_mov_b32_e32 v10, v2
	v_add_co_u32_e32 v25, vcc, v19, v25
	v_addc_co_u32_e32 v26, vcc, v20, v26, vcc
	global_load_dword v27, v[25:26], off
	v_lshlrev_b64 v[25:26], 2, v[9:10]
	v_add_co_u32_e32 v25, vcc, v13, v25
	v_addc_co_u32_e32 v26, vcc, v14, v26, vcc
	global_load_dword v26, v[25:26], off
	s_waitcnt vmcnt(1)
	v_subrev_u32_e32 v25, s61, v27
	s_waitcnt vmcnt(0)
	v_subrev_u32_e32 v26, s62, v26
	v_cmp_eq_u32_e32 vcc, v25, v26
	s_and_saveexec_b64 s[50:51], vcc
	s_cbranch_execz .LBB14_8
; %bb.12:                               ;   in Loop: Header=BB14_10 Depth=3
	v_lshlrev_b64 v[27:28], 3, v[1:2]
	v_lshlrev_b64 v[29:30], 3, v[9:10]
	v_add_co_u32_e32 v27, vcc, v21, v27
	v_addc_co_u32_e32 v28, vcc, v22, v28, vcc
	v_add_co_u32_e32 v29, vcc, v15, v29
	v_addc_co_u32_e32 v30, vcc, v24, v30, vcc
	global_load_dwordx2 v[27:28], v[27:28], off
	s_nop 0
	global_load_dwordx2 v[29:30], v[29:30], off
	s_waitcnt vmcnt(0)
	v_fma_f64 v[11:12], v[27:28], v[29:30], v[11:12]
	s_branch .LBB14_8
.LBB14_13:                              ;   in Loop: Header=BB14_6 Depth=2
	s_or_b64 exec, exec, s[44:45]
.LBB14_14:                              ;   in Loop: Header=BB14_6 Depth=2
	s_or_b64 exec, exec, s[6:7]
	v_lshlrev_b64 v[13:14], 3, v[4:5]
	v_mov_b32_e32 v5, s23
	v_add_co_u32_e32 v13, vcc, s22, v13
	v_addc_co_u32_e32 v14, vcc, v5, v14, vcc
	global_load_dwordx2 v[13:14], v[13:14], off
	v_cmp_le_i32_e64 s[6:7], v0, v6
	v_cmp_gt_i32_e32 vcc, v0, v6
	s_waitcnt vmcnt(0)
	v_add_f64 v[10:11], v[13:14], -v[11:12]
	s_and_saveexec_b64 s[44:45], vcc
	s_cbranch_execz .LBB14_18
; %bb.15:                               ;   in Loop: Header=BB14_6 Depth=2
	v_lshlrev_b64 v[12:13], 3, v[6:7]
	v_mov_b32_e32 v5, s17
	v_add_co_u32_e32 v12, vcc, s16, v12
	v_addc_co_u32_e32 v13, vcc, v5, v13, vcc
	global_load_dwordx2 v[12:13], v[12:13], off
	v_mov_b32_e32 v14, 0
	v_mov_b32_e32 v15, 0
	s_waitcnt vmcnt(0)
	v_cmp_lg_f64_e32 vcc, 0, v[12:13]
	s_and_saveexec_b64 s[46:47], vcc
	s_cbranch_execz .LBB14_17
; %bb.16:                               ;   in Loop: Header=BB14_6 Depth=2
	v_div_scale_f64 v[14:15], s[48:49], v[12:13], v[12:13], v[10:11]
	v_div_scale_f64 v[28:29], vcc, v[10:11], v[12:13], v[10:11]
	v_rcp_f64_e32 v[24:25], v[14:15]
	v_fma_f64 v[26:27], -v[14:15], v[24:25], 1.0
	v_fma_f64 v[24:25], v[24:25], v[26:27], v[24:25]
	v_fma_f64 v[26:27], -v[14:15], v[24:25], 1.0
	v_fma_f64 v[24:25], v[24:25], v[26:27], v[24:25]
	v_mul_f64 v[26:27], v[28:29], v[24:25]
	v_fma_f64 v[14:15], -v[14:15], v[26:27], v[28:29]
	v_div_fmas_f64 v[14:15], v[14:15], v[24:25], v[26:27]
	v_div_fixup_f64 v[14:15], v[14:15], v[12:13], v[10:11]
.LBB14_17:                              ;   in Loop: Header=BB14_6 Depth=2
	s_or_b64 exec, exec, s[46:47]
	v_mov_b32_e32 v10, v14
	v_mov_b32_e32 v11, v15
.LBB14_18:                              ;   in Loop: Header=BB14_6 Depth=2
	s_or_b64 exec, exec, s[44:45]
	v_cmp_class_f64_e64 s[46:47], v[10:11], s64
	s_and_saveexec_b64 s[44:45], s[46:47]
	s_cbranch_execz .LBB14_5
; %bb.19:                               ;   in Loop: Header=BB14_6 Depth=2
	s_and_saveexec_b64 s[46:47], s[6:7]
	s_xor_b64 s[6:7], exec, s[46:47]
	s_cbranch_execz .LBB14_32
; %bb.20:                               ;   in Loop: Header=BB14_6 Depth=2
	v_cmp_ge_i32_e32 vcc, v0, v6
	s_and_saveexec_b64 s[46:47], vcc
	s_xor_b64 s[46:47], exec, s[46:47]
	s_cbranch_execz .LBB14_22
; %bb.21:                               ;   in Loop: Header=BB14_6 Depth=2
	v_lshlrev_b64 v[5:6], 3, v[6:7]
	v_mov_b32_e32 v1, s19
	v_add_co_u32_e32 v5, vcc, s18, v5
	v_addc_co_u32_e32 v6, vcc, v1, v6, vcc
	global_store_dwordx2 v[5:6], v[10:11], off
                                        ; implicit-def: $vgpr9
                                        ; implicit-def: $vgpr23
                                        ; implicit-def: $vgpr10_vgpr11
                                        ; implicit-def: $vgpr8
.LBB14_22:                              ;   in Loop: Header=BB14_6 Depth=2
	s_andn2_saveexec_b64 s[46:47], s[46:47]
	s_cbranch_execz .LBB14_31
; %bb.23:                               ;   in Loop: Header=BB14_6 Depth=2
	v_cmp_lt_i32_e32 vcc, v9, v23
	s_and_saveexec_b64 s[48:49], vcc
	s_cbranch_execz .LBB14_30
; %bb.24:                               ;   in Loop: Header=BB14_6 Depth=2
	s_mov_b64 s[50:51], 0
                                        ; implicit-def: $sgpr52_sgpr53
                                        ; implicit-def: $sgpr56_sgpr57
                                        ; implicit-def: $sgpr54_sgpr55
	s_branch .LBB14_26
.LBB14_25:                              ;   in Loop: Header=BB14_26 Depth=3
	s_or_b64 exec, exec, s[58:59]
	s_and_b64 s[58:59], exec, s[56:57]
	s_or_b64 s[50:51], s[58:59], s[50:51]
	s_andn2_b64 s[52:53], s[52:53], exec
	s_and_b64 s[58:59], s[54:55], exec
	s_or_b64 s[52:53], s[52:53], s[58:59]
	s_andn2_b64 exec, exec, s[50:51]
	s_cbranch_execz .LBB14_28
.LBB14_26:                              ;   Parent Loop BB14_3 Depth=1
                                        ;     Parent Loop BB14_6 Depth=2
                                        ; =>    This Inner Loop Header: Depth=3
	v_add_u32_e32 v5, v8, v9
	v_ashrrev_i32_e32 v6, 31, v5
	v_lshlrev_b64 v[12:13], 2, v[5:6]
	v_mov_b32_e32 v1, s29
	v_add_co_u32_e32 v12, vcc, s28, v12
	v_addc_co_u32_e32 v13, vcc, v1, v13, vcc
	global_load_dword v1, v[12:13], off
	s_or_b64 s[54:55], s[54:55], exec
	s_or_b64 s[56:57], s[56:57], exec
	s_waitcnt vmcnt(0)
	v_subrev_u32_e32 v1, s62, v1
	v_cmp_ne_u32_e32 vcc, v1, v0
	s_and_saveexec_b64 s[58:59], vcc
	s_cbranch_execz .LBB14_25
; %bb.27:                               ;   in Loop: Header=BB14_26 Depth=3
	v_add_u32_e32 v9, 1, v9
	v_cmp_ge_i32_e32 vcc, v9, v23
	s_andn2_b64 s[56:57], s[56:57], exec
	s_and_b64 s[66:67], vcc, exec
	s_andn2_b64 s[54:55], s[54:55], exec
	s_or_b64 s[56:57], s[56:57], s[66:67]
	s_branch .LBB14_25
.LBB14_28:                              ;   in Loop: Header=BB14_6 Depth=2
	s_or_b64 exec, exec, s[50:51]
	s_and_saveexec_b64 s[50:51], s[52:53]
	s_xor_b64 s[50:51], exec, s[50:51]
	s_cbranch_execz .LBB14_30
; %bb.29:                               ;   in Loop: Header=BB14_6 Depth=2
	v_lshlrev_b64 v[5:6], 3, v[5:6]
	v_mov_b32_e32 v1, s39
	v_add_co_u32_e32 v5, vcc, s38, v5
	v_addc_co_u32_e32 v6, vcc, v1, v6, vcc
	global_store_dwordx2 v[5:6], v[10:11], off
.LBB14_30:                              ;   in Loop: Header=BB14_6 Depth=2
	s_or_b64 exec, exec, s[48:49]
.LBB14_31:                              ;   in Loop: Header=BB14_6 Depth=2
	s_or_b64 exec, exec, s[46:47]
                                        ; implicit-def: $vgpr10_vgpr11
                                        ; implicit-def: $vgpr6_vgpr7
.LBB14_32:                              ;   in Loop: Header=BB14_6 Depth=2
	s_andn2_saveexec_b64 s[6:7], s[6:7]
	s_cbranch_execz .LBB14_5
; %bb.33:                               ;   in Loop: Header=BB14_6 Depth=2
	v_cmp_lt_i32_e32 vcc, v1, v16
	s_and_b64 exec, exec, vcc
	s_cbranch_execz .LBB14_5
; %bb.34:                               ;   in Loop: Header=BB14_6 Depth=2
	s_mov_b64 s[6:7], 0
                                        ; implicit-def: $sgpr46_sgpr47
                                        ; implicit-def: $sgpr50_sgpr51
                                        ; implicit-def: $sgpr48_sgpr49
	s_branch .LBB14_36
.LBB14_35:                              ;   in Loop: Header=BB14_36 Depth=3
	s_or_b64 exec, exec, s[52:53]
	s_and_b64 s[52:53], exec, s[50:51]
	s_or_b64 s[6:7], s[52:53], s[6:7]
	s_andn2_b64 s[46:47], s[46:47], exec
	s_and_b64 s[52:53], s[48:49], exec
	s_or_b64 s[46:47], s[46:47], s[52:53]
	s_andn2_b64 exec, exec, s[6:7]
	s_cbranch_execz .LBB14_38
.LBB14_36:                              ;   Parent Loop BB14_3 Depth=1
                                        ;     Parent Loop BB14_6 Depth=2
                                        ; =>    This Inner Loop Header: Depth=3
	v_add_u32_e32 v7, v3, v1
	v_ashrrev_i32_e32 v8, 31, v7
	v_lshlrev_b64 v[12:13], 2, v[7:8]
	v_mov_b32_e32 v5, s13
	v_add_co_u32_e32 v12, vcc, s12, v12
	v_addc_co_u32_e32 v13, vcc, v5, v13, vcc
	global_load_dword v5, v[12:13], off
	s_or_b64 s[48:49], s[48:49], exec
	s_or_b64 s[50:51], s[50:51], exec
	s_waitcnt vmcnt(0)
	v_subrev_u32_e32 v5, s61, v5
	v_cmp_ne_u32_e32 vcc, v5, v6
	s_and_saveexec_b64 s[52:53], vcc
	s_cbranch_execz .LBB14_35
; %bb.37:                               ;   in Loop: Header=BB14_36 Depth=3
	v_add_u32_e32 v1, 1, v1
	v_cmp_ge_i32_e32 vcc, v1, v16
	s_andn2_b64 s[50:51], s[50:51], exec
	s_and_b64 s[54:55], vcc, exec
	s_andn2_b64 s[48:49], s[48:49], exec
	s_or_b64 s[50:51], s[50:51], s[54:55]
	s_branch .LBB14_35
.LBB14_38:                              ;   in Loop: Header=BB14_6 Depth=2
	s_or_b64 exec, exec, s[6:7]
	s_and_saveexec_b64 s[6:7], s[46:47]
	s_xor_b64 s[6:7], exec, s[6:7]
	s_cbranch_execz .LBB14_5
; %bb.39:                               ;   in Loop: Header=BB14_6 Depth=2
	v_lshlrev_b64 v[5:6], 3, v[7:8]
	v_mov_b32_e32 v1, s37
	v_add_co_u32_e32 v5, vcc, s36, v5
	v_addc_co_u32_e32 v6, vcc, v1, v6, vcc
	global_store_dwordx2 v[5:6], v[10:11], off
	s_branch .LBB14_5
.LBB14_40:                              ;   in Loop: Header=BB14_3 Depth=1
	s_or_b64 exec, exec, s[40:41]
	s_and_saveexec_b64 s[6:7], s[0:1]
	s_cbranch_execz .LBB14_2
; %bb.41:                               ;   in Loop: Header=BB14_3 Depth=1
	s_mov_b64 s[40:41], 0
	v_mov_b32_e32 v4, v0
	s_branch .LBB14_44
.LBB14_42:                              ;   in Loop: Header=BB14_44 Depth=2
	s_or_b64 exec, exec, s[44:45]
	v_lshlrev_b64 v[5:6], 3, v[4:5]
	v_mov_b32_e32 v1, s19
	v_add_co_u32_e32 v7, vcc, s18, v5
	v_addc_co_u32_e32 v8, vcc, v1, v6, vcc
	global_load_dwordx2 v[7:8], v[7:8], off
	v_mov_b32_e32 v1, s17
	v_add_co_u32_e32 v5, vcc, s16, v5
	v_addc_co_u32_e32 v6, vcc, v1, v6, vcc
	s_waitcnt vmcnt(0)
	global_store_dwordx2 v[5:6], v[7:8], off
.LBB14_43:                              ;   in Loop: Header=BB14_44 Depth=2
	s_or_b64 exec, exec, s[42:43]
	v_add_u32_e32 v4, 0x400, v4
	v_cmp_le_u32_e32 vcc, s63, v4
	s_or_b64 s[40:41], vcc, s[40:41]
	s_andn2_b64 exec, exec, s[40:41]
	s_cbranch_execz .LBB14_2
.LBB14_44:                              ;   Parent Loop BB14_3 Depth=1
                                        ; =>  This Loop Header: Depth=2
                                        ;       Child Loop BB14_47 Depth 3
                                        ;       Child Loop BB14_50 Depth 3
	v_cmp_gt_i32_e32 vcc, s35, v4
	s_and_saveexec_b64 s[42:43], vcc
	s_cbranch_execz .LBB14_43
; %bb.45:                               ;   in Loop: Header=BB14_44 Depth=2
	v_ashrrev_i32_e32 v5, 31, v4
	v_lshlrev_b64 v[6:7], 2, v[4:5]
	v_mov_b32_e32 v1, s9
	v_add_co_u32_e32 v8, vcc, s8, v6
	v_addc_co_u32_e32 v9, vcc, v1, v7, vcc
	global_load_dword v8, v[8:9], off
	v_mov_b32_e32 v1, s11
	v_add_co_u32_e32 v9, vcc, s10, v6
	v_addc_co_u32_e32 v10, vcc, v1, v7, vcc
	global_load_dword v1, v[9:10], off
	s_waitcnt vmcnt(0)
	v_cmp_lt_i32_e32 vcc, v8, v1
	s_and_saveexec_b64 s[44:45], vcc
	s_cbranch_execz .LBB14_48
; %bb.46:                               ;   in Loop: Header=BB14_44 Depth=2
	v_subrev_u32_e32 v8, s61, v8
	v_ashrrev_i32_e32 v9, 31, v8
	v_lshlrev_b64 v[11:12], 3, v[8:9]
	v_mov_b32_e32 v10, s37
	v_add_co_u32_e32 v9, vcc, s36, v11
	v_addc_co_u32_e32 v10, vcc, v10, v12, vcc
	v_mov_b32_e32 v13, s15
	v_add_co_u32_e32 v11, vcc, s14, v11
	v_subrev_u32_e32 v1, s61, v1
	v_addc_co_u32_e32 v12, vcc, v13, v12, vcc
	s_mov_b64 s[46:47], 0
.LBB14_47:                              ;   Parent Loop BB14_3 Depth=1
                                        ;     Parent Loop BB14_44 Depth=2
                                        ; =>    This Inner Loop Header: Depth=3
	global_load_dwordx2 v[13:14], v[9:10], off
	v_add_co_u32_e32 v9, vcc, 8, v9
	v_add_u32_e32 v8, 1, v8
	v_addc_co_u32_e32 v10, vcc, 0, v10, vcc
	v_cmp_ge_i32_e32 vcc, v8, v1
	s_or_b64 s[46:47], vcc, s[46:47]
	s_waitcnt vmcnt(0)
	global_store_dwordx2 v[11:12], v[13:14], off
	v_add_co_u32_e32 v11, vcc, 8, v11
	v_addc_co_u32_e32 v12, vcc, 0, v12, vcc
	s_andn2_b64 exec, exec, s[46:47]
	s_cbranch_execnz .LBB14_47
.LBB14_48:                              ;   in Loop: Header=BB14_44 Depth=2
	s_or_b64 exec, exec, s[44:45]
	v_mov_b32_e32 v1, s25
	v_add_co_u32_e32 v8, vcc, s24, v6
	v_addc_co_u32_e32 v9, vcc, v1, v7, vcc
	v_mov_b32_e32 v1, s27
	v_add_co_u32_e32 v6, vcc, s26, v6
	v_addc_co_u32_e32 v7, vcc, v1, v7, vcc
	global_load_dword v8, v[8:9], off
	s_nop 0
	global_load_dword v1, v[6:7], off
	s_waitcnt vmcnt(0)
	v_cmp_lt_i32_e32 vcc, v8, v1
	s_and_saveexec_b64 s[44:45], vcc
	s_cbranch_execz .LBB14_42
; %bb.49:                               ;   in Loop: Header=BB14_44 Depth=2
	v_subrev_u32_e32 v6, s62, v8
	v_ashrrev_i32_e32 v7, 31, v6
	v_lshlrev_b64 v[9:10], 3, v[6:7]
	v_mov_b32_e32 v8, s39
	v_add_co_u32_e32 v7, vcc, s38, v9
	v_addc_co_u32_e32 v8, vcc, v8, v10, vcc
	v_mov_b32_e32 v11, s31
	v_add_co_u32_e32 v9, vcc, s30, v9
	v_subrev_u32_e32 v1, s62, v1
	v_addc_co_u32_e32 v10, vcc, v11, v10, vcc
	s_mov_b64 s[46:47], 0
.LBB14_50:                              ;   Parent Loop BB14_3 Depth=1
                                        ;     Parent Loop BB14_44 Depth=2
                                        ; =>    This Inner Loop Header: Depth=3
	global_load_dwordx2 v[11:12], v[7:8], off
	v_add_co_u32_e32 v7, vcc, 8, v7
	v_add_u32_e32 v6, 1, v6
	v_addc_co_u32_e32 v8, vcc, 0, v8, vcc
	v_cmp_ge_i32_e32 vcc, v6, v1
	s_or_b64 s[46:47], vcc, s[46:47]
	s_waitcnt vmcnt(0)
	global_store_dwordx2 v[9:10], v[11:12], off
	v_add_co_u32_e32 v9, vcc, 8, v9
	v_addc_co_u32_e32 v10, vcc, 0, v10, vcc
	s_andn2_b64 exec, exec, s[46:47]
	s_cbranch_execnz .LBB14_50
	s_branch .LBB14_42
.LBB14_51:
	s_endpgm
	.section	.rodata,"a",@progbits
	.p2align	6, 0x0
	.amdhsa_kernel _ZN9rocsparseL14kernel_freerunILi1024ELi1EdiiEEvT3_S1_T2_PKS2_S4_PKS1_PKT1_21rocsparse_index_base_S4_S4_S6_PS7_SB_SA_S4_S4_S6_SB_SB_SA_SB_SB_
		.amdhsa_group_segment_fixed_size 0
		.amdhsa_private_segment_fixed_size 0
		.amdhsa_kernarg_size 168
		.amdhsa_user_sgpr_count 6
		.amdhsa_user_sgpr_private_segment_buffer 1
		.amdhsa_user_sgpr_dispatch_ptr 0
		.amdhsa_user_sgpr_queue_ptr 0
		.amdhsa_user_sgpr_kernarg_segment_ptr 1
		.amdhsa_user_sgpr_dispatch_id 0
		.amdhsa_user_sgpr_flat_scratch_init 0
		.amdhsa_user_sgpr_private_segment_size 0
		.amdhsa_uses_dynamic_stack 0
		.amdhsa_system_sgpr_private_segment_wavefront_offset 0
		.amdhsa_system_sgpr_workgroup_id_x 1
		.amdhsa_system_sgpr_workgroup_id_y 0
		.amdhsa_system_sgpr_workgroup_id_z 0
		.amdhsa_system_sgpr_workgroup_info 0
		.amdhsa_system_vgpr_workitem_id 0
		.amdhsa_next_free_vgpr 31
		.amdhsa_next_free_sgpr 68
		.amdhsa_reserve_vcc 1
		.amdhsa_reserve_flat_scratch 0
		.amdhsa_float_round_mode_32 0
		.amdhsa_float_round_mode_16_64 0
		.amdhsa_float_denorm_mode_32 3
		.amdhsa_float_denorm_mode_16_64 3
		.amdhsa_dx10_clamp 1
		.amdhsa_ieee_mode 1
		.amdhsa_fp16_overflow 0
		.amdhsa_exception_fp_ieee_invalid_op 0
		.amdhsa_exception_fp_denorm_src 0
		.amdhsa_exception_fp_ieee_div_zero 0
		.amdhsa_exception_fp_ieee_overflow 0
		.amdhsa_exception_fp_ieee_underflow 0
		.amdhsa_exception_fp_ieee_inexact 0
		.amdhsa_exception_int_div_zero 0
	.end_amdhsa_kernel
	.section	.text._ZN9rocsparseL14kernel_freerunILi1024ELi1EdiiEEvT3_S1_T2_PKS2_S4_PKS1_PKT1_21rocsparse_index_base_S4_S4_S6_PS7_SB_SA_S4_S4_S6_SB_SB_SA_SB_SB_,"axG",@progbits,_ZN9rocsparseL14kernel_freerunILi1024ELi1EdiiEEvT3_S1_T2_PKS2_S4_PKS1_PKT1_21rocsparse_index_base_S4_S4_S6_PS7_SB_SA_S4_S4_S6_SB_SB_SA_SB_SB_,comdat
.Lfunc_end14:
	.size	_ZN9rocsparseL14kernel_freerunILi1024ELi1EdiiEEvT3_S1_T2_PKS2_S4_PKS1_PKT1_21rocsparse_index_base_S4_S4_S6_PS7_SB_SA_S4_S4_S6_SB_SB_SA_SB_SB_, .Lfunc_end14-_ZN9rocsparseL14kernel_freerunILi1024ELi1EdiiEEvT3_S1_T2_PKS2_S4_PKS1_PKT1_21rocsparse_index_base_S4_S4_S6_PS7_SB_SA_S4_S4_S6_SB_SB_SA_SB_SB_
                                        ; -- End function
	.set _ZN9rocsparseL14kernel_freerunILi1024ELi1EdiiEEvT3_S1_T2_PKS2_S4_PKS1_PKT1_21rocsparse_index_base_S4_S4_S6_PS7_SB_SA_S4_S4_S6_SB_SB_SA_SB_SB_.num_vgpr, 31
	.set _ZN9rocsparseL14kernel_freerunILi1024ELi1EdiiEEvT3_S1_T2_PKS2_S4_PKS1_PKT1_21rocsparse_index_base_S4_S4_S6_PS7_SB_SA_S4_S4_S6_SB_SB_SA_SB_SB_.num_agpr, 0
	.set _ZN9rocsparseL14kernel_freerunILi1024ELi1EdiiEEvT3_S1_T2_PKS2_S4_PKS1_PKT1_21rocsparse_index_base_S4_S4_S6_PS7_SB_SA_S4_S4_S6_SB_SB_SA_SB_SB_.numbered_sgpr, 68
	.set _ZN9rocsparseL14kernel_freerunILi1024ELi1EdiiEEvT3_S1_T2_PKS2_S4_PKS1_PKT1_21rocsparse_index_base_S4_S4_S6_PS7_SB_SA_S4_S4_S6_SB_SB_SA_SB_SB_.num_named_barrier, 0
	.set _ZN9rocsparseL14kernel_freerunILi1024ELi1EdiiEEvT3_S1_T2_PKS2_S4_PKS1_PKT1_21rocsparse_index_base_S4_S4_S6_PS7_SB_SA_S4_S4_S6_SB_SB_SA_SB_SB_.private_seg_size, 0
	.set _ZN9rocsparseL14kernel_freerunILi1024ELi1EdiiEEvT3_S1_T2_PKS2_S4_PKS1_PKT1_21rocsparse_index_base_S4_S4_S6_PS7_SB_SA_S4_S4_S6_SB_SB_SA_SB_SB_.uses_vcc, 1
	.set _ZN9rocsparseL14kernel_freerunILi1024ELi1EdiiEEvT3_S1_T2_PKS2_S4_PKS1_PKT1_21rocsparse_index_base_S4_S4_S6_PS7_SB_SA_S4_S4_S6_SB_SB_SA_SB_SB_.uses_flat_scratch, 0
	.set _ZN9rocsparseL14kernel_freerunILi1024ELi1EdiiEEvT3_S1_T2_PKS2_S4_PKS1_PKT1_21rocsparse_index_base_S4_S4_S6_PS7_SB_SA_S4_S4_S6_SB_SB_SA_SB_SB_.has_dyn_sized_stack, 0
	.set _ZN9rocsparseL14kernel_freerunILi1024ELi1EdiiEEvT3_S1_T2_PKS2_S4_PKS1_PKT1_21rocsparse_index_base_S4_S4_S6_PS7_SB_SA_S4_S4_S6_SB_SB_SA_SB_SB_.has_recursion, 0
	.set _ZN9rocsparseL14kernel_freerunILi1024ELi1EdiiEEvT3_S1_T2_PKS2_S4_PKS1_PKT1_21rocsparse_index_base_S4_S4_S6_PS7_SB_SA_S4_S4_S6_SB_SB_SA_SB_SB_.has_indirect_call, 0
	.section	.AMDGPU.csdata,"",@progbits
; Kernel info:
; codeLenInByte = 1976
; TotalNumSgprs: 72
; NumVgprs: 31
; ScratchSize: 0
; MemoryBound: 1
; FloatMode: 240
; IeeeMode: 1
; LDSByteSize: 0 bytes/workgroup (compile time only)
; SGPRBlocks: 8
; VGPRBlocks: 7
; NumSGPRsForWavesPerEU: 72
; NumVGPRsForWavesPerEU: 31
; Occupancy: 8
; WaveLimiterHint : 1
; COMPUTE_PGM_RSRC2:SCRATCH_EN: 0
; COMPUTE_PGM_RSRC2:USER_SGPR: 6
; COMPUTE_PGM_RSRC2:TRAP_HANDLER: 0
; COMPUTE_PGM_RSRC2:TGID_X_EN: 1
; COMPUTE_PGM_RSRC2:TGID_Y_EN: 0
; COMPUTE_PGM_RSRC2:TGID_Z_EN: 0
; COMPUTE_PGM_RSRC2:TIDIG_COMP_CNT: 0
	.section	.text._ZN9rocsparseL14kernel_freerunILi1024ELi2EdiiEEvT3_S1_T2_PKS2_S4_PKS1_PKT1_21rocsparse_index_base_S4_S4_S6_PS7_SB_SA_S4_S4_S6_SB_SB_SA_SB_SB_,"axG",@progbits,_ZN9rocsparseL14kernel_freerunILi1024ELi2EdiiEEvT3_S1_T2_PKS2_S4_PKS1_PKT1_21rocsparse_index_base_S4_S4_S6_PS7_SB_SA_S4_S4_S6_SB_SB_SA_SB_SB_,comdat
	.globl	_ZN9rocsparseL14kernel_freerunILi1024ELi2EdiiEEvT3_S1_T2_PKS2_S4_PKS1_PKT1_21rocsparse_index_base_S4_S4_S6_PS7_SB_SA_S4_S4_S6_SB_SB_SA_SB_SB_ ; -- Begin function _ZN9rocsparseL14kernel_freerunILi1024ELi2EdiiEEvT3_S1_T2_PKS2_S4_PKS1_PKT1_21rocsparse_index_base_S4_S4_S6_PS7_SB_SA_S4_S4_S6_SB_SB_SA_SB_SB_
	.p2align	8
	.type	_ZN9rocsparseL14kernel_freerunILi1024ELi2EdiiEEvT3_S1_T2_PKS2_S4_PKS1_PKT1_21rocsparse_index_base_S4_S4_S6_PS7_SB_SA_S4_S4_S6_SB_SB_SA_SB_SB_,@function
_ZN9rocsparseL14kernel_freerunILi1024ELi2EdiiEEvT3_S1_T2_PKS2_S4_PKS1_PKT1_21rocsparse_index_base_S4_S4_S6_PS7_SB_SA_S4_S4_S6_SB_SB_SA_SB_SB_: ; @_ZN9rocsparseL14kernel_freerunILi1024ELi2EdiiEEvT3_S1_T2_PKS2_S4_PKS1_PKT1_21rocsparse_index_base_S4_S4_S6_PS7_SB_SA_S4_S4_S6_SB_SB_SA_SB_SB_
; %bb.0:
	s_load_dwordx2 s[14:15], s[4:5], 0x0
	v_lshrrev_b32_e32 v1, 1, v0
	s_lshl_b32 s69, s6, 10
	v_or_b32_e32 v1, s69, v1
	s_mov_b32 s33, 0
	s_waitcnt lgkmcnt(0)
	s_cmp_gt_i32 s14, 0
	v_cmp_gt_i32_e32 vcc, s15, v1
	s_cselect_b64 s[0:1], -1, 0
	s_and_b64 s[0:1], vcc, s[0:1]
	s_and_saveexec_b64 s[2:3], s[0:1]
	s_cbranch_execz .LBB15_90
; %bb.1:
	s_load_dwordx8 s[16:23], s[4:5], 0x38
	v_ashrrev_i32_e32 v2, 31, v1
	v_lshlrev_b64 v[8:9], 2, v[1:2]
	s_load_dwordx8 s[24:31], s[4:5], 0x10
	s_addk_i32 s69, 0x400
	s_waitcnt lgkmcnt(0)
	v_mov_b32_e32 v3, s17
	v_add_co_u32_e32 v2, vcc, s16, v8
	v_addc_co_u32_e32 v3, vcc, v3, v9, vcc
	v_mov_b32_e32 v5, s19
	v_add_co_u32_e32 v4, vcc, s18, v8
	v_addc_co_u32_e32 v5, vcc, v5, v9, vcc
	global_load_dword v11, v[2:3], off
	v_mov_b32_e32 v7, s25
	v_add_co_u32_e32 v6, vcc, s24, v8
	v_addc_co_u32_e32 v7, vcc, v7, v9, vcc
	v_mov_b32_e32 v10, s27
	v_add_co_u32_e32 v8, vcc, s26, v8
	v_addc_co_u32_e32 v9, vcc, v10, v9, vcc
	global_load_dword v12, v[4:5], off
	global_load_dword v13, v[6:7], off
	;; [unrolled: 1-line block ×3, first 2 shown]
	s_load_dword s66, s[4:5], 0x60
	s_load_dwordx2 s[34:35], s[4:5], 0x58
	s_load_dwordx4 s[24:27], s[4:5], 0x98
	s_load_dwordx8 s[36:43], s[4:5], 0x68
	s_load_dword s67, s[4:5], 0x30
	s_load_dwordx2 s[44:45], s[4:5], 0x88
	s_load_dword s68, s[4:5], 0x90
	v_and_b32_e32 v10, 1, v0
	v_cmp_eq_u32_e64 s[2:3], 0, v10
	s_waitcnt lgkmcnt(0)
	v_subrev_u32_e32 v26, s67, v10
	v_subrev_u32_e32 v27, s66, v10
	;; [unrolled: 1-line block ×3, first 2 shown]
	v_mov_b32_e32 v16, s21
	v_or_b32_e32 v0, 0x200, v1
	v_mov_b32_e32 v17, s23
	s_movk_i32 s70, 0x1f8
	v_cmp_gt_u32_e64 s[0:1], s69, v1
	v_cmp_gt_i32_e64 s[4:5], s15, v0
	s_waitcnt vmcnt(3)
	v_subrev_u32_e32 v10, s66, v11
	s_waitcnt vmcnt(2)
	v_sub_u32_e32 v29, v12, v11
	v_ashrrev_i32_e32 v11, 31, v10
	s_waitcnt vmcnt(1)
	v_add_u32_e32 v30, v26, v13
	v_lshlrev_b64 v[12:13], 2, v[10:11]
	s_waitcnt vmcnt(0)
	v_subrev_u32_e32 v31, s67, v14
	v_lshlrev_b64 v[14:15], 3, v[10:11]
	v_add_co_u32_e32 v32, vcc, s20, v12
	v_addc_co_u32_e32 v33, vcc, v16, v13, vcc
	v_add_co_u32_e32 v34, vcc, s22, v14
	v_cmp_lt_i32_e64 s[6:7], v30, v31
	v_cmp_lt_i32_e64 s[8:9], 0, v29
	v_addc_co_u32_e32 v35, vcc, v17, v15, vcc
	v_mov_b32_e32 v12, 0
	s_branch .LBB15_3
.LBB15_2:                               ;   in Loop: Header=BB15_3 Depth=1
	s_or_b64 exec, exec, s[10:11]
	s_add_i32 s33, s33, 1
	s_cmp_eq_u32 s33, s14
	s_cbranch_scc1 .LBB15_90
.LBB15_3:                               ; =>This Loop Header: Depth=1
                                        ;     Child Loop BB15_6 Depth 2
                                        ;       Child Loop BB15_10 Depth 3
                                        ;       Child Loop BB15_26 Depth 3
	;; [unrolled: 1-line block ×3, first 2 shown]
                                        ;     Child Loop BB15_44 Depth 2
                                        ;       Child Loop BB15_48 Depth 3
                                        ;       Child Loop BB15_64 Depth 3
                                        ;       Child Loop BB15_74 Depth 3
                                        ;     Child Loop BB15_81 Depth 2
                                        ;       Child Loop BB15_84 Depth 3
                                        ;       Child Loop BB15_87 Depth 3
	s_and_saveexec_b64 s[12:13], s[6:7]
	s_cbranch_execz .LBB15_40
; %bb.4:                                ;   in Loop: Header=BB15_3 Depth=1
	s_mov_b64 s[46:47], 0
	v_mov_b32_e32 v13, v30
	s_branch .LBB15_6
.LBB15_5:                               ;   in Loop: Header=BB15_6 Depth=2
	s_or_b64 exec, exec, s[48:49]
	v_add_u32_e32 v13, 2, v13
	v_cmp_ge_i32_e32 vcc, v13, v31
	s_or_b64 s[46:47], vcc, s[46:47]
	s_andn2_b64 exec, exec, s[46:47]
	s_cbranch_execz .LBB15_40
.LBB15_6:                               ;   Parent Loop BB15_3 Depth=1
                                        ; =>  This Loop Header: Depth=2
                                        ;       Child Loop BB15_10 Depth 3
                                        ;       Child Loop BB15_26 Depth 3
	;; [unrolled: 1-line block ×3, first 2 shown]
	v_ashrrev_i32_e32 v14, 31, v13
	v_lshlrev_b64 v[15:16], 2, v[13:14]
	v_mov_b32_e32 v11, s29
	v_add_co_u32_e32 v15, vcc, s28, v15
	v_addc_co_u32_e32 v16, vcc, v11, v16, vcc
	global_load_dword v11, v[15:16], off
	v_mov_b32_e32 v20, s37
	v_mov_b32_e32 v21, s39
	s_waitcnt vmcnt(0)
	v_subrev_u32_e32 v15, s67, v11
	v_ashrrev_i32_e32 v16, 31, v15
	v_lshlrev_b64 v[17:18], 2, v[15:16]
	v_add_co_u32_e32 v19, vcc, s36, v17
	v_addc_co_u32_e32 v20, vcc, v20, v18, vcc
	v_add_co_u32_e32 v17, vcc, s38, v17
	v_addc_co_u32_e32 v18, vcc, v21, v18, vcc
	global_load_dword v11, v[19:20], off
	s_nop 0
	global_load_dword v19, v[17:18], off
	v_mov_b32_e32 v18, 0
	v_mov_b32_e32 v20, 0
	;; [unrolled: 1-line block ×3, first 2 shown]
	s_waitcnt vmcnt(1)
	v_subrev_u32_e32 v17, s68, v11
	s_waitcnt vmcnt(0)
	v_sub_u32_e32 v25, v19, v11
	v_mov_b32_e32 v11, v18
	s_and_saveexec_b64 s[10:11], s[8:9]
	s_cbranch_execz .LBB15_14
; %bb.7:                                ;   in Loop: Header=BB15_6 Depth=2
	v_ashrrev_i32_e32 v18, 31, v17
	v_lshlrev_b64 v[19:20], 2, v[17:18]
	v_mov_b32_e32 v11, s41
	v_add_co_u32_e32 v22, vcc, s40, v19
	v_lshlrev_b64 v[18:19], 3, v[17:18]
	v_addc_co_u32_e32 v23, vcc, v11, v20, vcc
	v_mov_b32_e32 v11, s43
	v_add_co_u32_e32 v24, vcc, s42, v18
	v_addc_co_u32_e32 v36, vcc, v11, v19, vcc
	v_mov_b32_e32 v20, 0
	v_mov_b32_e32 v11, 0
	;; [unrolled: 1-line block ×3, first 2 shown]
	s_mov_b64 s[48:49], 0
	v_mov_b32_e32 v18, v11
                                        ; implicit-def: $sgpr50_sgpr51
	s_branch .LBB15_10
.LBB15_8:                               ;   in Loop: Header=BB15_10 Depth=3
	s_or_b64 exec, exec, s[54:55]
	v_cmp_le_i32_e32 vcc, v37, v38
	v_addc_co_u32_e32 v11, vcc, 0, v11, vcc
	v_cmp_ge_i32_e32 vcc, v37, v38
	v_addc_co_u32_e32 v18, vcc, 0, v18, vcc
	v_cmp_ge_i32_e32 vcc, v11, v29
	s_andn2_b64 s[50:51], s[50:51], exec
	s_and_b64 s[54:55], vcc, exec
	s_or_b64 s[50:51], s[50:51], s[54:55]
.LBB15_9:                               ;   in Loop: Header=BB15_10 Depth=3
	s_or_b64 exec, exec, s[52:53]
	s_and_b64 s[52:53], exec, s[50:51]
	s_or_b64 s[48:49], s[52:53], s[48:49]
	s_andn2_b64 exec, exec, s[48:49]
	s_cbranch_execz .LBB15_13
.LBB15_10:                              ;   Parent Loop BB15_3 Depth=1
                                        ;     Parent Loop BB15_6 Depth=2
                                        ; =>    This Inner Loop Header: Depth=3
	v_cmp_lt_i32_e32 vcc, v18, v25
	s_or_b64 s[50:51], s[50:51], exec
	s_and_saveexec_b64 s[52:53], vcc
	s_cbranch_execz .LBB15_9
; %bb.11:                               ;   in Loop: Header=BB15_10 Depth=3
	v_lshlrev_b64 v[37:38], 2, v[11:12]
	v_mov_b32_e32 v19, v12
	v_add_co_u32_e32 v37, vcc, v32, v37
	v_addc_co_u32_e32 v38, vcc, v33, v38, vcc
	global_load_dword v39, v[37:38], off
	v_lshlrev_b64 v[37:38], 2, v[18:19]
	v_add_co_u32_e32 v37, vcc, v22, v37
	v_addc_co_u32_e32 v38, vcc, v23, v38, vcc
	global_load_dword v38, v[37:38], off
	s_waitcnt vmcnt(1)
	v_subrev_u32_e32 v37, s66, v39
	s_waitcnt vmcnt(0)
	v_subrev_u32_e32 v38, s68, v38
	v_cmp_eq_u32_e32 vcc, v37, v38
	s_and_saveexec_b64 s[54:55], vcc
	s_cbranch_execz .LBB15_8
; %bb.12:                               ;   in Loop: Header=BB15_10 Depth=3
	v_lshlrev_b64 v[39:40], 3, v[11:12]
	v_lshlrev_b64 v[41:42], 3, v[18:19]
	v_add_co_u32_e32 v39, vcc, v34, v39
	v_addc_co_u32_e32 v40, vcc, v35, v40, vcc
	v_add_co_u32_e32 v41, vcc, v24, v41
	v_addc_co_u32_e32 v42, vcc, v36, v42, vcc
	global_load_dwordx2 v[39:40], v[39:40], off
	s_nop 0
	global_load_dwordx2 v[41:42], v[41:42], off
	s_waitcnt vmcnt(0)
	v_fma_f64 v[20:21], v[39:40], v[41:42], v[20:21]
	s_branch .LBB15_8
.LBB15_13:                              ;   in Loop: Header=BB15_6 Depth=2
	s_or_b64 exec, exec, s[48:49]
.LBB15_14:                              ;   in Loop: Header=BB15_6 Depth=2
	s_or_b64 exec, exec, s[10:11]
	v_lshlrev_b64 v[22:23], 3, v[13:14]
	v_mov_b32_e32 v14, s31
	v_add_co_u32_e32 v22, vcc, s30, v22
	v_addc_co_u32_e32 v23, vcc, v14, v23, vcc
	global_load_dwordx2 v[22:23], v[22:23], off
	v_cmp_le_i32_e64 s[10:11], v1, v15
	v_cmp_gt_i32_e32 vcc, v1, v15
	s_waitcnt vmcnt(0)
	v_add_f64 v[19:20], v[22:23], -v[20:21]
	s_and_saveexec_b64 s[48:49], vcc
	s_cbranch_execz .LBB15_18
; %bb.15:                               ;   in Loop: Header=BB15_6 Depth=2
	v_lshlrev_b64 v[21:22], 3, v[15:16]
	v_mov_b32_e32 v14, s25
	v_add_co_u32_e32 v21, vcc, s24, v21
	v_addc_co_u32_e32 v22, vcc, v14, v22, vcc
	global_load_dwordx2 v[21:22], v[21:22], off
	v_mov_b32_e32 v23, 0
	v_mov_b32_e32 v24, 0
	s_waitcnt vmcnt(0)
	v_cmp_lg_f64_e32 vcc, 0, v[21:22]
	s_and_saveexec_b64 s[50:51], vcc
	s_cbranch_execz .LBB15_17
; %bb.16:                               ;   in Loop: Header=BB15_6 Depth=2
	v_div_scale_f64 v[23:24], s[52:53], v[21:22], v[21:22], v[19:20]
	v_div_scale_f64 v[40:41], vcc, v[19:20], v[21:22], v[19:20]
	v_rcp_f64_e32 v[36:37], v[23:24]
	v_fma_f64 v[38:39], -v[23:24], v[36:37], 1.0
	v_fma_f64 v[36:37], v[36:37], v[38:39], v[36:37]
	v_fma_f64 v[38:39], -v[23:24], v[36:37], 1.0
	v_fma_f64 v[36:37], v[36:37], v[38:39], v[36:37]
	v_mul_f64 v[38:39], v[40:41], v[36:37]
	v_fma_f64 v[23:24], -v[23:24], v[38:39], v[40:41]
	v_div_fmas_f64 v[23:24], v[23:24], v[36:37], v[38:39]
	v_div_fixup_f64 v[23:24], v[23:24], v[21:22], v[19:20]
.LBB15_17:                              ;   in Loop: Header=BB15_6 Depth=2
	s_or_b64 exec, exec, s[50:51]
	v_mov_b32_e32 v19, v23
	v_mov_b32_e32 v20, v24
.LBB15_18:                              ;   in Loop: Header=BB15_6 Depth=2
	s_or_b64 exec, exec, s[48:49]
	v_cmp_class_f64_e64 s[50:51], v[19:20], s70
	s_and_saveexec_b64 s[48:49], s[50:51]
	s_cbranch_execz .LBB15_5
; %bb.19:                               ;   in Loop: Header=BB15_6 Depth=2
	s_and_saveexec_b64 s[50:51], s[10:11]
	s_xor_b64 s[10:11], exec, s[50:51]
	s_cbranch_execz .LBB15_32
; %bb.20:                               ;   in Loop: Header=BB15_6 Depth=2
	v_cmp_ge_i32_e32 vcc, v1, v15
	s_and_saveexec_b64 s[50:51], vcc
	s_xor_b64 s[50:51], exec, s[50:51]
	s_cbranch_execz .LBB15_22
; %bb.21:                               ;   in Loop: Header=BB15_6 Depth=2
	v_lshlrev_b64 v[14:15], 3, v[15:16]
	v_mov_b32_e32 v11, s27
	v_add_co_u32_e32 v14, vcc, s26, v14
	v_addc_co_u32_e32 v15, vcc, v11, v15, vcc
	global_store_dwordx2 v[14:15], v[19:20], off
                                        ; implicit-def: $vgpr18
                                        ; implicit-def: $vgpr25
                                        ; implicit-def: $vgpr19_vgpr20
                                        ; implicit-def: $vgpr17
.LBB15_22:                              ;   in Loop: Header=BB15_6 Depth=2
	s_andn2_saveexec_b64 s[50:51], s[50:51]
	s_cbranch_execz .LBB15_31
; %bb.23:                               ;   in Loop: Header=BB15_6 Depth=2
	v_cmp_lt_i32_e32 vcc, v18, v25
	s_and_saveexec_b64 s[52:53], vcc
	s_cbranch_execz .LBB15_30
; %bb.24:                               ;   in Loop: Header=BB15_6 Depth=2
	s_mov_b64 s[54:55], 0
                                        ; implicit-def: $sgpr56_sgpr57
                                        ; implicit-def: $sgpr60_sgpr61
                                        ; implicit-def: $sgpr58_sgpr59
	s_branch .LBB15_26
.LBB15_25:                              ;   in Loop: Header=BB15_26 Depth=3
	s_or_b64 exec, exec, s[62:63]
	s_and_b64 s[62:63], exec, s[60:61]
	s_or_b64 s[54:55], s[62:63], s[54:55]
	s_andn2_b64 s[56:57], s[56:57], exec
	s_and_b64 s[62:63], s[58:59], exec
	s_or_b64 s[56:57], s[56:57], s[62:63]
	s_andn2_b64 exec, exec, s[54:55]
	s_cbranch_execz .LBB15_28
.LBB15_26:                              ;   Parent Loop BB15_3 Depth=1
                                        ;     Parent Loop BB15_6 Depth=2
                                        ; =>    This Inner Loop Header: Depth=3
	v_add_u32_e32 v14, v17, v18
	v_ashrrev_i32_e32 v15, 31, v14
	v_lshlrev_b64 v[21:22], 2, v[14:15]
	v_mov_b32_e32 v11, s41
	v_add_co_u32_e32 v21, vcc, s40, v21
	v_addc_co_u32_e32 v22, vcc, v11, v22, vcc
	global_load_dword v11, v[21:22], off
	s_or_b64 s[58:59], s[58:59], exec
	s_or_b64 s[60:61], s[60:61], exec
	s_waitcnt vmcnt(0)
	v_subrev_u32_e32 v11, s68, v11
	v_cmp_ne_u32_e32 vcc, v11, v1
	s_and_saveexec_b64 s[62:63], vcc
	s_cbranch_execz .LBB15_25
; %bb.27:                               ;   in Loop: Header=BB15_26 Depth=3
	v_add_u32_e32 v18, 1, v18
	v_cmp_ge_i32_e32 vcc, v18, v25
	s_andn2_b64 s[60:61], s[60:61], exec
	s_and_b64 s[64:65], vcc, exec
	s_andn2_b64 s[58:59], s[58:59], exec
	s_or_b64 s[60:61], s[60:61], s[64:65]
	s_branch .LBB15_25
.LBB15_28:                              ;   in Loop: Header=BB15_6 Depth=2
	s_or_b64 exec, exec, s[54:55]
	s_and_saveexec_b64 s[54:55], s[56:57]
	s_xor_b64 s[54:55], exec, s[54:55]
	s_cbranch_execz .LBB15_30
; %bb.29:                               ;   in Loop: Header=BB15_6 Depth=2
	v_lshlrev_b64 v[14:15], 3, v[14:15]
	v_mov_b32_e32 v11, s45
	v_add_co_u32_e32 v14, vcc, s44, v14
	v_addc_co_u32_e32 v15, vcc, v11, v15, vcc
	global_store_dwordx2 v[14:15], v[19:20], off
.LBB15_30:                              ;   in Loop: Header=BB15_6 Depth=2
	s_or_b64 exec, exec, s[52:53]
.LBB15_31:                              ;   in Loop: Header=BB15_6 Depth=2
	s_or_b64 exec, exec, s[50:51]
                                        ; implicit-def: $vgpr19_vgpr20
                                        ; implicit-def: $vgpr15_vgpr16
.LBB15_32:                              ;   in Loop: Header=BB15_6 Depth=2
	s_andn2_saveexec_b64 s[10:11], s[10:11]
	s_cbranch_execz .LBB15_5
; %bb.33:                               ;   in Loop: Header=BB15_6 Depth=2
	v_cmp_lt_i32_e32 vcc, v11, v29
	s_and_b64 exec, exec, vcc
	s_cbranch_execz .LBB15_5
; %bb.34:                               ;   in Loop: Header=BB15_6 Depth=2
	s_mov_b64 s[10:11], 0
                                        ; implicit-def: $sgpr50_sgpr51
                                        ; implicit-def: $sgpr54_sgpr55
                                        ; implicit-def: $sgpr52_sgpr53
	s_branch .LBB15_36
.LBB15_35:                              ;   in Loop: Header=BB15_36 Depth=3
	s_or_b64 exec, exec, s[56:57]
	s_and_b64 s[56:57], exec, s[54:55]
	s_or_b64 s[10:11], s[56:57], s[10:11]
	s_andn2_b64 s[50:51], s[50:51], exec
	s_and_b64 s[56:57], s[52:53], exec
	s_or_b64 s[50:51], s[50:51], s[56:57]
	s_andn2_b64 exec, exec, s[10:11]
	s_cbranch_execz .LBB15_38
.LBB15_36:                              ;   Parent Loop BB15_3 Depth=1
                                        ;     Parent Loop BB15_6 Depth=2
                                        ; =>    This Inner Loop Header: Depth=3
	v_add_u32_e32 v16, v10, v11
	v_ashrrev_i32_e32 v17, 31, v16
	v_lshlrev_b64 v[21:22], 2, v[16:17]
	v_mov_b32_e32 v14, s21
	v_add_co_u32_e32 v21, vcc, s20, v21
	v_addc_co_u32_e32 v22, vcc, v14, v22, vcc
	global_load_dword v14, v[21:22], off
	s_or_b64 s[52:53], s[52:53], exec
	s_or_b64 s[54:55], s[54:55], exec
	s_waitcnt vmcnt(0)
	v_subrev_u32_e32 v14, s66, v14
	v_cmp_ne_u32_e32 vcc, v14, v15
	s_and_saveexec_b64 s[56:57], vcc
	s_cbranch_execz .LBB15_35
; %bb.37:                               ;   in Loop: Header=BB15_36 Depth=3
	v_add_u32_e32 v11, 1, v11
	v_cmp_ge_i32_e32 vcc, v11, v29
	s_andn2_b64 s[54:55], s[54:55], exec
	s_and_b64 s[58:59], vcc, exec
	s_andn2_b64 s[52:53], s[52:53], exec
	s_or_b64 s[54:55], s[54:55], s[58:59]
	s_branch .LBB15_35
.LBB15_38:                              ;   in Loop: Header=BB15_6 Depth=2
	s_or_b64 exec, exec, s[10:11]
	s_and_saveexec_b64 s[10:11], s[50:51]
	s_xor_b64 s[10:11], exec, s[10:11]
	s_cbranch_execz .LBB15_5
; %bb.39:                               ;   in Loop: Header=BB15_6 Depth=2
	v_lshlrev_b64 v[14:15], 3, v[16:17]
	v_mov_b32_e32 v11, s35
	v_add_co_u32_e32 v14, vcc, s34, v14
	v_addc_co_u32_e32 v15, vcc, v11, v15, vcc
	global_store_dwordx2 v[14:15], v[19:20], off
	s_branch .LBB15_5
.LBB15_40:                              ;   in Loop: Header=BB15_3 Depth=1
	s_or_b64 exec, exec, s[12:13]
	s_and_saveexec_b64 s[46:47], s[4:5]
	s_cbranch_execz .LBB15_78
; %bb.41:                               ;   in Loop: Header=BB15_3 Depth=1
	global_load_dword v11, v[6:7], off offset:2048
	global_load_dword v14, v[8:9], off offset:2048
	s_waitcnt vmcnt(1)
	v_add_u32_e32 v13, v26, v11
	s_waitcnt vmcnt(0)
	v_subrev_u32_e32 v36, s67, v14
	v_cmp_lt_i32_e32 vcc, v13, v36
	s_and_b64 exec, exec, vcc
	s_cbranch_execz .LBB15_78
; %bb.42:                               ;   in Loop: Header=BB15_3 Depth=1
	global_load_dword v11, v[2:3], off offset:2048
	global_load_dword v14, v[4:5], off offset:2048
	v_mov_b32_e32 v21, s21
	v_mov_b32_e32 v22, s23
	s_mov_b64 s[48:49], 0
	s_waitcnt vmcnt(1)
	v_subrev_u32_e32 v15, s66, v11
	v_ashrrev_i32_e32 v16, 31, v15
	v_lshlrev_b64 v[17:18], 2, v[15:16]
	v_lshlrev_b64 v[19:20], 3, v[15:16]
	v_add_co_u32_e32 v38, vcc, s20, v17
	v_addc_co_u32_e32 v39, vcc, v21, v18, vcc
	s_waitcnt vmcnt(0)
	v_sub_u32_e32 v37, v14, v11
	v_add_co_u32_e32 v40, vcc, s22, v19
	v_cmp_lt_i32_e64 s[10:11], 0, v37
	v_addc_co_u32_e32 v41, vcc, v22, v20, vcc
	s_branch .LBB15_44
.LBB15_43:                              ;   in Loop: Header=BB15_44 Depth=2
	s_or_b64 exec, exec, s[50:51]
	v_add_u32_e32 v13, 2, v13
	v_cmp_ge_i32_e32 vcc, v13, v36
	s_or_b64 s[48:49], vcc, s[48:49]
	s_andn2_b64 exec, exec, s[48:49]
	s_cbranch_execz .LBB15_78
.LBB15_44:                              ;   Parent Loop BB15_3 Depth=1
                                        ; =>  This Loop Header: Depth=2
                                        ;       Child Loop BB15_48 Depth 3
                                        ;       Child Loop BB15_64 Depth 3
	;; [unrolled: 1-line block ×3, first 2 shown]
	v_ashrrev_i32_e32 v14, 31, v13
	v_lshlrev_b64 v[16:17], 2, v[13:14]
	v_mov_b32_e32 v11, s29
	v_add_co_u32_e32 v16, vcc, s28, v16
	v_addc_co_u32_e32 v17, vcc, v11, v17, vcc
	global_load_dword v11, v[16:17], off
	v_mov_b32_e32 v21, s37
	v_mov_b32_e32 v22, s39
	s_waitcnt vmcnt(0)
	v_subrev_u32_e32 v16, s67, v11
	v_ashrrev_i32_e32 v17, 31, v16
	v_lshlrev_b64 v[18:19], 2, v[16:17]
	v_add_co_u32_e32 v20, vcc, s36, v18
	v_addc_co_u32_e32 v21, vcc, v21, v19, vcc
	v_add_co_u32_e32 v18, vcc, s38, v18
	v_addc_co_u32_e32 v19, vcc, v22, v19, vcc
	global_load_dword v11, v[20:21], off
	s_nop 0
	global_load_dword v20, v[18:19], off
	v_mov_b32_e32 v19, 0
	v_mov_b32_e32 v21, 0
	;; [unrolled: 1-line block ×3, first 2 shown]
	s_waitcnt vmcnt(1)
	v_subrev_u32_e32 v18, s68, v11
	s_waitcnt vmcnt(0)
	v_sub_u32_e32 v42, v20, v11
	v_mov_b32_e32 v11, v19
	s_and_saveexec_b64 s[12:13], s[10:11]
	s_cbranch_execz .LBB15_52
; %bb.45:                               ;   in Loop: Header=BB15_44 Depth=2
	v_ashrrev_i32_e32 v19, 31, v18
	v_lshlrev_b64 v[20:21], 2, v[18:19]
	v_mov_b32_e32 v11, s41
	v_add_co_u32_e32 v23, vcc, s40, v20
	v_lshlrev_b64 v[19:20], 3, v[18:19]
	v_addc_co_u32_e32 v24, vcc, v11, v21, vcc
	v_mov_b32_e32 v11, s43
	v_add_co_u32_e32 v25, vcc, s42, v19
	v_addc_co_u32_e32 v43, vcc, v11, v20, vcc
	v_mov_b32_e32 v21, 0
	v_mov_b32_e32 v11, 0
	;; [unrolled: 1-line block ×3, first 2 shown]
	s_mov_b64 s[50:51], 0
	v_mov_b32_e32 v19, v11
                                        ; implicit-def: $sgpr52_sgpr53
	s_branch .LBB15_48
.LBB15_46:                              ;   in Loop: Header=BB15_48 Depth=3
	s_or_b64 exec, exec, s[56:57]
	v_cmp_le_i32_e32 vcc, v44, v45
	v_addc_co_u32_e32 v11, vcc, 0, v11, vcc
	v_cmp_ge_i32_e32 vcc, v44, v45
	v_addc_co_u32_e32 v19, vcc, 0, v19, vcc
	v_cmp_ge_i32_e32 vcc, v11, v37
	s_andn2_b64 s[52:53], s[52:53], exec
	s_and_b64 s[56:57], vcc, exec
	s_or_b64 s[52:53], s[52:53], s[56:57]
.LBB15_47:                              ;   in Loop: Header=BB15_48 Depth=3
	s_or_b64 exec, exec, s[54:55]
	s_and_b64 s[54:55], exec, s[52:53]
	s_or_b64 s[50:51], s[54:55], s[50:51]
	s_andn2_b64 exec, exec, s[50:51]
	s_cbranch_execz .LBB15_51
.LBB15_48:                              ;   Parent Loop BB15_3 Depth=1
                                        ;     Parent Loop BB15_44 Depth=2
                                        ; =>    This Inner Loop Header: Depth=3
	v_cmp_lt_i32_e32 vcc, v19, v42
	s_or_b64 s[52:53], s[52:53], exec
	s_and_saveexec_b64 s[54:55], vcc
	s_cbranch_execz .LBB15_47
; %bb.49:                               ;   in Loop: Header=BB15_48 Depth=3
	v_lshlrev_b64 v[44:45], 2, v[11:12]
	v_mov_b32_e32 v20, v12
	v_add_co_u32_e32 v44, vcc, v38, v44
	v_addc_co_u32_e32 v45, vcc, v39, v45, vcc
	global_load_dword v46, v[44:45], off
	v_lshlrev_b64 v[44:45], 2, v[19:20]
	v_add_co_u32_e32 v44, vcc, v23, v44
	v_addc_co_u32_e32 v45, vcc, v24, v45, vcc
	global_load_dword v45, v[44:45], off
	s_waitcnt vmcnt(1)
	v_subrev_u32_e32 v44, s66, v46
	s_waitcnt vmcnt(0)
	v_subrev_u32_e32 v45, s68, v45
	v_cmp_eq_u32_e32 vcc, v44, v45
	s_and_saveexec_b64 s[56:57], vcc
	s_cbranch_execz .LBB15_46
; %bb.50:                               ;   in Loop: Header=BB15_48 Depth=3
	v_lshlrev_b64 v[46:47], 3, v[11:12]
	v_lshlrev_b64 v[48:49], 3, v[19:20]
	v_add_co_u32_e32 v46, vcc, v40, v46
	v_addc_co_u32_e32 v47, vcc, v41, v47, vcc
	v_add_co_u32_e32 v48, vcc, v25, v48
	v_addc_co_u32_e32 v49, vcc, v43, v49, vcc
	global_load_dwordx2 v[46:47], v[46:47], off
	s_nop 0
	global_load_dwordx2 v[48:49], v[48:49], off
	s_waitcnt vmcnt(0)
	v_fma_f64 v[21:22], v[46:47], v[48:49], v[21:22]
	s_branch .LBB15_46
.LBB15_51:                              ;   in Loop: Header=BB15_44 Depth=2
	s_or_b64 exec, exec, s[50:51]
.LBB15_52:                              ;   in Loop: Header=BB15_44 Depth=2
	s_or_b64 exec, exec, s[12:13]
	v_lshlrev_b64 v[23:24], 3, v[13:14]
	v_mov_b32_e32 v14, s31
	v_add_co_u32_e32 v23, vcc, s30, v23
	v_addc_co_u32_e32 v24, vcc, v14, v24, vcc
	global_load_dwordx2 v[23:24], v[23:24], off
	v_cmp_le_i32_e64 s[12:13], v0, v16
	v_cmp_gt_i32_e32 vcc, v0, v16
	s_waitcnt vmcnt(0)
	v_add_f64 v[20:21], v[23:24], -v[21:22]
	s_and_saveexec_b64 s[50:51], vcc
	s_cbranch_execz .LBB15_56
; %bb.53:                               ;   in Loop: Header=BB15_44 Depth=2
	v_lshlrev_b64 v[22:23], 3, v[16:17]
	v_mov_b32_e32 v14, s25
	v_add_co_u32_e32 v22, vcc, s24, v22
	v_addc_co_u32_e32 v23, vcc, v14, v23, vcc
	global_load_dwordx2 v[22:23], v[22:23], off
	v_mov_b32_e32 v24, 0
	v_mov_b32_e32 v25, 0
	s_waitcnt vmcnt(0)
	v_cmp_lg_f64_e32 vcc, 0, v[22:23]
	s_and_saveexec_b64 s[52:53], vcc
	s_cbranch_execz .LBB15_55
; %bb.54:                               ;   in Loop: Header=BB15_44 Depth=2
	v_div_scale_f64 v[24:25], s[54:55], v[22:23], v[22:23], v[20:21]
	v_div_scale_f64 v[47:48], vcc, v[20:21], v[22:23], v[20:21]
	v_rcp_f64_e32 v[43:44], v[24:25]
	v_fma_f64 v[45:46], -v[24:25], v[43:44], 1.0
	v_fma_f64 v[43:44], v[43:44], v[45:46], v[43:44]
	v_fma_f64 v[45:46], -v[24:25], v[43:44], 1.0
	v_fma_f64 v[43:44], v[43:44], v[45:46], v[43:44]
	v_mul_f64 v[45:46], v[47:48], v[43:44]
	v_fma_f64 v[24:25], -v[24:25], v[45:46], v[47:48]
	v_div_fmas_f64 v[24:25], v[24:25], v[43:44], v[45:46]
	v_div_fixup_f64 v[24:25], v[24:25], v[22:23], v[20:21]
.LBB15_55:                              ;   in Loop: Header=BB15_44 Depth=2
	s_or_b64 exec, exec, s[52:53]
	v_mov_b32_e32 v20, v24
	v_mov_b32_e32 v21, v25
.LBB15_56:                              ;   in Loop: Header=BB15_44 Depth=2
	s_or_b64 exec, exec, s[50:51]
	v_cmp_class_f64_e64 s[52:53], v[20:21], s70
	s_and_saveexec_b64 s[50:51], s[52:53]
	s_cbranch_execz .LBB15_43
; %bb.57:                               ;   in Loop: Header=BB15_44 Depth=2
	s_and_saveexec_b64 s[52:53], s[12:13]
	s_xor_b64 s[12:13], exec, s[52:53]
	s_cbranch_execz .LBB15_70
; %bb.58:                               ;   in Loop: Header=BB15_44 Depth=2
	v_cmp_ge_i32_e32 vcc, v0, v16
	s_and_saveexec_b64 s[52:53], vcc
	s_xor_b64 s[52:53], exec, s[52:53]
	s_cbranch_execz .LBB15_60
; %bb.59:                               ;   in Loop: Header=BB15_44 Depth=2
	v_lshlrev_b64 v[16:17], 3, v[16:17]
	v_mov_b32_e32 v11, s27
	v_add_co_u32_e32 v16, vcc, s26, v16
	v_addc_co_u32_e32 v17, vcc, v11, v17, vcc
	global_store_dwordx2 v[16:17], v[20:21], off
                                        ; implicit-def: $vgpr19
                                        ; implicit-def: $vgpr42
                                        ; implicit-def: $vgpr20_vgpr21
                                        ; implicit-def: $vgpr18
.LBB15_60:                              ;   in Loop: Header=BB15_44 Depth=2
	s_andn2_saveexec_b64 s[52:53], s[52:53]
	s_cbranch_execz .LBB15_69
; %bb.61:                               ;   in Loop: Header=BB15_44 Depth=2
	v_cmp_lt_i32_e32 vcc, v19, v42
	s_and_saveexec_b64 s[54:55], vcc
	s_cbranch_execz .LBB15_68
; %bb.62:                               ;   in Loop: Header=BB15_44 Depth=2
	s_mov_b64 s[56:57], 0
                                        ; implicit-def: $sgpr58_sgpr59
                                        ; implicit-def: $sgpr62_sgpr63
                                        ; implicit-def: $sgpr60_sgpr61
	s_branch .LBB15_64
.LBB15_63:                              ;   in Loop: Header=BB15_64 Depth=3
	s_or_b64 exec, exec, s[64:65]
	s_and_b64 s[64:65], exec, s[62:63]
	s_or_b64 s[56:57], s[64:65], s[56:57]
	s_andn2_b64 s[58:59], s[58:59], exec
	s_and_b64 s[64:65], s[60:61], exec
	s_or_b64 s[58:59], s[58:59], s[64:65]
	s_andn2_b64 exec, exec, s[56:57]
	s_cbranch_execz .LBB15_66
.LBB15_64:                              ;   Parent Loop BB15_3 Depth=1
                                        ;     Parent Loop BB15_44 Depth=2
                                        ; =>    This Inner Loop Header: Depth=3
	v_add_u32_e32 v16, v18, v19
	v_ashrrev_i32_e32 v17, 31, v16
	v_lshlrev_b64 v[22:23], 2, v[16:17]
	v_mov_b32_e32 v11, s41
	v_add_co_u32_e32 v22, vcc, s40, v22
	v_addc_co_u32_e32 v23, vcc, v11, v23, vcc
	global_load_dword v11, v[22:23], off
	s_or_b64 s[60:61], s[60:61], exec
	s_or_b64 s[62:63], s[62:63], exec
	s_waitcnt vmcnt(0)
	v_subrev_u32_e32 v11, s68, v11
	v_cmp_ne_u32_e32 vcc, v11, v0
	s_and_saveexec_b64 s[64:65], vcc
	s_cbranch_execz .LBB15_63
; %bb.65:                               ;   in Loop: Header=BB15_64 Depth=3
	v_add_u32_e32 v19, 1, v19
	v_cmp_ge_i32_e32 vcc, v19, v42
	s_andn2_b64 s[62:63], s[62:63], exec
	s_and_b64 s[72:73], vcc, exec
	s_andn2_b64 s[60:61], s[60:61], exec
	s_or_b64 s[62:63], s[62:63], s[72:73]
	s_branch .LBB15_63
.LBB15_66:                              ;   in Loop: Header=BB15_44 Depth=2
	s_or_b64 exec, exec, s[56:57]
	s_and_saveexec_b64 s[56:57], s[58:59]
	s_xor_b64 s[56:57], exec, s[56:57]
	s_cbranch_execz .LBB15_68
; %bb.67:                               ;   in Loop: Header=BB15_44 Depth=2
	v_lshlrev_b64 v[16:17], 3, v[16:17]
	v_mov_b32_e32 v11, s45
	v_add_co_u32_e32 v16, vcc, s44, v16
	v_addc_co_u32_e32 v17, vcc, v11, v17, vcc
	global_store_dwordx2 v[16:17], v[20:21], off
.LBB15_68:                              ;   in Loop: Header=BB15_44 Depth=2
	s_or_b64 exec, exec, s[54:55]
.LBB15_69:                              ;   in Loop: Header=BB15_44 Depth=2
	s_or_b64 exec, exec, s[52:53]
                                        ; implicit-def: $vgpr20_vgpr21
                                        ; implicit-def: $vgpr16_vgpr17
.LBB15_70:                              ;   in Loop: Header=BB15_44 Depth=2
	s_andn2_saveexec_b64 s[12:13], s[12:13]
	s_cbranch_execz .LBB15_43
; %bb.71:                               ;   in Loop: Header=BB15_44 Depth=2
	v_cmp_lt_i32_e32 vcc, v11, v37
	s_and_b64 exec, exec, vcc
	s_cbranch_execz .LBB15_43
; %bb.72:                               ;   in Loop: Header=BB15_44 Depth=2
	s_mov_b64 s[12:13], 0
                                        ; implicit-def: $sgpr52_sgpr53
                                        ; implicit-def: $sgpr56_sgpr57
                                        ; implicit-def: $sgpr54_sgpr55
	s_branch .LBB15_74
.LBB15_73:                              ;   in Loop: Header=BB15_74 Depth=3
	s_or_b64 exec, exec, s[58:59]
	s_and_b64 s[58:59], exec, s[56:57]
	s_or_b64 s[12:13], s[58:59], s[12:13]
	s_andn2_b64 s[52:53], s[52:53], exec
	s_and_b64 s[58:59], s[54:55], exec
	s_or_b64 s[52:53], s[52:53], s[58:59]
	s_andn2_b64 exec, exec, s[12:13]
	s_cbranch_execz .LBB15_76
.LBB15_74:                              ;   Parent Loop BB15_3 Depth=1
                                        ;     Parent Loop BB15_44 Depth=2
                                        ; =>    This Inner Loop Header: Depth=3
	v_add_u32_e32 v17, v15, v11
	v_ashrrev_i32_e32 v18, 31, v17
	v_lshlrev_b64 v[22:23], 2, v[17:18]
	v_mov_b32_e32 v14, s21
	v_add_co_u32_e32 v22, vcc, s20, v22
	v_addc_co_u32_e32 v23, vcc, v14, v23, vcc
	global_load_dword v14, v[22:23], off
	s_or_b64 s[54:55], s[54:55], exec
	s_or_b64 s[56:57], s[56:57], exec
	s_waitcnt vmcnt(0)
	v_subrev_u32_e32 v14, s66, v14
	v_cmp_ne_u32_e32 vcc, v14, v16
	s_and_saveexec_b64 s[58:59], vcc
	s_cbranch_execz .LBB15_73
; %bb.75:                               ;   in Loop: Header=BB15_74 Depth=3
	v_add_u32_e32 v11, 1, v11
	v_cmp_ge_i32_e32 vcc, v11, v37
	s_andn2_b64 s[56:57], s[56:57], exec
	s_and_b64 s[60:61], vcc, exec
	s_andn2_b64 s[54:55], s[54:55], exec
	s_or_b64 s[56:57], s[56:57], s[60:61]
	s_branch .LBB15_73
.LBB15_76:                              ;   in Loop: Header=BB15_44 Depth=2
	s_or_b64 exec, exec, s[12:13]
	s_and_saveexec_b64 s[12:13], s[52:53]
	s_xor_b64 s[12:13], exec, s[12:13]
	s_cbranch_execz .LBB15_43
; %bb.77:                               ;   in Loop: Header=BB15_44 Depth=2
	v_lshlrev_b64 v[16:17], 3, v[17:18]
	v_mov_b32_e32 v11, s35
	v_add_co_u32_e32 v16, vcc, s34, v16
	v_addc_co_u32_e32 v17, vcc, v11, v17, vcc
	global_store_dwordx2 v[16:17], v[20:21], off
	s_branch .LBB15_43
.LBB15_78:                              ;   in Loop: Header=BB15_3 Depth=1
	s_or_b64 exec, exec, s[46:47]
	s_and_saveexec_b64 s[10:11], s[0:1]
	s_cbranch_execz .LBB15_2
; %bb.79:                               ;   in Loop: Header=BB15_3 Depth=1
	s_mov_b64 s[12:13], 0
	v_mov_b32_e32 v13, v1
	s_branch .LBB15_81
.LBB15_80:                              ;   in Loop: Header=BB15_81 Depth=2
	s_or_b64 exec, exec, s[46:47]
	v_add_u32_e32 v13, 0x200, v13
	v_cmp_le_u32_e32 vcc, s69, v13
	s_or_b64 s[12:13], vcc, s[12:13]
	s_andn2_b64 exec, exec, s[12:13]
	s_cbranch_execz .LBB15_2
.LBB15_81:                              ;   Parent Loop BB15_3 Depth=1
                                        ; =>  This Loop Header: Depth=2
                                        ;       Child Loop BB15_84 Depth 3
                                        ;       Child Loop BB15_87 Depth 3
	v_cmp_gt_i32_e32 vcc, s15, v13
	s_and_saveexec_b64 s[46:47], vcc
	s_cbranch_execz .LBB15_80
; %bb.82:                               ;   in Loop: Header=BB15_81 Depth=2
	v_ashrrev_i32_e32 v14, 31, v13
	v_lshlrev_b64 v[15:16], 2, v[13:14]
	v_mov_b32_e32 v11, s17
	v_add_co_u32_e32 v17, vcc, s16, v15
	v_addc_co_u32_e32 v18, vcc, v11, v16, vcc
	global_load_dword v11, v[17:18], off
	v_mov_b32_e32 v18, s19
	v_add_co_u32_e32 v17, vcc, s18, v15
	v_addc_co_u32_e32 v18, vcc, v18, v16, vcc
	global_load_dword v18, v[17:18], off
	s_waitcnt vmcnt(1)
	v_add_u32_e32 v17, v27, v11
	s_waitcnt vmcnt(0)
	v_subrev_u32_e32 v11, s66, v18
	v_cmp_lt_i32_e32 vcc, v17, v11
	s_and_saveexec_b64 s[48:49], vcc
	s_cbranch_execz .LBB15_85
; %bb.83:                               ;   in Loop: Header=BB15_81 Depth=2
	v_ashrrev_i32_e32 v18, 31, v17
	v_lshlrev_b64 v[20:21], 3, v[17:18]
	v_mov_b32_e32 v19, s35
	v_add_co_u32_e32 v18, vcc, s34, v20
	v_addc_co_u32_e32 v19, vcc, v19, v21, vcc
	v_mov_b32_e32 v22, s23
	v_add_co_u32_e32 v20, vcc, s22, v20
	v_addc_co_u32_e32 v21, vcc, v22, v21, vcc
	s_mov_b64 s[50:51], 0
.LBB15_84:                              ;   Parent Loop BB15_3 Depth=1
                                        ;     Parent Loop BB15_81 Depth=2
                                        ; =>    This Inner Loop Header: Depth=3
	global_load_dwordx2 v[22:23], v[18:19], off
	v_add_co_u32_e32 v18, vcc, 16, v18
	v_add_u32_e32 v17, 2, v17
	v_addc_co_u32_e32 v19, vcc, 0, v19, vcc
	v_cmp_ge_i32_e32 vcc, v17, v11
	s_or_b64 s[50:51], vcc, s[50:51]
	s_waitcnt vmcnt(0)
	global_store_dwordx2 v[20:21], v[22:23], off
	v_add_co_u32_e32 v20, vcc, 16, v20
	v_addc_co_u32_e32 v21, vcc, 0, v21, vcc
	s_andn2_b64 exec, exec, s[50:51]
	s_cbranch_execnz .LBB15_84
.LBB15_85:                              ;   in Loop: Header=BB15_81 Depth=2
	s_or_b64 exec, exec, s[48:49]
	v_mov_b32_e32 v11, s37
	v_add_co_u32_e32 v17, vcc, s36, v15
	v_addc_co_u32_e32 v18, vcc, v11, v16, vcc
	global_load_dword v11, v[17:18], off
	v_mov_b32_e32 v17, s39
	v_add_co_u32_e32 v15, vcc, s38, v15
	v_addc_co_u32_e32 v16, vcc, v17, v16, vcc
	global_load_dword v16, v[15:16], off
	s_waitcnt vmcnt(1)
	v_add_u32_e32 v15, v28, v11
	s_waitcnt vmcnt(0)
	v_subrev_u32_e32 v11, s68, v16
	v_cmp_lt_i32_e32 vcc, v15, v11
	s_and_saveexec_b64 s[48:49], vcc
	s_cbranch_execz .LBB15_88
; %bb.86:                               ;   in Loop: Header=BB15_81 Depth=2
	v_ashrrev_i32_e32 v16, 31, v15
	v_lshlrev_b64 v[18:19], 3, v[15:16]
	v_mov_b32_e32 v17, s45
	v_add_co_u32_e32 v16, vcc, s44, v18
	v_addc_co_u32_e32 v17, vcc, v17, v19, vcc
	v_mov_b32_e32 v20, s43
	v_add_co_u32_e32 v18, vcc, s42, v18
	v_addc_co_u32_e32 v19, vcc, v20, v19, vcc
	s_mov_b64 s[50:51], 0
.LBB15_87:                              ;   Parent Loop BB15_3 Depth=1
                                        ;     Parent Loop BB15_81 Depth=2
                                        ; =>    This Inner Loop Header: Depth=3
	global_load_dwordx2 v[20:21], v[16:17], off
	v_add_co_u32_e32 v16, vcc, 16, v16
	v_add_u32_e32 v15, 2, v15
	v_addc_co_u32_e32 v17, vcc, 0, v17, vcc
	v_cmp_ge_i32_e32 vcc, v15, v11
	s_or_b64 s[50:51], vcc, s[50:51]
	s_waitcnt vmcnt(0)
	global_store_dwordx2 v[18:19], v[20:21], off
	v_add_co_u32_e32 v18, vcc, 16, v18
	v_addc_co_u32_e32 v19, vcc, 0, v19, vcc
	s_andn2_b64 exec, exec, s[50:51]
	s_cbranch_execnz .LBB15_87
.LBB15_88:                              ;   in Loop: Header=BB15_81 Depth=2
	s_or_b64 exec, exec, s[48:49]
	s_and_b64 exec, exec, s[2:3]
	s_cbranch_execz .LBB15_80
; %bb.89:                               ;   in Loop: Header=BB15_81 Depth=2
	v_lshlrev_b64 v[14:15], 3, v[13:14]
	v_mov_b32_e32 v11, s27
	v_add_co_u32_e32 v16, vcc, s26, v14
	v_addc_co_u32_e32 v17, vcc, v11, v15, vcc
	global_load_dwordx2 v[16:17], v[16:17], off
	v_mov_b32_e32 v11, s25
	v_add_co_u32_e32 v14, vcc, s24, v14
	v_addc_co_u32_e32 v15, vcc, v11, v15, vcc
	s_waitcnt vmcnt(0)
	global_store_dwordx2 v[14:15], v[16:17], off
	s_branch .LBB15_80
.LBB15_90:
	s_endpgm
	.section	.rodata,"a",@progbits
	.p2align	6, 0x0
	.amdhsa_kernel _ZN9rocsparseL14kernel_freerunILi1024ELi2EdiiEEvT3_S1_T2_PKS2_S4_PKS1_PKT1_21rocsparse_index_base_S4_S4_S6_PS7_SB_SA_S4_S4_S6_SB_SB_SA_SB_SB_
		.amdhsa_group_segment_fixed_size 0
		.amdhsa_private_segment_fixed_size 0
		.amdhsa_kernarg_size 168
		.amdhsa_user_sgpr_count 6
		.amdhsa_user_sgpr_private_segment_buffer 1
		.amdhsa_user_sgpr_dispatch_ptr 0
		.amdhsa_user_sgpr_queue_ptr 0
		.amdhsa_user_sgpr_kernarg_segment_ptr 1
		.amdhsa_user_sgpr_dispatch_id 0
		.amdhsa_user_sgpr_flat_scratch_init 0
		.amdhsa_user_sgpr_private_segment_size 0
		.amdhsa_uses_dynamic_stack 0
		.amdhsa_system_sgpr_private_segment_wavefront_offset 0
		.amdhsa_system_sgpr_workgroup_id_x 1
		.amdhsa_system_sgpr_workgroup_id_y 0
		.amdhsa_system_sgpr_workgroup_id_z 0
		.amdhsa_system_sgpr_workgroup_info 0
		.amdhsa_system_vgpr_workitem_id 0
		.amdhsa_next_free_vgpr 50
		.amdhsa_next_free_sgpr 74
		.amdhsa_reserve_vcc 1
		.amdhsa_reserve_flat_scratch 0
		.amdhsa_float_round_mode_32 0
		.amdhsa_float_round_mode_16_64 0
		.amdhsa_float_denorm_mode_32 3
		.amdhsa_float_denorm_mode_16_64 3
		.amdhsa_dx10_clamp 1
		.amdhsa_ieee_mode 1
		.amdhsa_fp16_overflow 0
		.amdhsa_exception_fp_ieee_invalid_op 0
		.amdhsa_exception_fp_denorm_src 0
		.amdhsa_exception_fp_ieee_div_zero 0
		.amdhsa_exception_fp_ieee_overflow 0
		.amdhsa_exception_fp_ieee_underflow 0
		.amdhsa_exception_fp_ieee_inexact 0
		.amdhsa_exception_int_div_zero 0
	.end_amdhsa_kernel
	.section	.text._ZN9rocsparseL14kernel_freerunILi1024ELi2EdiiEEvT3_S1_T2_PKS2_S4_PKS1_PKT1_21rocsparse_index_base_S4_S4_S6_PS7_SB_SA_S4_S4_S6_SB_SB_SA_SB_SB_,"axG",@progbits,_ZN9rocsparseL14kernel_freerunILi1024ELi2EdiiEEvT3_S1_T2_PKS2_S4_PKS1_PKT1_21rocsparse_index_base_S4_S4_S6_PS7_SB_SA_S4_S4_S6_SB_SB_SA_SB_SB_,comdat
.Lfunc_end15:
	.size	_ZN9rocsparseL14kernel_freerunILi1024ELi2EdiiEEvT3_S1_T2_PKS2_S4_PKS1_PKT1_21rocsparse_index_base_S4_S4_S6_PS7_SB_SA_S4_S4_S6_SB_SB_SA_SB_SB_, .Lfunc_end15-_ZN9rocsparseL14kernel_freerunILi1024ELi2EdiiEEvT3_S1_T2_PKS2_S4_PKS1_PKT1_21rocsparse_index_base_S4_S4_S6_PS7_SB_SA_S4_S4_S6_SB_SB_SA_SB_SB_
                                        ; -- End function
	.set _ZN9rocsparseL14kernel_freerunILi1024ELi2EdiiEEvT3_S1_T2_PKS2_S4_PKS1_PKT1_21rocsparse_index_base_S4_S4_S6_PS7_SB_SA_S4_S4_S6_SB_SB_SA_SB_SB_.num_vgpr, 50
	.set _ZN9rocsparseL14kernel_freerunILi1024ELi2EdiiEEvT3_S1_T2_PKS2_S4_PKS1_PKT1_21rocsparse_index_base_S4_S4_S6_PS7_SB_SA_S4_S4_S6_SB_SB_SA_SB_SB_.num_agpr, 0
	.set _ZN9rocsparseL14kernel_freerunILi1024ELi2EdiiEEvT3_S1_T2_PKS2_S4_PKS1_PKT1_21rocsparse_index_base_S4_S4_S6_PS7_SB_SA_S4_S4_S6_SB_SB_SA_SB_SB_.numbered_sgpr, 74
	.set _ZN9rocsparseL14kernel_freerunILi1024ELi2EdiiEEvT3_S1_T2_PKS2_S4_PKS1_PKT1_21rocsparse_index_base_S4_S4_S6_PS7_SB_SA_S4_S4_S6_SB_SB_SA_SB_SB_.num_named_barrier, 0
	.set _ZN9rocsparseL14kernel_freerunILi1024ELi2EdiiEEvT3_S1_T2_PKS2_S4_PKS1_PKT1_21rocsparse_index_base_S4_S4_S6_PS7_SB_SA_S4_S4_S6_SB_SB_SA_SB_SB_.private_seg_size, 0
	.set _ZN9rocsparseL14kernel_freerunILi1024ELi2EdiiEEvT3_S1_T2_PKS2_S4_PKS1_PKT1_21rocsparse_index_base_S4_S4_S6_PS7_SB_SA_S4_S4_S6_SB_SB_SA_SB_SB_.uses_vcc, 1
	.set _ZN9rocsparseL14kernel_freerunILi1024ELi2EdiiEEvT3_S1_T2_PKS2_S4_PKS1_PKT1_21rocsparse_index_base_S4_S4_S6_PS7_SB_SA_S4_S4_S6_SB_SB_SA_SB_SB_.uses_flat_scratch, 0
	.set _ZN9rocsparseL14kernel_freerunILi1024ELi2EdiiEEvT3_S1_T2_PKS2_S4_PKS1_PKT1_21rocsparse_index_base_S4_S4_S6_PS7_SB_SA_S4_S4_S6_SB_SB_SA_SB_SB_.has_dyn_sized_stack, 0
	.set _ZN9rocsparseL14kernel_freerunILi1024ELi2EdiiEEvT3_S1_T2_PKS2_S4_PKS1_PKT1_21rocsparse_index_base_S4_S4_S6_PS7_SB_SA_S4_S4_S6_SB_SB_SA_SB_SB_.has_recursion, 0
	.set _ZN9rocsparseL14kernel_freerunILi1024ELi2EdiiEEvT3_S1_T2_PKS2_S4_PKS1_PKT1_21rocsparse_index_base_S4_S4_S6_PS7_SB_SA_S4_S4_S6_SB_SB_SA_SB_SB_.has_indirect_call, 0
	.section	.AMDGPU.csdata,"",@progbits
; Kernel info:
; codeLenInByte = 3332
; TotalNumSgprs: 78
; NumVgprs: 50
; ScratchSize: 0
; MemoryBound: 1
; FloatMode: 240
; IeeeMode: 1
; LDSByteSize: 0 bytes/workgroup (compile time only)
; SGPRBlocks: 9
; VGPRBlocks: 12
; NumSGPRsForWavesPerEU: 78
; NumVGPRsForWavesPerEU: 50
; Occupancy: 4
; WaveLimiterHint : 1
; COMPUTE_PGM_RSRC2:SCRATCH_EN: 0
; COMPUTE_PGM_RSRC2:USER_SGPR: 6
; COMPUTE_PGM_RSRC2:TRAP_HANDLER: 0
; COMPUTE_PGM_RSRC2:TGID_X_EN: 1
; COMPUTE_PGM_RSRC2:TGID_Y_EN: 0
; COMPUTE_PGM_RSRC2:TGID_Z_EN: 0
; COMPUTE_PGM_RSRC2:TIDIG_COMP_CNT: 0
	.section	.text._ZN9rocsparseL14kernel_freerunILi1024ELi4EdiiEEvT3_S1_T2_PKS2_S4_PKS1_PKT1_21rocsparse_index_base_S4_S4_S6_PS7_SB_SA_S4_S4_S6_SB_SB_SA_SB_SB_,"axG",@progbits,_ZN9rocsparseL14kernel_freerunILi1024ELi4EdiiEEvT3_S1_T2_PKS2_S4_PKS1_PKT1_21rocsparse_index_base_S4_S4_S6_PS7_SB_SA_S4_S4_S6_SB_SB_SA_SB_SB_,comdat
	.globl	_ZN9rocsparseL14kernel_freerunILi1024ELi4EdiiEEvT3_S1_T2_PKS2_S4_PKS1_PKT1_21rocsparse_index_base_S4_S4_S6_PS7_SB_SA_S4_S4_S6_SB_SB_SA_SB_SB_ ; -- Begin function _ZN9rocsparseL14kernel_freerunILi1024ELi4EdiiEEvT3_S1_T2_PKS2_S4_PKS1_PKT1_21rocsparse_index_base_S4_S4_S6_PS7_SB_SA_S4_S4_S6_SB_SB_SA_SB_SB_
	.p2align	8
	.type	_ZN9rocsparseL14kernel_freerunILi1024ELi4EdiiEEvT3_S1_T2_PKS2_S4_PKS1_PKT1_21rocsparse_index_base_S4_S4_S6_PS7_SB_SA_S4_S4_S6_SB_SB_SA_SB_SB_,@function
_ZN9rocsparseL14kernel_freerunILi1024ELi4EdiiEEvT3_S1_T2_PKS2_S4_PKS1_PKT1_21rocsparse_index_base_S4_S4_S6_PS7_SB_SA_S4_S4_S6_SB_SB_SA_SB_SB_: ; @_ZN9rocsparseL14kernel_freerunILi1024ELi4EdiiEEvT3_S1_T2_PKS2_S4_PKS1_PKT1_21rocsparse_index_base_S4_S4_S6_PS7_SB_SA_S4_S4_S6_SB_SB_SA_SB_SB_
; %bb.0:
	s_load_dwordx2 s[34:35], s[4:5], 0x0
	v_lshrrev_b32_e32 v1, 2, v0
	s_lshl_b32 s67, s6, 10
	v_or_b32_e32 v16, s67, v1
	s_mov_b32 s33, 0
	s_waitcnt lgkmcnt(0)
	s_cmp_gt_i32 s34, 0
	v_cmp_gt_i32_e32 vcc, s35, v16
	s_cselect_b64 s[0:1], -1, 0
	s_and_b64 s[0:1], vcc, s[0:1]
	s_and_saveexec_b64 s[2:3], s[0:1]
	s_cbranch_execz .LBB16_55
; %bb.1:
	s_load_dwordx4 s[36:39], s[4:5], 0x98
	s_load_dwordx8 s[8:15], s[4:5], 0x68
	s_load_dwordx8 s[16:23], s[4:5], 0x38
	;; [unrolled: 1-line block ×3, first 2 shown]
	s_load_dword s64, s[4:5], 0x30
	s_load_dwordx2 s[40:41], s[4:5], 0x58
	s_load_dword s65, s[4:5], 0x60
	s_load_dwordx2 s[42:43], s[4:5], 0x88
	s_load_dword s66, s[4:5], 0x90
	v_and_b32_e32 v0, 3, v0
	s_addk_i32 s67, 0x400
	s_waitcnt lgkmcnt(0)
	v_subrev_u32_e32 v17, s64, v0
	v_cmp_gt_u32_e64 s[0:1], s67, v16
	v_subrev_u32_e32 v18, s65, v0
	v_subrev_u32_e32 v19, s66, v0
	v_cmp_eq_u32_e64 s[2:3], 0, v0
	v_mov_b32_e32 v1, 0
	s_movk_i32 s68, 0x1f8
	s_branch .LBB16_3
.LBB16_2:                               ;   in Loop: Header=BB16_3 Depth=1
	s_or_b64 exec, exec, s[4:5]
	s_add_i32 s33, s33, 1
	s_cmp_eq_u32 s33, s34
	s_cbranch_scc1 .LBB16_55
.LBB16_3:                               ; =>This Loop Header: Depth=1
                                        ;     Child Loop BB16_5 Depth 2
                                        ;       Child Loop BB16_9 Depth 3
                                        ;         Child Loop BB16_13 Depth 4
                                        ;         Child Loop BB16_29 Depth 4
	;; [unrolled: 1-line block ×3, first 2 shown]
                                        ;     Child Loop BB16_46 Depth 2
                                        ;       Child Loop BB16_49 Depth 3
                                        ;       Child Loop BB16_52 Depth 3
	s_mov_b32 s69, 0
	s_branch .LBB16_5
.LBB16_4:                               ;   in Loop: Header=BB16_5 Depth=2
	s_or_b64 exec, exec, s[44:45]
	s_add_i32 s69, s69, 1
	s_cmp_eq_u32 s69, 4
	s_cbranch_scc1 .LBB16_43
.LBB16_5:                               ;   Parent Loop BB16_3 Depth=1
                                        ; =>  This Loop Header: Depth=2
                                        ;       Child Loop BB16_9 Depth 3
                                        ;         Child Loop BB16_13 Depth 4
                                        ;         Child Loop BB16_29 Depth 4
	;; [unrolled: 1-line block ×3, first 2 shown]
	v_lshl_add_u32 v2, s69, 8, v16
	v_cmp_gt_i32_e32 vcc, s35, v2
	s_and_saveexec_b64 s[44:45], vcc
	s_cbranch_execz .LBB16_4
; %bb.6:                                ;   in Loop: Header=BB16_5 Depth=2
	v_ashrrev_i32_e32 v3, 31, v2
	v_lshlrev_b64 v[4:5], 2, v[2:3]
	v_mov_b32_e32 v0, s25
	v_add_co_u32_e32 v6, vcc, s24, v4
	v_addc_co_u32_e32 v7, vcc, v0, v5, vcc
	global_load_dword v0, v[6:7], off
	v_mov_b32_e32 v3, s27
	v_add_co_u32_e32 v6, vcc, s26, v4
	v_addc_co_u32_e32 v7, vcc, v3, v5, vcc
	global_load_dword v6, v[6:7], off
	s_waitcnt vmcnt(1)
	v_add_u32_e32 v3, v17, v0
	s_waitcnt vmcnt(0)
	v_subrev_u32_e32 v20, s64, v6
	v_cmp_lt_i32_e32 vcc, v3, v20
	s_and_b64 exec, exec, vcc
	s_cbranch_execz .LBB16_4
; %bb.7:                                ;   in Loop: Header=BB16_5 Depth=2
	v_mov_b32_e32 v0, s19
	v_add_co_u32_e32 v6, vcc, s18, v4
	v_addc_co_u32_e32 v7, vcc, v0, v5, vcc
	v_mov_b32_e32 v0, s17
	v_add_co_u32_e32 v4, vcc, s16, v4
	v_addc_co_u32_e32 v5, vcc, v0, v5, vcc
	global_load_dword v0, v[4:5], off
	global_load_dword v8, v[6:7], off
	v_mov_b32_e32 v4, s21
	v_mov_b32_e32 v11, s23
	s_mov_b64 s[46:47], 0
	s_waitcnt vmcnt(1)
	v_subrev_u32_e32 v5, s65, v0
	v_ashrrev_i32_e32 v6, 31, v5
	s_waitcnt vmcnt(0)
	v_sub_u32_e32 v21, v8, v0
	v_lshlrev_b64 v[7:8], 2, v[5:6]
	v_lshlrev_b64 v[9:10], 3, v[5:6]
	v_add_co_u32_e32 v22, vcc, s20, v7
	v_addc_co_u32_e32 v23, vcc, v4, v8, vcc
	v_add_co_u32_e32 v24, vcc, s22, v9
	v_cmp_lt_i32_e64 s[4:5], 0, v21
	v_addc_co_u32_e32 v25, vcc, v11, v10, vcc
	s_branch .LBB16_9
.LBB16_8:                               ;   in Loop: Header=BB16_9 Depth=3
	s_or_b64 exec, exec, s[48:49]
	v_add_u32_e32 v3, 4, v3
	v_cmp_ge_i32_e32 vcc, v3, v20
	s_or_b64 s[46:47], vcc, s[46:47]
	s_andn2_b64 exec, exec, s[46:47]
	s_cbranch_execz .LBB16_4
.LBB16_9:                               ;   Parent Loop BB16_3 Depth=1
                                        ;     Parent Loop BB16_5 Depth=2
                                        ; =>    This Loop Header: Depth=3
                                        ;         Child Loop BB16_13 Depth 4
                                        ;         Child Loop BB16_29 Depth 4
	;; [unrolled: 1-line block ×3, first 2 shown]
	v_ashrrev_i32_e32 v4, 31, v3
	v_lshlrev_b64 v[6:7], 2, v[3:4]
	v_mov_b32_e32 v0, s29
	v_add_co_u32_e32 v6, vcc, s28, v6
	v_addc_co_u32_e32 v7, vcc, v0, v7, vcc
	global_load_dword v0, v[6:7], off
	v_mov_b32_e32 v11, s9
	v_mov_b32_e32 v12, s11
	s_waitcnt vmcnt(0)
	v_subrev_u32_e32 v6, s64, v0
	v_ashrrev_i32_e32 v7, 31, v6
	v_lshlrev_b64 v[8:9], 2, v[6:7]
	v_add_co_u32_e32 v10, vcc, s8, v8
	v_addc_co_u32_e32 v11, vcc, v11, v9, vcc
	v_add_co_u32_e32 v8, vcc, s10, v8
	v_addc_co_u32_e32 v9, vcc, v12, v9, vcc
	global_load_dword v0, v[10:11], off
	s_nop 0
	global_load_dword v10, v[8:9], off
	v_mov_b32_e32 v9, 0
	v_mov_b32_e32 v11, 0
	;; [unrolled: 1-line block ×3, first 2 shown]
	s_waitcnt vmcnt(1)
	v_subrev_u32_e32 v8, s66, v0
	s_waitcnt vmcnt(0)
	v_sub_u32_e32 v26, v10, v0
	v_mov_b32_e32 v0, v9
	s_and_saveexec_b64 s[6:7], s[4:5]
	s_cbranch_execz .LBB16_17
; %bb.10:                               ;   in Loop: Header=BB16_9 Depth=3
	v_ashrrev_i32_e32 v9, 31, v8
	v_lshlrev_b64 v[10:11], 2, v[8:9]
	v_mov_b32_e32 v0, s13
	v_add_co_u32_e32 v13, vcc, s12, v10
	v_lshlrev_b64 v[9:10], 3, v[8:9]
	v_addc_co_u32_e32 v14, vcc, v0, v11, vcc
	v_mov_b32_e32 v0, s15
	v_add_co_u32_e32 v15, vcc, s14, v9
	v_addc_co_u32_e32 v27, vcc, v0, v10, vcc
	v_mov_b32_e32 v11, 0
	v_mov_b32_e32 v0, 0
	;; [unrolled: 1-line block ×3, first 2 shown]
	s_mov_b64 s[48:49], 0
	v_mov_b32_e32 v9, v0
                                        ; implicit-def: $sgpr50_sgpr51
	s_branch .LBB16_13
.LBB16_11:                              ;   in Loop: Header=BB16_13 Depth=4
	s_or_b64 exec, exec, s[54:55]
	v_cmp_le_i32_e32 vcc, v28, v29
	v_addc_co_u32_e32 v0, vcc, 0, v0, vcc
	v_cmp_ge_i32_e32 vcc, v28, v29
	v_addc_co_u32_e32 v9, vcc, 0, v9, vcc
	v_cmp_ge_i32_e32 vcc, v0, v21
	s_andn2_b64 s[50:51], s[50:51], exec
	s_and_b64 s[54:55], vcc, exec
	s_or_b64 s[50:51], s[50:51], s[54:55]
.LBB16_12:                              ;   in Loop: Header=BB16_13 Depth=4
	s_or_b64 exec, exec, s[52:53]
	s_and_b64 s[52:53], exec, s[50:51]
	s_or_b64 s[48:49], s[52:53], s[48:49]
	s_andn2_b64 exec, exec, s[48:49]
	s_cbranch_execz .LBB16_16
.LBB16_13:                              ;   Parent Loop BB16_3 Depth=1
                                        ;     Parent Loop BB16_5 Depth=2
                                        ;       Parent Loop BB16_9 Depth=3
                                        ; =>      This Inner Loop Header: Depth=4
	v_cmp_lt_i32_e32 vcc, v9, v26
	s_or_b64 s[50:51], s[50:51], exec
	s_and_saveexec_b64 s[52:53], vcc
	s_cbranch_execz .LBB16_12
; %bb.14:                               ;   in Loop: Header=BB16_13 Depth=4
	v_lshlrev_b64 v[28:29], 2, v[0:1]
	v_mov_b32_e32 v10, v1
	v_add_co_u32_e32 v28, vcc, v22, v28
	v_addc_co_u32_e32 v29, vcc, v23, v29, vcc
	global_load_dword v30, v[28:29], off
	v_lshlrev_b64 v[28:29], 2, v[9:10]
	v_add_co_u32_e32 v28, vcc, v13, v28
	v_addc_co_u32_e32 v29, vcc, v14, v29, vcc
	global_load_dword v29, v[28:29], off
	s_waitcnt vmcnt(1)
	v_subrev_u32_e32 v28, s65, v30
	s_waitcnt vmcnt(0)
	v_subrev_u32_e32 v29, s66, v29
	v_cmp_eq_u32_e32 vcc, v28, v29
	s_and_saveexec_b64 s[54:55], vcc
	s_cbranch_execz .LBB16_11
; %bb.15:                               ;   in Loop: Header=BB16_13 Depth=4
	v_lshlrev_b64 v[30:31], 3, v[0:1]
	v_lshlrev_b64 v[32:33], 3, v[9:10]
	v_add_co_u32_e32 v30, vcc, v24, v30
	v_addc_co_u32_e32 v31, vcc, v25, v31, vcc
	v_add_co_u32_e32 v32, vcc, v15, v32
	v_addc_co_u32_e32 v33, vcc, v27, v33, vcc
	global_load_dwordx2 v[30:31], v[30:31], off
	s_nop 0
	global_load_dwordx2 v[32:33], v[32:33], off
	s_waitcnt vmcnt(0)
	v_fma_f64 v[11:12], v[30:31], v[32:33], v[11:12]
	s_branch .LBB16_11
.LBB16_16:                              ;   in Loop: Header=BB16_9 Depth=3
	s_or_b64 exec, exec, s[48:49]
.LBB16_17:                              ;   in Loop: Header=BB16_9 Depth=3
	s_or_b64 exec, exec, s[6:7]
	v_lshlrev_b64 v[13:14], 3, v[3:4]
	v_mov_b32_e32 v4, s31
	v_add_co_u32_e32 v13, vcc, s30, v13
	v_addc_co_u32_e32 v14, vcc, v4, v14, vcc
	global_load_dwordx2 v[13:14], v[13:14], off
	v_cmp_le_i32_e64 s[6:7], v2, v6
	v_cmp_gt_i32_e32 vcc, v2, v6
	s_waitcnt vmcnt(0)
	v_add_f64 v[10:11], v[13:14], -v[11:12]
	s_and_saveexec_b64 s[48:49], vcc
	s_cbranch_execz .LBB16_21
; %bb.18:                               ;   in Loop: Header=BB16_9 Depth=3
	v_lshlrev_b64 v[12:13], 3, v[6:7]
	v_mov_b32_e32 v4, s37
	v_add_co_u32_e32 v12, vcc, s36, v12
	v_addc_co_u32_e32 v13, vcc, v4, v13, vcc
	global_load_dwordx2 v[12:13], v[12:13], off
	v_mov_b32_e32 v14, 0
	v_mov_b32_e32 v15, 0
	s_waitcnt vmcnt(0)
	v_cmp_lg_f64_e32 vcc, 0, v[12:13]
	s_and_saveexec_b64 s[50:51], vcc
	s_cbranch_execz .LBB16_20
; %bb.19:                               ;   in Loop: Header=BB16_9 Depth=3
	v_div_scale_f64 v[14:15], s[52:53], v[12:13], v[12:13], v[10:11]
	v_div_scale_f64 v[31:32], vcc, v[10:11], v[12:13], v[10:11]
	v_rcp_f64_e32 v[27:28], v[14:15]
	v_fma_f64 v[29:30], -v[14:15], v[27:28], 1.0
	v_fma_f64 v[27:28], v[27:28], v[29:30], v[27:28]
	v_fma_f64 v[29:30], -v[14:15], v[27:28], 1.0
	v_fma_f64 v[27:28], v[27:28], v[29:30], v[27:28]
	v_mul_f64 v[29:30], v[31:32], v[27:28]
	v_fma_f64 v[14:15], -v[14:15], v[29:30], v[31:32]
	v_div_fmas_f64 v[14:15], v[14:15], v[27:28], v[29:30]
	v_div_fixup_f64 v[14:15], v[14:15], v[12:13], v[10:11]
.LBB16_20:                              ;   in Loop: Header=BB16_9 Depth=3
	s_or_b64 exec, exec, s[50:51]
	v_mov_b32_e32 v10, v14
	v_mov_b32_e32 v11, v15
.LBB16_21:                              ;   in Loop: Header=BB16_9 Depth=3
	s_or_b64 exec, exec, s[48:49]
	v_cmp_class_f64_e64 s[50:51], v[10:11], s68
	s_and_saveexec_b64 s[48:49], s[50:51]
	s_cbranch_execz .LBB16_8
; %bb.22:                               ;   in Loop: Header=BB16_9 Depth=3
	s_and_saveexec_b64 s[50:51], s[6:7]
	s_xor_b64 s[6:7], exec, s[50:51]
	s_cbranch_execz .LBB16_35
; %bb.23:                               ;   in Loop: Header=BB16_9 Depth=3
	v_cmp_ge_i32_e32 vcc, v2, v6
	s_and_saveexec_b64 s[50:51], vcc
	s_xor_b64 s[50:51], exec, s[50:51]
	s_cbranch_execz .LBB16_25
; %bb.24:                               ;   in Loop: Header=BB16_9 Depth=3
	v_lshlrev_b64 v[6:7], 3, v[6:7]
	v_mov_b32_e32 v0, s39
	v_add_co_u32_e32 v6, vcc, s38, v6
	v_addc_co_u32_e32 v7, vcc, v0, v7, vcc
	global_store_dwordx2 v[6:7], v[10:11], off
                                        ; implicit-def: $vgpr9
                                        ; implicit-def: $vgpr26
                                        ; implicit-def: $vgpr10_vgpr11
                                        ; implicit-def: $vgpr8
.LBB16_25:                              ;   in Loop: Header=BB16_9 Depth=3
	s_andn2_saveexec_b64 s[50:51], s[50:51]
	s_cbranch_execz .LBB16_34
; %bb.26:                               ;   in Loop: Header=BB16_9 Depth=3
	v_cmp_lt_i32_e32 vcc, v9, v26
	s_and_saveexec_b64 s[52:53], vcc
	s_cbranch_execz .LBB16_33
; %bb.27:                               ;   in Loop: Header=BB16_9 Depth=3
	s_mov_b64 s[54:55], 0
                                        ; implicit-def: $sgpr56_sgpr57
                                        ; implicit-def: $sgpr60_sgpr61
                                        ; implicit-def: $sgpr58_sgpr59
	s_branch .LBB16_29
.LBB16_28:                              ;   in Loop: Header=BB16_29 Depth=4
	s_or_b64 exec, exec, s[62:63]
	s_and_b64 s[62:63], exec, s[60:61]
	s_or_b64 s[54:55], s[62:63], s[54:55]
	s_andn2_b64 s[56:57], s[56:57], exec
	s_and_b64 s[62:63], s[58:59], exec
	s_or_b64 s[56:57], s[56:57], s[62:63]
	s_andn2_b64 exec, exec, s[54:55]
	s_cbranch_execz .LBB16_31
.LBB16_29:                              ;   Parent Loop BB16_3 Depth=1
                                        ;     Parent Loop BB16_5 Depth=2
                                        ;       Parent Loop BB16_9 Depth=3
                                        ; =>      This Inner Loop Header: Depth=4
	v_add_u32_e32 v6, v8, v9
	v_ashrrev_i32_e32 v7, 31, v6
	v_lshlrev_b64 v[12:13], 2, v[6:7]
	v_mov_b32_e32 v0, s13
	v_add_co_u32_e32 v12, vcc, s12, v12
	v_addc_co_u32_e32 v13, vcc, v0, v13, vcc
	global_load_dword v0, v[12:13], off
	s_or_b64 s[58:59], s[58:59], exec
	s_or_b64 s[60:61], s[60:61], exec
	s_waitcnt vmcnt(0)
	v_subrev_u32_e32 v0, s66, v0
	v_cmp_ne_u32_e32 vcc, v0, v2
	s_and_saveexec_b64 s[62:63], vcc
	s_cbranch_execz .LBB16_28
; %bb.30:                               ;   in Loop: Header=BB16_29 Depth=4
	v_add_u32_e32 v9, 1, v9
	v_cmp_ge_i32_e32 vcc, v9, v26
	s_andn2_b64 s[60:61], s[60:61], exec
	s_and_b64 s[70:71], vcc, exec
	s_andn2_b64 s[58:59], s[58:59], exec
	s_or_b64 s[60:61], s[60:61], s[70:71]
	s_branch .LBB16_28
.LBB16_31:                              ;   in Loop: Header=BB16_9 Depth=3
	s_or_b64 exec, exec, s[54:55]
	s_and_saveexec_b64 s[54:55], s[56:57]
	s_xor_b64 s[54:55], exec, s[54:55]
	s_cbranch_execz .LBB16_33
; %bb.32:                               ;   in Loop: Header=BB16_9 Depth=3
	v_lshlrev_b64 v[6:7], 3, v[6:7]
	v_mov_b32_e32 v0, s43
	v_add_co_u32_e32 v6, vcc, s42, v6
	v_addc_co_u32_e32 v7, vcc, v0, v7, vcc
	global_store_dwordx2 v[6:7], v[10:11], off
.LBB16_33:                              ;   in Loop: Header=BB16_9 Depth=3
	s_or_b64 exec, exec, s[52:53]
.LBB16_34:                              ;   in Loop: Header=BB16_9 Depth=3
	s_or_b64 exec, exec, s[50:51]
                                        ; implicit-def: $vgpr10_vgpr11
                                        ; implicit-def: $vgpr6_vgpr7
.LBB16_35:                              ;   in Loop: Header=BB16_9 Depth=3
	s_andn2_saveexec_b64 s[6:7], s[6:7]
	s_cbranch_execz .LBB16_8
; %bb.36:                               ;   in Loop: Header=BB16_9 Depth=3
	v_cmp_lt_i32_e32 vcc, v0, v21
	s_and_b64 exec, exec, vcc
	s_cbranch_execz .LBB16_8
; %bb.37:                               ;   in Loop: Header=BB16_9 Depth=3
	s_mov_b64 s[6:7], 0
                                        ; implicit-def: $sgpr50_sgpr51
                                        ; implicit-def: $sgpr54_sgpr55
                                        ; implicit-def: $sgpr52_sgpr53
	s_branch .LBB16_39
.LBB16_38:                              ;   in Loop: Header=BB16_39 Depth=4
	s_or_b64 exec, exec, s[56:57]
	s_and_b64 s[56:57], exec, s[54:55]
	s_or_b64 s[6:7], s[56:57], s[6:7]
	s_andn2_b64 s[50:51], s[50:51], exec
	s_and_b64 s[56:57], s[52:53], exec
	s_or_b64 s[50:51], s[50:51], s[56:57]
	s_andn2_b64 exec, exec, s[6:7]
	s_cbranch_execz .LBB16_41
.LBB16_39:                              ;   Parent Loop BB16_3 Depth=1
                                        ;     Parent Loop BB16_5 Depth=2
                                        ;       Parent Loop BB16_9 Depth=3
                                        ; =>      This Inner Loop Header: Depth=4
	v_add_u32_e32 v7, v5, v0
	v_ashrrev_i32_e32 v8, 31, v7
	v_lshlrev_b64 v[12:13], 2, v[7:8]
	v_mov_b32_e32 v4, s21
	v_add_co_u32_e32 v12, vcc, s20, v12
	v_addc_co_u32_e32 v13, vcc, v4, v13, vcc
	global_load_dword v4, v[12:13], off
	s_or_b64 s[52:53], s[52:53], exec
	s_or_b64 s[54:55], s[54:55], exec
	s_waitcnt vmcnt(0)
	v_subrev_u32_e32 v4, s65, v4
	v_cmp_ne_u32_e32 vcc, v4, v6
	s_and_saveexec_b64 s[56:57], vcc
	s_cbranch_execz .LBB16_38
; %bb.40:                               ;   in Loop: Header=BB16_39 Depth=4
	v_add_u32_e32 v0, 1, v0
	v_cmp_ge_i32_e32 vcc, v0, v21
	s_andn2_b64 s[54:55], s[54:55], exec
	s_and_b64 s[58:59], vcc, exec
	s_andn2_b64 s[52:53], s[52:53], exec
	s_or_b64 s[54:55], s[54:55], s[58:59]
	s_branch .LBB16_38
.LBB16_41:                              ;   in Loop: Header=BB16_9 Depth=3
	s_or_b64 exec, exec, s[6:7]
	s_and_saveexec_b64 s[6:7], s[50:51]
	s_xor_b64 s[6:7], exec, s[6:7]
	s_cbranch_execz .LBB16_8
; %bb.42:                               ;   in Loop: Header=BB16_9 Depth=3
	v_lshlrev_b64 v[6:7], 3, v[7:8]
	v_mov_b32_e32 v0, s41
	v_add_co_u32_e32 v6, vcc, s40, v6
	v_addc_co_u32_e32 v7, vcc, v0, v7, vcc
	global_store_dwordx2 v[6:7], v[10:11], off
	s_branch .LBB16_8
.LBB16_43:                              ;   in Loop: Header=BB16_3 Depth=1
	s_and_saveexec_b64 s[4:5], s[0:1]
	s_cbranch_execz .LBB16_2
; %bb.44:                               ;   in Loop: Header=BB16_3 Depth=1
	s_mov_b64 s[6:7], 0
	v_mov_b32_e32 v2, v16
	s_branch .LBB16_46
.LBB16_45:                              ;   in Loop: Header=BB16_46 Depth=2
	s_or_b64 exec, exec, s[44:45]
	v_add_u32_e32 v2, 0x100, v2
	v_cmp_le_u32_e32 vcc, s67, v2
	s_or_b64 s[6:7], vcc, s[6:7]
	s_andn2_b64 exec, exec, s[6:7]
	s_cbranch_execz .LBB16_2
.LBB16_46:                              ;   Parent Loop BB16_3 Depth=1
                                        ; =>  This Loop Header: Depth=2
                                        ;       Child Loop BB16_49 Depth 3
                                        ;       Child Loop BB16_52 Depth 3
	v_cmp_gt_i32_e32 vcc, s35, v2
	s_and_saveexec_b64 s[44:45], vcc
	s_cbranch_execz .LBB16_45
; %bb.47:                               ;   in Loop: Header=BB16_46 Depth=2
	v_ashrrev_i32_e32 v3, 31, v2
	v_lshlrev_b64 v[4:5], 2, v[2:3]
	v_mov_b32_e32 v0, s17
	v_add_co_u32_e32 v6, vcc, s16, v4
	v_addc_co_u32_e32 v7, vcc, v0, v5, vcc
	global_load_dword v0, v[6:7], off
	v_mov_b32_e32 v7, s19
	v_add_co_u32_e32 v6, vcc, s18, v4
	v_addc_co_u32_e32 v7, vcc, v7, v5, vcc
	global_load_dword v7, v[6:7], off
	s_waitcnt vmcnt(1)
	v_add_u32_e32 v6, v18, v0
	s_waitcnt vmcnt(0)
	v_subrev_u32_e32 v0, s65, v7
	v_cmp_lt_i32_e32 vcc, v6, v0
	s_and_saveexec_b64 s[46:47], vcc
	s_cbranch_execz .LBB16_50
; %bb.48:                               ;   in Loop: Header=BB16_46 Depth=2
	v_ashrrev_i32_e32 v7, 31, v6
	v_lshlrev_b64 v[9:10], 3, v[6:7]
	v_mov_b32_e32 v8, s41
	v_add_co_u32_e32 v7, vcc, s40, v9
	v_addc_co_u32_e32 v8, vcc, v8, v10, vcc
	v_mov_b32_e32 v11, s23
	v_add_co_u32_e32 v9, vcc, s22, v9
	v_addc_co_u32_e32 v10, vcc, v11, v10, vcc
	s_mov_b64 s[48:49], 0
.LBB16_49:                              ;   Parent Loop BB16_3 Depth=1
                                        ;     Parent Loop BB16_46 Depth=2
                                        ; =>    This Inner Loop Header: Depth=3
	global_load_dwordx2 v[11:12], v[7:8], off
	v_add_co_u32_e32 v7, vcc, 32, v7
	v_add_u32_e32 v6, 4, v6
	v_addc_co_u32_e32 v8, vcc, 0, v8, vcc
	v_cmp_ge_i32_e32 vcc, v6, v0
	s_or_b64 s[48:49], vcc, s[48:49]
	s_waitcnt vmcnt(0)
	global_store_dwordx2 v[9:10], v[11:12], off
	v_add_co_u32_e32 v9, vcc, 32, v9
	v_addc_co_u32_e32 v10, vcc, 0, v10, vcc
	s_andn2_b64 exec, exec, s[48:49]
	s_cbranch_execnz .LBB16_49
.LBB16_50:                              ;   in Loop: Header=BB16_46 Depth=2
	s_or_b64 exec, exec, s[46:47]
	v_mov_b32_e32 v0, s9
	v_add_co_u32_e32 v6, vcc, s8, v4
	v_addc_co_u32_e32 v7, vcc, v0, v5, vcc
	global_load_dword v0, v[6:7], off
	v_mov_b32_e32 v6, s11
	v_add_co_u32_e32 v4, vcc, s10, v4
	v_addc_co_u32_e32 v5, vcc, v6, v5, vcc
	global_load_dword v5, v[4:5], off
	s_waitcnt vmcnt(1)
	v_add_u32_e32 v4, v19, v0
	s_waitcnt vmcnt(0)
	v_subrev_u32_e32 v0, s66, v5
	v_cmp_lt_i32_e32 vcc, v4, v0
	s_and_saveexec_b64 s[46:47], vcc
	s_cbranch_execz .LBB16_53
; %bb.51:                               ;   in Loop: Header=BB16_46 Depth=2
	v_ashrrev_i32_e32 v5, 31, v4
	v_lshlrev_b64 v[7:8], 3, v[4:5]
	v_mov_b32_e32 v6, s43
	v_add_co_u32_e32 v5, vcc, s42, v7
	v_addc_co_u32_e32 v6, vcc, v6, v8, vcc
	v_mov_b32_e32 v9, s15
	v_add_co_u32_e32 v7, vcc, s14, v7
	v_addc_co_u32_e32 v8, vcc, v9, v8, vcc
	s_mov_b64 s[48:49], 0
.LBB16_52:                              ;   Parent Loop BB16_3 Depth=1
                                        ;     Parent Loop BB16_46 Depth=2
                                        ; =>    This Inner Loop Header: Depth=3
	global_load_dwordx2 v[9:10], v[5:6], off
	v_add_co_u32_e32 v5, vcc, 32, v5
	v_add_u32_e32 v4, 4, v4
	v_addc_co_u32_e32 v6, vcc, 0, v6, vcc
	v_cmp_ge_i32_e32 vcc, v4, v0
	s_or_b64 s[48:49], vcc, s[48:49]
	s_waitcnt vmcnt(0)
	global_store_dwordx2 v[7:8], v[9:10], off
	v_add_co_u32_e32 v7, vcc, 32, v7
	v_addc_co_u32_e32 v8, vcc, 0, v8, vcc
	s_andn2_b64 exec, exec, s[48:49]
	s_cbranch_execnz .LBB16_52
.LBB16_53:                              ;   in Loop: Header=BB16_46 Depth=2
	s_or_b64 exec, exec, s[46:47]
	s_and_b64 exec, exec, s[2:3]
	s_cbranch_execz .LBB16_45
; %bb.54:                               ;   in Loop: Header=BB16_46 Depth=2
	v_lshlrev_b64 v[3:4], 3, v[2:3]
	v_mov_b32_e32 v0, s39
	v_add_co_u32_e32 v5, vcc, s38, v3
	v_addc_co_u32_e32 v6, vcc, v0, v4, vcc
	global_load_dwordx2 v[5:6], v[5:6], off
	v_mov_b32_e32 v0, s37
	v_add_co_u32_e32 v3, vcc, s36, v3
	v_addc_co_u32_e32 v4, vcc, v0, v4, vcc
	s_waitcnt vmcnt(0)
	global_store_dwordx2 v[3:4], v[5:6], off
	s_branch .LBB16_45
.LBB16_55:
	s_endpgm
	.section	.rodata,"a",@progbits
	.p2align	6, 0x0
	.amdhsa_kernel _ZN9rocsparseL14kernel_freerunILi1024ELi4EdiiEEvT3_S1_T2_PKS2_S4_PKS1_PKT1_21rocsparse_index_base_S4_S4_S6_PS7_SB_SA_S4_S4_S6_SB_SB_SA_SB_SB_
		.amdhsa_group_segment_fixed_size 0
		.amdhsa_private_segment_fixed_size 0
		.amdhsa_kernarg_size 168
		.amdhsa_user_sgpr_count 6
		.amdhsa_user_sgpr_private_segment_buffer 1
		.amdhsa_user_sgpr_dispatch_ptr 0
		.amdhsa_user_sgpr_queue_ptr 0
		.amdhsa_user_sgpr_kernarg_segment_ptr 1
		.amdhsa_user_sgpr_dispatch_id 0
		.amdhsa_user_sgpr_flat_scratch_init 0
		.amdhsa_user_sgpr_private_segment_size 0
		.amdhsa_uses_dynamic_stack 0
		.amdhsa_system_sgpr_private_segment_wavefront_offset 0
		.amdhsa_system_sgpr_workgroup_id_x 1
		.amdhsa_system_sgpr_workgroup_id_y 0
		.amdhsa_system_sgpr_workgroup_id_z 0
		.amdhsa_system_sgpr_workgroup_info 0
		.amdhsa_system_vgpr_workitem_id 0
		.amdhsa_next_free_vgpr 34
		.amdhsa_next_free_sgpr 72
		.amdhsa_reserve_vcc 1
		.amdhsa_reserve_flat_scratch 0
		.amdhsa_float_round_mode_32 0
		.amdhsa_float_round_mode_16_64 0
		.amdhsa_float_denorm_mode_32 3
		.amdhsa_float_denorm_mode_16_64 3
		.amdhsa_dx10_clamp 1
		.amdhsa_ieee_mode 1
		.amdhsa_fp16_overflow 0
		.amdhsa_exception_fp_ieee_invalid_op 0
		.amdhsa_exception_fp_denorm_src 0
		.amdhsa_exception_fp_ieee_div_zero 0
		.amdhsa_exception_fp_ieee_overflow 0
		.amdhsa_exception_fp_ieee_underflow 0
		.amdhsa_exception_fp_ieee_inexact 0
		.amdhsa_exception_int_div_zero 0
	.end_amdhsa_kernel
	.section	.text._ZN9rocsparseL14kernel_freerunILi1024ELi4EdiiEEvT3_S1_T2_PKS2_S4_PKS1_PKT1_21rocsparse_index_base_S4_S4_S6_PS7_SB_SA_S4_S4_S6_SB_SB_SA_SB_SB_,"axG",@progbits,_ZN9rocsparseL14kernel_freerunILi1024ELi4EdiiEEvT3_S1_T2_PKS2_S4_PKS1_PKT1_21rocsparse_index_base_S4_S4_S6_PS7_SB_SA_S4_S4_S6_SB_SB_SA_SB_SB_,comdat
.Lfunc_end16:
	.size	_ZN9rocsparseL14kernel_freerunILi1024ELi4EdiiEEvT3_S1_T2_PKS2_S4_PKS1_PKT1_21rocsparse_index_base_S4_S4_S6_PS7_SB_SA_S4_S4_S6_SB_SB_SA_SB_SB_, .Lfunc_end16-_ZN9rocsparseL14kernel_freerunILi1024ELi4EdiiEEvT3_S1_T2_PKS2_S4_PKS1_PKT1_21rocsparse_index_base_S4_S4_S6_PS7_SB_SA_S4_S4_S6_SB_SB_SA_SB_SB_
                                        ; -- End function
	.set _ZN9rocsparseL14kernel_freerunILi1024ELi4EdiiEEvT3_S1_T2_PKS2_S4_PKS1_PKT1_21rocsparse_index_base_S4_S4_S6_PS7_SB_SA_S4_S4_S6_SB_SB_SA_SB_SB_.num_vgpr, 34
	.set _ZN9rocsparseL14kernel_freerunILi1024ELi4EdiiEEvT3_S1_T2_PKS2_S4_PKS1_PKT1_21rocsparse_index_base_S4_S4_S6_PS7_SB_SA_S4_S4_S6_SB_SB_SA_SB_SB_.num_agpr, 0
	.set _ZN9rocsparseL14kernel_freerunILi1024ELi4EdiiEEvT3_S1_T2_PKS2_S4_PKS1_PKT1_21rocsparse_index_base_S4_S4_S6_PS7_SB_SA_S4_S4_S6_SB_SB_SA_SB_SB_.numbered_sgpr, 72
	.set _ZN9rocsparseL14kernel_freerunILi1024ELi4EdiiEEvT3_S1_T2_PKS2_S4_PKS1_PKT1_21rocsparse_index_base_S4_S4_S6_PS7_SB_SA_S4_S4_S6_SB_SB_SA_SB_SB_.num_named_barrier, 0
	.set _ZN9rocsparseL14kernel_freerunILi1024ELi4EdiiEEvT3_S1_T2_PKS2_S4_PKS1_PKT1_21rocsparse_index_base_S4_S4_S6_PS7_SB_SA_S4_S4_S6_SB_SB_SA_SB_SB_.private_seg_size, 0
	.set _ZN9rocsparseL14kernel_freerunILi1024ELi4EdiiEEvT3_S1_T2_PKS2_S4_PKS1_PKT1_21rocsparse_index_base_S4_S4_S6_PS7_SB_SA_S4_S4_S6_SB_SB_SA_SB_SB_.uses_vcc, 1
	.set _ZN9rocsparseL14kernel_freerunILi1024ELi4EdiiEEvT3_S1_T2_PKS2_S4_PKS1_PKT1_21rocsparse_index_base_S4_S4_S6_PS7_SB_SA_S4_S4_S6_SB_SB_SA_SB_SB_.uses_flat_scratch, 0
	.set _ZN9rocsparseL14kernel_freerunILi1024ELi4EdiiEEvT3_S1_T2_PKS2_S4_PKS1_PKT1_21rocsparse_index_base_S4_S4_S6_PS7_SB_SA_S4_S4_S6_SB_SB_SA_SB_SB_.has_dyn_sized_stack, 0
	.set _ZN9rocsparseL14kernel_freerunILi1024ELi4EdiiEEvT3_S1_T2_PKS2_S4_PKS1_PKT1_21rocsparse_index_base_S4_S4_S6_PS7_SB_SA_S4_S4_S6_SB_SB_SA_SB_SB_.has_recursion, 0
	.set _ZN9rocsparseL14kernel_freerunILi1024ELi4EdiiEEvT3_S1_T2_PKS2_S4_PKS1_PKT1_21rocsparse_index_base_S4_S4_S6_PS7_SB_SA_S4_S4_S6_SB_SB_SA_SB_SB_.has_indirect_call, 0
	.section	.AMDGPU.csdata,"",@progbits
; Kernel info:
; codeLenInByte = 2052
; TotalNumSgprs: 76
; NumVgprs: 34
; ScratchSize: 0
; MemoryBound: 1
; FloatMode: 240
; IeeeMode: 1
; LDSByteSize: 0 bytes/workgroup (compile time only)
; SGPRBlocks: 9
; VGPRBlocks: 8
; NumSGPRsForWavesPerEU: 76
; NumVGPRsForWavesPerEU: 34
; Occupancy: 7
; WaveLimiterHint : 1
; COMPUTE_PGM_RSRC2:SCRATCH_EN: 0
; COMPUTE_PGM_RSRC2:USER_SGPR: 6
; COMPUTE_PGM_RSRC2:TRAP_HANDLER: 0
; COMPUTE_PGM_RSRC2:TGID_X_EN: 1
; COMPUTE_PGM_RSRC2:TGID_Y_EN: 0
; COMPUTE_PGM_RSRC2:TGID_Z_EN: 0
; COMPUTE_PGM_RSRC2:TIDIG_COMP_CNT: 0
	.section	.text._ZN9rocsparseL14kernel_freerunILi1024ELi8EdiiEEvT3_S1_T2_PKS2_S4_PKS1_PKT1_21rocsparse_index_base_S4_S4_S6_PS7_SB_SA_S4_S4_S6_SB_SB_SA_SB_SB_,"axG",@progbits,_ZN9rocsparseL14kernel_freerunILi1024ELi8EdiiEEvT3_S1_T2_PKS2_S4_PKS1_PKT1_21rocsparse_index_base_S4_S4_S6_PS7_SB_SA_S4_S4_S6_SB_SB_SA_SB_SB_,comdat
	.globl	_ZN9rocsparseL14kernel_freerunILi1024ELi8EdiiEEvT3_S1_T2_PKS2_S4_PKS1_PKT1_21rocsparse_index_base_S4_S4_S6_PS7_SB_SA_S4_S4_S6_SB_SB_SA_SB_SB_ ; -- Begin function _ZN9rocsparseL14kernel_freerunILi1024ELi8EdiiEEvT3_S1_T2_PKS2_S4_PKS1_PKT1_21rocsparse_index_base_S4_S4_S6_PS7_SB_SA_S4_S4_S6_SB_SB_SA_SB_SB_
	.p2align	8
	.type	_ZN9rocsparseL14kernel_freerunILi1024ELi8EdiiEEvT3_S1_T2_PKS2_S4_PKS1_PKT1_21rocsparse_index_base_S4_S4_S6_PS7_SB_SA_S4_S4_S6_SB_SB_SA_SB_SB_,@function
_ZN9rocsparseL14kernel_freerunILi1024ELi8EdiiEEvT3_S1_T2_PKS2_S4_PKS1_PKT1_21rocsparse_index_base_S4_S4_S6_PS7_SB_SA_S4_S4_S6_SB_SB_SA_SB_SB_: ; @_ZN9rocsparseL14kernel_freerunILi1024ELi8EdiiEEvT3_S1_T2_PKS2_S4_PKS1_PKT1_21rocsparse_index_base_S4_S4_S6_PS7_SB_SA_S4_S4_S6_SB_SB_SA_SB_SB_
; %bb.0:
	s_load_dwordx2 s[34:35], s[4:5], 0x0
	v_lshrrev_b32_e32 v1, 3, v0
	s_lshl_b32 s67, s6, 10
	v_or_b32_e32 v16, s67, v1
	s_mov_b32 s33, 0
	s_waitcnt lgkmcnt(0)
	s_cmp_gt_i32 s34, 0
	v_cmp_gt_i32_e32 vcc, s35, v16
	s_cselect_b64 s[0:1], -1, 0
	s_and_b64 s[0:1], vcc, s[0:1]
	s_and_saveexec_b64 s[2:3], s[0:1]
	s_cbranch_execz .LBB17_55
; %bb.1:
	s_load_dwordx4 s[36:39], s[4:5], 0x98
	s_load_dwordx8 s[8:15], s[4:5], 0x68
	s_load_dwordx8 s[16:23], s[4:5], 0x38
	;; [unrolled: 1-line block ×3, first 2 shown]
	s_load_dword s64, s[4:5], 0x30
	s_load_dwordx2 s[40:41], s[4:5], 0x58
	s_load_dword s65, s[4:5], 0x60
	s_load_dwordx2 s[42:43], s[4:5], 0x88
	s_load_dword s66, s[4:5], 0x90
	v_and_b32_e32 v0, 7, v0
	s_addk_i32 s67, 0x400
	s_waitcnt lgkmcnt(0)
	v_subrev_u32_e32 v17, s64, v0
	v_cmp_gt_u32_e64 s[0:1], s67, v16
	v_subrev_u32_e32 v18, s65, v0
	v_subrev_u32_e32 v19, s66, v0
	v_cmp_eq_u32_e64 s[2:3], 0, v0
	v_mov_b32_e32 v1, 0
	s_movk_i32 s68, 0x1f8
	s_branch .LBB17_3
.LBB17_2:                               ;   in Loop: Header=BB17_3 Depth=1
	s_or_b64 exec, exec, s[4:5]
	s_add_i32 s33, s33, 1
	s_cmp_eq_u32 s33, s34
	s_cbranch_scc1 .LBB17_55
.LBB17_3:                               ; =>This Loop Header: Depth=1
                                        ;     Child Loop BB17_5 Depth 2
                                        ;       Child Loop BB17_9 Depth 3
                                        ;         Child Loop BB17_13 Depth 4
                                        ;         Child Loop BB17_29 Depth 4
	;; [unrolled: 1-line block ×3, first 2 shown]
                                        ;     Child Loop BB17_46 Depth 2
                                        ;       Child Loop BB17_49 Depth 3
                                        ;       Child Loop BB17_52 Depth 3
	s_mov_b32 s69, 0
	s_branch .LBB17_5
.LBB17_4:                               ;   in Loop: Header=BB17_5 Depth=2
	s_or_b64 exec, exec, s[44:45]
	s_add_i32 s69, s69, 1
	s_cmp_eq_u32 s69, 8
	s_cbranch_scc1 .LBB17_43
.LBB17_5:                               ;   Parent Loop BB17_3 Depth=1
                                        ; =>  This Loop Header: Depth=2
                                        ;       Child Loop BB17_9 Depth 3
                                        ;         Child Loop BB17_13 Depth 4
                                        ;         Child Loop BB17_29 Depth 4
	;; [unrolled: 1-line block ×3, first 2 shown]
	v_lshl_add_u32 v2, s69, 7, v16
	v_cmp_gt_i32_e32 vcc, s35, v2
	s_and_saveexec_b64 s[44:45], vcc
	s_cbranch_execz .LBB17_4
; %bb.6:                                ;   in Loop: Header=BB17_5 Depth=2
	v_ashrrev_i32_e32 v3, 31, v2
	v_lshlrev_b64 v[4:5], 2, v[2:3]
	v_mov_b32_e32 v0, s25
	v_add_co_u32_e32 v6, vcc, s24, v4
	v_addc_co_u32_e32 v7, vcc, v0, v5, vcc
	global_load_dword v0, v[6:7], off
	v_mov_b32_e32 v3, s27
	v_add_co_u32_e32 v6, vcc, s26, v4
	v_addc_co_u32_e32 v7, vcc, v3, v5, vcc
	global_load_dword v6, v[6:7], off
	s_waitcnt vmcnt(1)
	v_add_u32_e32 v3, v17, v0
	s_waitcnt vmcnt(0)
	v_subrev_u32_e32 v20, s64, v6
	v_cmp_lt_i32_e32 vcc, v3, v20
	s_and_b64 exec, exec, vcc
	s_cbranch_execz .LBB17_4
; %bb.7:                                ;   in Loop: Header=BB17_5 Depth=2
	v_mov_b32_e32 v0, s19
	v_add_co_u32_e32 v6, vcc, s18, v4
	v_addc_co_u32_e32 v7, vcc, v0, v5, vcc
	v_mov_b32_e32 v0, s17
	v_add_co_u32_e32 v4, vcc, s16, v4
	v_addc_co_u32_e32 v5, vcc, v0, v5, vcc
	global_load_dword v0, v[4:5], off
	global_load_dword v8, v[6:7], off
	v_mov_b32_e32 v4, s21
	v_mov_b32_e32 v11, s23
	s_mov_b64 s[46:47], 0
	s_waitcnt vmcnt(1)
	v_subrev_u32_e32 v5, s65, v0
	v_ashrrev_i32_e32 v6, 31, v5
	s_waitcnt vmcnt(0)
	v_sub_u32_e32 v21, v8, v0
	v_lshlrev_b64 v[7:8], 2, v[5:6]
	v_lshlrev_b64 v[9:10], 3, v[5:6]
	v_add_co_u32_e32 v22, vcc, s20, v7
	v_addc_co_u32_e32 v23, vcc, v4, v8, vcc
	v_add_co_u32_e32 v24, vcc, s22, v9
	v_cmp_lt_i32_e64 s[4:5], 0, v21
	v_addc_co_u32_e32 v25, vcc, v11, v10, vcc
	s_branch .LBB17_9
.LBB17_8:                               ;   in Loop: Header=BB17_9 Depth=3
	s_or_b64 exec, exec, s[48:49]
	v_add_u32_e32 v3, 8, v3
	v_cmp_ge_i32_e32 vcc, v3, v20
	s_or_b64 s[46:47], vcc, s[46:47]
	s_andn2_b64 exec, exec, s[46:47]
	s_cbranch_execz .LBB17_4
.LBB17_9:                               ;   Parent Loop BB17_3 Depth=1
                                        ;     Parent Loop BB17_5 Depth=2
                                        ; =>    This Loop Header: Depth=3
                                        ;         Child Loop BB17_13 Depth 4
                                        ;         Child Loop BB17_29 Depth 4
	;; [unrolled: 1-line block ×3, first 2 shown]
	v_ashrrev_i32_e32 v4, 31, v3
	v_lshlrev_b64 v[6:7], 2, v[3:4]
	v_mov_b32_e32 v0, s29
	v_add_co_u32_e32 v6, vcc, s28, v6
	v_addc_co_u32_e32 v7, vcc, v0, v7, vcc
	global_load_dword v0, v[6:7], off
	v_mov_b32_e32 v11, s9
	v_mov_b32_e32 v12, s11
	s_waitcnt vmcnt(0)
	v_subrev_u32_e32 v6, s64, v0
	v_ashrrev_i32_e32 v7, 31, v6
	v_lshlrev_b64 v[8:9], 2, v[6:7]
	v_add_co_u32_e32 v10, vcc, s8, v8
	v_addc_co_u32_e32 v11, vcc, v11, v9, vcc
	v_add_co_u32_e32 v8, vcc, s10, v8
	v_addc_co_u32_e32 v9, vcc, v12, v9, vcc
	global_load_dword v0, v[10:11], off
	s_nop 0
	global_load_dword v10, v[8:9], off
	v_mov_b32_e32 v9, 0
	v_mov_b32_e32 v11, 0
	;; [unrolled: 1-line block ×3, first 2 shown]
	s_waitcnt vmcnt(1)
	v_subrev_u32_e32 v8, s66, v0
	s_waitcnt vmcnt(0)
	v_sub_u32_e32 v26, v10, v0
	v_mov_b32_e32 v0, v9
	s_and_saveexec_b64 s[6:7], s[4:5]
	s_cbranch_execz .LBB17_17
; %bb.10:                               ;   in Loop: Header=BB17_9 Depth=3
	v_ashrrev_i32_e32 v9, 31, v8
	v_lshlrev_b64 v[10:11], 2, v[8:9]
	v_mov_b32_e32 v0, s13
	v_add_co_u32_e32 v13, vcc, s12, v10
	v_lshlrev_b64 v[9:10], 3, v[8:9]
	v_addc_co_u32_e32 v14, vcc, v0, v11, vcc
	v_mov_b32_e32 v0, s15
	v_add_co_u32_e32 v15, vcc, s14, v9
	v_addc_co_u32_e32 v27, vcc, v0, v10, vcc
	v_mov_b32_e32 v11, 0
	v_mov_b32_e32 v0, 0
	;; [unrolled: 1-line block ×3, first 2 shown]
	s_mov_b64 s[48:49], 0
	v_mov_b32_e32 v9, v0
                                        ; implicit-def: $sgpr50_sgpr51
	s_branch .LBB17_13
.LBB17_11:                              ;   in Loop: Header=BB17_13 Depth=4
	s_or_b64 exec, exec, s[54:55]
	v_cmp_le_i32_e32 vcc, v28, v29
	v_addc_co_u32_e32 v0, vcc, 0, v0, vcc
	v_cmp_ge_i32_e32 vcc, v28, v29
	v_addc_co_u32_e32 v9, vcc, 0, v9, vcc
	v_cmp_ge_i32_e32 vcc, v0, v21
	s_andn2_b64 s[50:51], s[50:51], exec
	s_and_b64 s[54:55], vcc, exec
	s_or_b64 s[50:51], s[50:51], s[54:55]
.LBB17_12:                              ;   in Loop: Header=BB17_13 Depth=4
	s_or_b64 exec, exec, s[52:53]
	s_and_b64 s[52:53], exec, s[50:51]
	s_or_b64 s[48:49], s[52:53], s[48:49]
	s_andn2_b64 exec, exec, s[48:49]
	s_cbranch_execz .LBB17_16
.LBB17_13:                              ;   Parent Loop BB17_3 Depth=1
                                        ;     Parent Loop BB17_5 Depth=2
                                        ;       Parent Loop BB17_9 Depth=3
                                        ; =>      This Inner Loop Header: Depth=4
	v_cmp_lt_i32_e32 vcc, v9, v26
	s_or_b64 s[50:51], s[50:51], exec
	s_and_saveexec_b64 s[52:53], vcc
	s_cbranch_execz .LBB17_12
; %bb.14:                               ;   in Loop: Header=BB17_13 Depth=4
	v_lshlrev_b64 v[28:29], 2, v[0:1]
	v_mov_b32_e32 v10, v1
	v_add_co_u32_e32 v28, vcc, v22, v28
	v_addc_co_u32_e32 v29, vcc, v23, v29, vcc
	global_load_dword v30, v[28:29], off
	v_lshlrev_b64 v[28:29], 2, v[9:10]
	v_add_co_u32_e32 v28, vcc, v13, v28
	v_addc_co_u32_e32 v29, vcc, v14, v29, vcc
	global_load_dword v29, v[28:29], off
	s_waitcnt vmcnt(1)
	v_subrev_u32_e32 v28, s65, v30
	s_waitcnt vmcnt(0)
	v_subrev_u32_e32 v29, s66, v29
	v_cmp_eq_u32_e32 vcc, v28, v29
	s_and_saveexec_b64 s[54:55], vcc
	s_cbranch_execz .LBB17_11
; %bb.15:                               ;   in Loop: Header=BB17_13 Depth=4
	v_lshlrev_b64 v[30:31], 3, v[0:1]
	v_lshlrev_b64 v[32:33], 3, v[9:10]
	v_add_co_u32_e32 v30, vcc, v24, v30
	v_addc_co_u32_e32 v31, vcc, v25, v31, vcc
	v_add_co_u32_e32 v32, vcc, v15, v32
	v_addc_co_u32_e32 v33, vcc, v27, v33, vcc
	global_load_dwordx2 v[30:31], v[30:31], off
	s_nop 0
	global_load_dwordx2 v[32:33], v[32:33], off
	s_waitcnt vmcnt(0)
	v_fma_f64 v[11:12], v[30:31], v[32:33], v[11:12]
	s_branch .LBB17_11
.LBB17_16:                              ;   in Loop: Header=BB17_9 Depth=3
	s_or_b64 exec, exec, s[48:49]
.LBB17_17:                              ;   in Loop: Header=BB17_9 Depth=3
	s_or_b64 exec, exec, s[6:7]
	v_lshlrev_b64 v[13:14], 3, v[3:4]
	v_mov_b32_e32 v4, s31
	v_add_co_u32_e32 v13, vcc, s30, v13
	v_addc_co_u32_e32 v14, vcc, v4, v14, vcc
	global_load_dwordx2 v[13:14], v[13:14], off
	v_cmp_le_i32_e64 s[6:7], v2, v6
	v_cmp_gt_i32_e32 vcc, v2, v6
	s_waitcnt vmcnt(0)
	v_add_f64 v[10:11], v[13:14], -v[11:12]
	s_and_saveexec_b64 s[48:49], vcc
	s_cbranch_execz .LBB17_21
; %bb.18:                               ;   in Loop: Header=BB17_9 Depth=3
	v_lshlrev_b64 v[12:13], 3, v[6:7]
	v_mov_b32_e32 v4, s37
	v_add_co_u32_e32 v12, vcc, s36, v12
	v_addc_co_u32_e32 v13, vcc, v4, v13, vcc
	global_load_dwordx2 v[12:13], v[12:13], off
	v_mov_b32_e32 v14, 0
	v_mov_b32_e32 v15, 0
	s_waitcnt vmcnt(0)
	v_cmp_lg_f64_e32 vcc, 0, v[12:13]
	s_and_saveexec_b64 s[50:51], vcc
	s_cbranch_execz .LBB17_20
; %bb.19:                               ;   in Loop: Header=BB17_9 Depth=3
	v_div_scale_f64 v[14:15], s[52:53], v[12:13], v[12:13], v[10:11]
	v_div_scale_f64 v[31:32], vcc, v[10:11], v[12:13], v[10:11]
	v_rcp_f64_e32 v[27:28], v[14:15]
	v_fma_f64 v[29:30], -v[14:15], v[27:28], 1.0
	v_fma_f64 v[27:28], v[27:28], v[29:30], v[27:28]
	v_fma_f64 v[29:30], -v[14:15], v[27:28], 1.0
	v_fma_f64 v[27:28], v[27:28], v[29:30], v[27:28]
	v_mul_f64 v[29:30], v[31:32], v[27:28]
	v_fma_f64 v[14:15], -v[14:15], v[29:30], v[31:32]
	v_div_fmas_f64 v[14:15], v[14:15], v[27:28], v[29:30]
	v_div_fixup_f64 v[14:15], v[14:15], v[12:13], v[10:11]
.LBB17_20:                              ;   in Loop: Header=BB17_9 Depth=3
	s_or_b64 exec, exec, s[50:51]
	v_mov_b32_e32 v10, v14
	v_mov_b32_e32 v11, v15
.LBB17_21:                              ;   in Loop: Header=BB17_9 Depth=3
	s_or_b64 exec, exec, s[48:49]
	v_cmp_class_f64_e64 s[50:51], v[10:11], s68
	s_and_saveexec_b64 s[48:49], s[50:51]
	s_cbranch_execz .LBB17_8
; %bb.22:                               ;   in Loop: Header=BB17_9 Depth=3
	s_and_saveexec_b64 s[50:51], s[6:7]
	s_xor_b64 s[6:7], exec, s[50:51]
	s_cbranch_execz .LBB17_35
; %bb.23:                               ;   in Loop: Header=BB17_9 Depth=3
	v_cmp_ge_i32_e32 vcc, v2, v6
	s_and_saveexec_b64 s[50:51], vcc
	s_xor_b64 s[50:51], exec, s[50:51]
	s_cbranch_execz .LBB17_25
; %bb.24:                               ;   in Loop: Header=BB17_9 Depth=3
	v_lshlrev_b64 v[6:7], 3, v[6:7]
	v_mov_b32_e32 v0, s39
	v_add_co_u32_e32 v6, vcc, s38, v6
	v_addc_co_u32_e32 v7, vcc, v0, v7, vcc
	global_store_dwordx2 v[6:7], v[10:11], off
                                        ; implicit-def: $vgpr9
                                        ; implicit-def: $vgpr26
                                        ; implicit-def: $vgpr10_vgpr11
                                        ; implicit-def: $vgpr8
.LBB17_25:                              ;   in Loop: Header=BB17_9 Depth=3
	s_andn2_saveexec_b64 s[50:51], s[50:51]
	s_cbranch_execz .LBB17_34
; %bb.26:                               ;   in Loop: Header=BB17_9 Depth=3
	v_cmp_lt_i32_e32 vcc, v9, v26
	s_and_saveexec_b64 s[52:53], vcc
	s_cbranch_execz .LBB17_33
; %bb.27:                               ;   in Loop: Header=BB17_9 Depth=3
	s_mov_b64 s[54:55], 0
                                        ; implicit-def: $sgpr56_sgpr57
                                        ; implicit-def: $sgpr60_sgpr61
                                        ; implicit-def: $sgpr58_sgpr59
	s_branch .LBB17_29
.LBB17_28:                              ;   in Loop: Header=BB17_29 Depth=4
	s_or_b64 exec, exec, s[62:63]
	s_and_b64 s[62:63], exec, s[60:61]
	s_or_b64 s[54:55], s[62:63], s[54:55]
	s_andn2_b64 s[56:57], s[56:57], exec
	s_and_b64 s[62:63], s[58:59], exec
	s_or_b64 s[56:57], s[56:57], s[62:63]
	s_andn2_b64 exec, exec, s[54:55]
	s_cbranch_execz .LBB17_31
.LBB17_29:                              ;   Parent Loop BB17_3 Depth=1
                                        ;     Parent Loop BB17_5 Depth=2
                                        ;       Parent Loop BB17_9 Depth=3
                                        ; =>      This Inner Loop Header: Depth=4
	v_add_u32_e32 v6, v8, v9
	v_ashrrev_i32_e32 v7, 31, v6
	v_lshlrev_b64 v[12:13], 2, v[6:7]
	v_mov_b32_e32 v0, s13
	v_add_co_u32_e32 v12, vcc, s12, v12
	v_addc_co_u32_e32 v13, vcc, v0, v13, vcc
	global_load_dword v0, v[12:13], off
	s_or_b64 s[58:59], s[58:59], exec
	s_or_b64 s[60:61], s[60:61], exec
	s_waitcnt vmcnt(0)
	v_subrev_u32_e32 v0, s66, v0
	v_cmp_ne_u32_e32 vcc, v0, v2
	s_and_saveexec_b64 s[62:63], vcc
	s_cbranch_execz .LBB17_28
; %bb.30:                               ;   in Loop: Header=BB17_29 Depth=4
	v_add_u32_e32 v9, 1, v9
	v_cmp_ge_i32_e32 vcc, v9, v26
	s_andn2_b64 s[60:61], s[60:61], exec
	s_and_b64 s[70:71], vcc, exec
	s_andn2_b64 s[58:59], s[58:59], exec
	s_or_b64 s[60:61], s[60:61], s[70:71]
	s_branch .LBB17_28
.LBB17_31:                              ;   in Loop: Header=BB17_9 Depth=3
	s_or_b64 exec, exec, s[54:55]
	s_and_saveexec_b64 s[54:55], s[56:57]
	s_xor_b64 s[54:55], exec, s[54:55]
	s_cbranch_execz .LBB17_33
; %bb.32:                               ;   in Loop: Header=BB17_9 Depth=3
	v_lshlrev_b64 v[6:7], 3, v[6:7]
	v_mov_b32_e32 v0, s43
	v_add_co_u32_e32 v6, vcc, s42, v6
	v_addc_co_u32_e32 v7, vcc, v0, v7, vcc
	global_store_dwordx2 v[6:7], v[10:11], off
.LBB17_33:                              ;   in Loop: Header=BB17_9 Depth=3
	s_or_b64 exec, exec, s[52:53]
.LBB17_34:                              ;   in Loop: Header=BB17_9 Depth=3
	s_or_b64 exec, exec, s[50:51]
                                        ; implicit-def: $vgpr10_vgpr11
                                        ; implicit-def: $vgpr6_vgpr7
.LBB17_35:                              ;   in Loop: Header=BB17_9 Depth=3
	s_andn2_saveexec_b64 s[6:7], s[6:7]
	s_cbranch_execz .LBB17_8
; %bb.36:                               ;   in Loop: Header=BB17_9 Depth=3
	v_cmp_lt_i32_e32 vcc, v0, v21
	s_and_b64 exec, exec, vcc
	s_cbranch_execz .LBB17_8
; %bb.37:                               ;   in Loop: Header=BB17_9 Depth=3
	s_mov_b64 s[6:7], 0
                                        ; implicit-def: $sgpr50_sgpr51
                                        ; implicit-def: $sgpr54_sgpr55
                                        ; implicit-def: $sgpr52_sgpr53
	s_branch .LBB17_39
.LBB17_38:                              ;   in Loop: Header=BB17_39 Depth=4
	s_or_b64 exec, exec, s[56:57]
	s_and_b64 s[56:57], exec, s[54:55]
	s_or_b64 s[6:7], s[56:57], s[6:7]
	s_andn2_b64 s[50:51], s[50:51], exec
	s_and_b64 s[56:57], s[52:53], exec
	s_or_b64 s[50:51], s[50:51], s[56:57]
	s_andn2_b64 exec, exec, s[6:7]
	s_cbranch_execz .LBB17_41
.LBB17_39:                              ;   Parent Loop BB17_3 Depth=1
                                        ;     Parent Loop BB17_5 Depth=2
                                        ;       Parent Loop BB17_9 Depth=3
                                        ; =>      This Inner Loop Header: Depth=4
	v_add_u32_e32 v7, v5, v0
	v_ashrrev_i32_e32 v8, 31, v7
	v_lshlrev_b64 v[12:13], 2, v[7:8]
	v_mov_b32_e32 v4, s21
	v_add_co_u32_e32 v12, vcc, s20, v12
	v_addc_co_u32_e32 v13, vcc, v4, v13, vcc
	global_load_dword v4, v[12:13], off
	s_or_b64 s[52:53], s[52:53], exec
	s_or_b64 s[54:55], s[54:55], exec
	s_waitcnt vmcnt(0)
	v_subrev_u32_e32 v4, s65, v4
	v_cmp_ne_u32_e32 vcc, v4, v6
	s_and_saveexec_b64 s[56:57], vcc
	s_cbranch_execz .LBB17_38
; %bb.40:                               ;   in Loop: Header=BB17_39 Depth=4
	v_add_u32_e32 v0, 1, v0
	v_cmp_ge_i32_e32 vcc, v0, v21
	s_andn2_b64 s[54:55], s[54:55], exec
	s_and_b64 s[58:59], vcc, exec
	s_andn2_b64 s[52:53], s[52:53], exec
	s_or_b64 s[54:55], s[54:55], s[58:59]
	s_branch .LBB17_38
.LBB17_41:                              ;   in Loop: Header=BB17_9 Depth=3
	s_or_b64 exec, exec, s[6:7]
	s_and_saveexec_b64 s[6:7], s[50:51]
	s_xor_b64 s[6:7], exec, s[6:7]
	s_cbranch_execz .LBB17_8
; %bb.42:                               ;   in Loop: Header=BB17_9 Depth=3
	v_lshlrev_b64 v[6:7], 3, v[7:8]
	v_mov_b32_e32 v0, s41
	v_add_co_u32_e32 v6, vcc, s40, v6
	v_addc_co_u32_e32 v7, vcc, v0, v7, vcc
	global_store_dwordx2 v[6:7], v[10:11], off
	s_branch .LBB17_8
.LBB17_43:                              ;   in Loop: Header=BB17_3 Depth=1
	s_and_saveexec_b64 s[4:5], s[0:1]
	s_cbranch_execz .LBB17_2
; %bb.44:                               ;   in Loop: Header=BB17_3 Depth=1
	s_mov_b64 s[6:7], 0
	v_mov_b32_e32 v2, v16
	s_branch .LBB17_46
.LBB17_45:                              ;   in Loop: Header=BB17_46 Depth=2
	s_or_b64 exec, exec, s[44:45]
	v_add_u32_e32 v2, 0x80, v2
	v_cmp_le_u32_e32 vcc, s67, v2
	s_or_b64 s[6:7], vcc, s[6:7]
	s_andn2_b64 exec, exec, s[6:7]
	s_cbranch_execz .LBB17_2
.LBB17_46:                              ;   Parent Loop BB17_3 Depth=1
                                        ; =>  This Loop Header: Depth=2
                                        ;       Child Loop BB17_49 Depth 3
                                        ;       Child Loop BB17_52 Depth 3
	v_cmp_gt_i32_e32 vcc, s35, v2
	s_and_saveexec_b64 s[44:45], vcc
	s_cbranch_execz .LBB17_45
; %bb.47:                               ;   in Loop: Header=BB17_46 Depth=2
	v_ashrrev_i32_e32 v3, 31, v2
	v_lshlrev_b64 v[4:5], 2, v[2:3]
	v_mov_b32_e32 v0, s17
	v_add_co_u32_e32 v6, vcc, s16, v4
	v_addc_co_u32_e32 v7, vcc, v0, v5, vcc
	global_load_dword v0, v[6:7], off
	v_mov_b32_e32 v7, s19
	v_add_co_u32_e32 v6, vcc, s18, v4
	v_addc_co_u32_e32 v7, vcc, v7, v5, vcc
	global_load_dword v7, v[6:7], off
	s_waitcnt vmcnt(1)
	v_add_u32_e32 v6, v18, v0
	s_waitcnt vmcnt(0)
	v_subrev_u32_e32 v0, s65, v7
	v_cmp_lt_i32_e32 vcc, v6, v0
	s_and_saveexec_b64 s[46:47], vcc
	s_cbranch_execz .LBB17_50
; %bb.48:                               ;   in Loop: Header=BB17_46 Depth=2
	v_ashrrev_i32_e32 v7, 31, v6
	v_lshlrev_b64 v[9:10], 3, v[6:7]
	v_mov_b32_e32 v8, s41
	v_add_co_u32_e32 v7, vcc, s40, v9
	v_addc_co_u32_e32 v8, vcc, v8, v10, vcc
	v_mov_b32_e32 v11, s23
	v_add_co_u32_e32 v9, vcc, s22, v9
	v_addc_co_u32_e32 v10, vcc, v11, v10, vcc
	s_mov_b64 s[48:49], 0
.LBB17_49:                              ;   Parent Loop BB17_3 Depth=1
                                        ;     Parent Loop BB17_46 Depth=2
                                        ; =>    This Inner Loop Header: Depth=3
	global_load_dwordx2 v[11:12], v[7:8], off
	v_add_co_u32_e32 v7, vcc, 64, v7
	v_add_u32_e32 v6, 8, v6
	v_addc_co_u32_e32 v8, vcc, 0, v8, vcc
	v_cmp_ge_i32_e32 vcc, v6, v0
	s_or_b64 s[48:49], vcc, s[48:49]
	s_waitcnt vmcnt(0)
	global_store_dwordx2 v[9:10], v[11:12], off
	v_add_co_u32_e32 v9, vcc, 64, v9
	v_addc_co_u32_e32 v10, vcc, 0, v10, vcc
	s_andn2_b64 exec, exec, s[48:49]
	s_cbranch_execnz .LBB17_49
.LBB17_50:                              ;   in Loop: Header=BB17_46 Depth=2
	s_or_b64 exec, exec, s[46:47]
	v_mov_b32_e32 v0, s9
	v_add_co_u32_e32 v6, vcc, s8, v4
	v_addc_co_u32_e32 v7, vcc, v0, v5, vcc
	global_load_dword v0, v[6:7], off
	v_mov_b32_e32 v6, s11
	v_add_co_u32_e32 v4, vcc, s10, v4
	v_addc_co_u32_e32 v5, vcc, v6, v5, vcc
	global_load_dword v5, v[4:5], off
	s_waitcnt vmcnt(1)
	v_add_u32_e32 v4, v19, v0
	s_waitcnt vmcnt(0)
	v_subrev_u32_e32 v0, s66, v5
	v_cmp_lt_i32_e32 vcc, v4, v0
	s_and_saveexec_b64 s[46:47], vcc
	s_cbranch_execz .LBB17_53
; %bb.51:                               ;   in Loop: Header=BB17_46 Depth=2
	v_ashrrev_i32_e32 v5, 31, v4
	v_lshlrev_b64 v[7:8], 3, v[4:5]
	v_mov_b32_e32 v6, s43
	v_add_co_u32_e32 v5, vcc, s42, v7
	v_addc_co_u32_e32 v6, vcc, v6, v8, vcc
	v_mov_b32_e32 v9, s15
	v_add_co_u32_e32 v7, vcc, s14, v7
	v_addc_co_u32_e32 v8, vcc, v9, v8, vcc
	s_mov_b64 s[48:49], 0
.LBB17_52:                              ;   Parent Loop BB17_3 Depth=1
                                        ;     Parent Loop BB17_46 Depth=2
                                        ; =>    This Inner Loop Header: Depth=3
	global_load_dwordx2 v[9:10], v[5:6], off
	v_add_co_u32_e32 v5, vcc, 64, v5
	v_add_u32_e32 v4, 8, v4
	v_addc_co_u32_e32 v6, vcc, 0, v6, vcc
	v_cmp_ge_i32_e32 vcc, v4, v0
	s_or_b64 s[48:49], vcc, s[48:49]
	s_waitcnt vmcnt(0)
	global_store_dwordx2 v[7:8], v[9:10], off
	v_add_co_u32_e32 v7, vcc, 64, v7
	v_addc_co_u32_e32 v8, vcc, 0, v8, vcc
	s_andn2_b64 exec, exec, s[48:49]
	s_cbranch_execnz .LBB17_52
.LBB17_53:                              ;   in Loop: Header=BB17_46 Depth=2
	s_or_b64 exec, exec, s[46:47]
	s_and_b64 exec, exec, s[2:3]
	s_cbranch_execz .LBB17_45
; %bb.54:                               ;   in Loop: Header=BB17_46 Depth=2
	v_lshlrev_b64 v[3:4], 3, v[2:3]
	v_mov_b32_e32 v0, s39
	v_add_co_u32_e32 v5, vcc, s38, v3
	v_addc_co_u32_e32 v6, vcc, v0, v4, vcc
	global_load_dwordx2 v[5:6], v[5:6], off
	v_mov_b32_e32 v0, s37
	v_add_co_u32_e32 v3, vcc, s36, v3
	v_addc_co_u32_e32 v4, vcc, v0, v4, vcc
	s_waitcnt vmcnt(0)
	global_store_dwordx2 v[3:4], v[5:6], off
	s_branch .LBB17_45
.LBB17_55:
	s_endpgm
	.section	.rodata,"a",@progbits
	.p2align	6, 0x0
	.amdhsa_kernel _ZN9rocsparseL14kernel_freerunILi1024ELi8EdiiEEvT3_S1_T2_PKS2_S4_PKS1_PKT1_21rocsparse_index_base_S4_S4_S6_PS7_SB_SA_S4_S4_S6_SB_SB_SA_SB_SB_
		.amdhsa_group_segment_fixed_size 0
		.amdhsa_private_segment_fixed_size 0
		.amdhsa_kernarg_size 168
		.amdhsa_user_sgpr_count 6
		.amdhsa_user_sgpr_private_segment_buffer 1
		.amdhsa_user_sgpr_dispatch_ptr 0
		.amdhsa_user_sgpr_queue_ptr 0
		.amdhsa_user_sgpr_kernarg_segment_ptr 1
		.amdhsa_user_sgpr_dispatch_id 0
		.amdhsa_user_sgpr_flat_scratch_init 0
		.amdhsa_user_sgpr_private_segment_size 0
		.amdhsa_uses_dynamic_stack 0
		.amdhsa_system_sgpr_private_segment_wavefront_offset 0
		.amdhsa_system_sgpr_workgroup_id_x 1
		.amdhsa_system_sgpr_workgroup_id_y 0
		.amdhsa_system_sgpr_workgroup_id_z 0
		.amdhsa_system_sgpr_workgroup_info 0
		.amdhsa_system_vgpr_workitem_id 0
		.amdhsa_next_free_vgpr 34
		.amdhsa_next_free_sgpr 72
		.amdhsa_reserve_vcc 1
		.amdhsa_reserve_flat_scratch 0
		.amdhsa_float_round_mode_32 0
		.amdhsa_float_round_mode_16_64 0
		.amdhsa_float_denorm_mode_32 3
		.amdhsa_float_denorm_mode_16_64 3
		.amdhsa_dx10_clamp 1
		.amdhsa_ieee_mode 1
		.amdhsa_fp16_overflow 0
		.amdhsa_exception_fp_ieee_invalid_op 0
		.amdhsa_exception_fp_denorm_src 0
		.amdhsa_exception_fp_ieee_div_zero 0
		.amdhsa_exception_fp_ieee_overflow 0
		.amdhsa_exception_fp_ieee_underflow 0
		.amdhsa_exception_fp_ieee_inexact 0
		.amdhsa_exception_int_div_zero 0
	.end_amdhsa_kernel
	.section	.text._ZN9rocsparseL14kernel_freerunILi1024ELi8EdiiEEvT3_S1_T2_PKS2_S4_PKS1_PKT1_21rocsparse_index_base_S4_S4_S6_PS7_SB_SA_S4_S4_S6_SB_SB_SA_SB_SB_,"axG",@progbits,_ZN9rocsparseL14kernel_freerunILi1024ELi8EdiiEEvT3_S1_T2_PKS2_S4_PKS1_PKT1_21rocsparse_index_base_S4_S4_S6_PS7_SB_SA_S4_S4_S6_SB_SB_SA_SB_SB_,comdat
.Lfunc_end17:
	.size	_ZN9rocsparseL14kernel_freerunILi1024ELi8EdiiEEvT3_S1_T2_PKS2_S4_PKS1_PKT1_21rocsparse_index_base_S4_S4_S6_PS7_SB_SA_S4_S4_S6_SB_SB_SA_SB_SB_, .Lfunc_end17-_ZN9rocsparseL14kernel_freerunILi1024ELi8EdiiEEvT3_S1_T2_PKS2_S4_PKS1_PKT1_21rocsparse_index_base_S4_S4_S6_PS7_SB_SA_S4_S4_S6_SB_SB_SA_SB_SB_
                                        ; -- End function
	.set _ZN9rocsparseL14kernel_freerunILi1024ELi8EdiiEEvT3_S1_T2_PKS2_S4_PKS1_PKT1_21rocsparse_index_base_S4_S4_S6_PS7_SB_SA_S4_S4_S6_SB_SB_SA_SB_SB_.num_vgpr, 34
	.set _ZN9rocsparseL14kernel_freerunILi1024ELi8EdiiEEvT3_S1_T2_PKS2_S4_PKS1_PKT1_21rocsparse_index_base_S4_S4_S6_PS7_SB_SA_S4_S4_S6_SB_SB_SA_SB_SB_.num_agpr, 0
	.set _ZN9rocsparseL14kernel_freerunILi1024ELi8EdiiEEvT3_S1_T2_PKS2_S4_PKS1_PKT1_21rocsparse_index_base_S4_S4_S6_PS7_SB_SA_S4_S4_S6_SB_SB_SA_SB_SB_.numbered_sgpr, 72
	.set _ZN9rocsparseL14kernel_freerunILi1024ELi8EdiiEEvT3_S1_T2_PKS2_S4_PKS1_PKT1_21rocsparse_index_base_S4_S4_S6_PS7_SB_SA_S4_S4_S6_SB_SB_SA_SB_SB_.num_named_barrier, 0
	.set _ZN9rocsparseL14kernel_freerunILi1024ELi8EdiiEEvT3_S1_T2_PKS2_S4_PKS1_PKT1_21rocsparse_index_base_S4_S4_S6_PS7_SB_SA_S4_S4_S6_SB_SB_SA_SB_SB_.private_seg_size, 0
	.set _ZN9rocsparseL14kernel_freerunILi1024ELi8EdiiEEvT3_S1_T2_PKS2_S4_PKS1_PKT1_21rocsparse_index_base_S4_S4_S6_PS7_SB_SA_S4_S4_S6_SB_SB_SA_SB_SB_.uses_vcc, 1
	.set _ZN9rocsparseL14kernel_freerunILi1024ELi8EdiiEEvT3_S1_T2_PKS2_S4_PKS1_PKT1_21rocsparse_index_base_S4_S4_S6_PS7_SB_SA_S4_S4_S6_SB_SB_SA_SB_SB_.uses_flat_scratch, 0
	.set _ZN9rocsparseL14kernel_freerunILi1024ELi8EdiiEEvT3_S1_T2_PKS2_S4_PKS1_PKT1_21rocsparse_index_base_S4_S4_S6_PS7_SB_SA_S4_S4_S6_SB_SB_SA_SB_SB_.has_dyn_sized_stack, 0
	.set _ZN9rocsparseL14kernel_freerunILi1024ELi8EdiiEEvT3_S1_T2_PKS2_S4_PKS1_PKT1_21rocsparse_index_base_S4_S4_S6_PS7_SB_SA_S4_S4_S6_SB_SB_SA_SB_SB_.has_recursion, 0
	.set _ZN9rocsparseL14kernel_freerunILi1024ELi8EdiiEEvT3_S1_T2_PKS2_S4_PKS1_PKT1_21rocsparse_index_base_S4_S4_S6_PS7_SB_SA_S4_S4_S6_SB_SB_SA_SB_SB_.has_indirect_call, 0
	.section	.AMDGPU.csdata,"",@progbits
; Kernel info:
; codeLenInByte = 2052
; TotalNumSgprs: 76
; NumVgprs: 34
; ScratchSize: 0
; MemoryBound: 1
; FloatMode: 240
; IeeeMode: 1
; LDSByteSize: 0 bytes/workgroup (compile time only)
; SGPRBlocks: 9
; VGPRBlocks: 8
; NumSGPRsForWavesPerEU: 76
; NumVGPRsForWavesPerEU: 34
; Occupancy: 7
; WaveLimiterHint : 1
; COMPUTE_PGM_RSRC2:SCRATCH_EN: 0
; COMPUTE_PGM_RSRC2:USER_SGPR: 6
; COMPUTE_PGM_RSRC2:TRAP_HANDLER: 0
; COMPUTE_PGM_RSRC2:TGID_X_EN: 1
; COMPUTE_PGM_RSRC2:TGID_Y_EN: 0
; COMPUTE_PGM_RSRC2:TGID_Z_EN: 0
; COMPUTE_PGM_RSRC2:TIDIG_COMP_CNT: 0
	.section	.text._ZN9rocsparseL14kernel_freerunILi1024ELi16EdiiEEvT3_S1_T2_PKS2_S4_PKS1_PKT1_21rocsparse_index_base_S4_S4_S6_PS7_SB_SA_S4_S4_S6_SB_SB_SA_SB_SB_,"axG",@progbits,_ZN9rocsparseL14kernel_freerunILi1024ELi16EdiiEEvT3_S1_T2_PKS2_S4_PKS1_PKT1_21rocsparse_index_base_S4_S4_S6_PS7_SB_SA_S4_S4_S6_SB_SB_SA_SB_SB_,comdat
	.globl	_ZN9rocsparseL14kernel_freerunILi1024ELi16EdiiEEvT3_S1_T2_PKS2_S4_PKS1_PKT1_21rocsparse_index_base_S4_S4_S6_PS7_SB_SA_S4_S4_S6_SB_SB_SA_SB_SB_ ; -- Begin function _ZN9rocsparseL14kernel_freerunILi1024ELi16EdiiEEvT3_S1_T2_PKS2_S4_PKS1_PKT1_21rocsparse_index_base_S4_S4_S6_PS7_SB_SA_S4_S4_S6_SB_SB_SA_SB_SB_
	.p2align	8
	.type	_ZN9rocsparseL14kernel_freerunILi1024ELi16EdiiEEvT3_S1_T2_PKS2_S4_PKS1_PKT1_21rocsparse_index_base_S4_S4_S6_PS7_SB_SA_S4_S4_S6_SB_SB_SA_SB_SB_,@function
_ZN9rocsparseL14kernel_freerunILi1024ELi16EdiiEEvT3_S1_T2_PKS2_S4_PKS1_PKT1_21rocsparse_index_base_S4_S4_S6_PS7_SB_SA_S4_S4_S6_SB_SB_SA_SB_SB_: ; @_ZN9rocsparseL14kernel_freerunILi1024ELi16EdiiEEvT3_S1_T2_PKS2_S4_PKS1_PKT1_21rocsparse_index_base_S4_S4_S6_PS7_SB_SA_S4_S4_S6_SB_SB_SA_SB_SB_
; %bb.0:
	s_load_dwordx2 s[34:35], s[4:5], 0x0
	v_lshrrev_b32_e32 v1, 4, v0
	s_lshl_b32 s67, s6, 10
	v_or_b32_e32 v16, s67, v1
	s_mov_b32 s33, 0
	s_waitcnt lgkmcnt(0)
	s_cmp_gt_i32 s34, 0
	v_cmp_gt_i32_e32 vcc, s35, v16
	s_cselect_b64 s[0:1], -1, 0
	s_and_b64 s[0:1], vcc, s[0:1]
	s_and_saveexec_b64 s[2:3], s[0:1]
	s_cbranch_execz .LBB18_55
; %bb.1:
	s_load_dwordx4 s[36:39], s[4:5], 0x98
	s_load_dwordx8 s[8:15], s[4:5], 0x68
	s_load_dwordx8 s[16:23], s[4:5], 0x38
	;; [unrolled: 1-line block ×3, first 2 shown]
	s_load_dword s64, s[4:5], 0x30
	s_load_dwordx2 s[40:41], s[4:5], 0x58
	s_load_dword s65, s[4:5], 0x60
	s_load_dwordx2 s[42:43], s[4:5], 0x88
	s_load_dword s66, s[4:5], 0x90
	v_and_b32_e32 v0, 15, v0
	s_addk_i32 s67, 0x400
	s_waitcnt lgkmcnt(0)
	v_subrev_u32_e32 v17, s64, v0
	v_cmp_gt_u32_e64 s[0:1], s67, v16
	v_subrev_u32_e32 v18, s65, v0
	v_subrev_u32_e32 v19, s66, v0
	v_cmp_eq_u32_e64 s[2:3], 0, v0
	v_mov_b32_e32 v1, 0
	s_movk_i32 s68, 0x1f8
	s_branch .LBB18_3
.LBB18_2:                               ;   in Loop: Header=BB18_3 Depth=1
	s_or_b64 exec, exec, s[4:5]
	s_add_i32 s33, s33, 1
	s_cmp_eq_u32 s33, s34
	s_cbranch_scc1 .LBB18_55
.LBB18_3:                               ; =>This Loop Header: Depth=1
                                        ;     Child Loop BB18_5 Depth 2
                                        ;       Child Loop BB18_9 Depth 3
                                        ;         Child Loop BB18_13 Depth 4
                                        ;         Child Loop BB18_29 Depth 4
                                        ;         Child Loop BB18_39 Depth 4
                                        ;     Child Loop BB18_46 Depth 2
                                        ;       Child Loop BB18_49 Depth 3
                                        ;       Child Loop BB18_52 Depth 3
	s_mov_b32 s69, 0
	s_branch .LBB18_5
.LBB18_4:                               ;   in Loop: Header=BB18_5 Depth=2
	s_or_b64 exec, exec, s[44:45]
	s_add_i32 s69, s69, 1
	s_cmp_eq_u32 s69, 16
	s_cbranch_scc1 .LBB18_43
.LBB18_5:                               ;   Parent Loop BB18_3 Depth=1
                                        ; =>  This Loop Header: Depth=2
                                        ;       Child Loop BB18_9 Depth 3
                                        ;         Child Loop BB18_13 Depth 4
                                        ;         Child Loop BB18_29 Depth 4
	;; [unrolled: 1-line block ×3, first 2 shown]
	v_lshl_add_u32 v2, s69, 6, v16
	v_cmp_gt_i32_e32 vcc, s35, v2
	s_and_saveexec_b64 s[44:45], vcc
	s_cbranch_execz .LBB18_4
; %bb.6:                                ;   in Loop: Header=BB18_5 Depth=2
	v_ashrrev_i32_e32 v3, 31, v2
	v_lshlrev_b64 v[4:5], 2, v[2:3]
	v_mov_b32_e32 v0, s25
	v_add_co_u32_e32 v6, vcc, s24, v4
	v_addc_co_u32_e32 v7, vcc, v0, v5, vcc
	global_load_dword v0, v[6:7], off
	v_mov_b32_e32 v3, s27
	v_add_co_u32_e32 v6, vcc, s26, v4
	v_addc_co_u32_e32 v7, vcc, v3, v5, vcc
	global_load_dword v6, v[6:7], off
	s_waitcnt vmcnt(1)
	v_add_u32_e32 v3, v17, v0
	s_waitcnt vmcnt(0)
	v_subrev_u32_e32 v20, s64, v6
	v_cmp_lt_i32_e32 vcc, v3, v20
	s_and_b64 exec, exec, vcc
	s_cbranch_execz .LBB18_4
; %bb.7:                                ;   in Loop: Header=BB18_5 Depth=2
	v_mov_b32_e32 v0, s19
	v_add_co_u32_e32 v6, vcc, s18, v4
	v_addc_co_u32_e32 v7, vcc, v0, v5, vcc
	v_mov_b32_e32 v0, s17
	v_add_co_u32_e32 v4, vcc, s16, v4
	v_addc_co_u32_e32 v5, vcc, v0, v5, vcc
	global_load_dword v0, v[4:5], off
	global_load_dword v8, v[6:7], off
	v_mov_b32_e32 v4, s21
	v_mov_b32_e32 v11, s23
	s_mov_b64 s[46:47], 0
	s_waitcnt vmcnt(1)
	v_subrev_u32_e32 v5, s65, v0
	v_ashrrev_i32_e32 v6, 31, v5
	s_waitcnt vmcnt(0)
	v_sub_u32_e32 v21, v8, v0
	v_lshlrev_b64 v[7:8], 2, v[5:6]
	v_lshlrev_b64 v[9:10], 3, v[5:6]
	v_add_co_u32_e32 v22, vcc, s20, v7
	v_addc_co_u32_e32 v23, vcc, v4, v8, vcc
	v_add_co_u32_e32 v24, vcc, s22, v9
	v_cmp_lt_i32_e64 s[4:5], 0, v21
	v_addc_co_u32_e32 v25, vcc, v11, v10, vcc
	s_branch .LBB18_9
.LBB18_8:                               ;   in Loop: Header=BB18_9 Depth=3
	s_or_b64 exec, exec, s[48:49]
	v_add_u32_e32 v3, 16, v3
	v_cmp_ge_i32_e32 vcc, v3, v20
	s_or_b64 s[46:47], vcc, s[46:47]
	s_andn2_b64 exec, exec, s[46:47]
	s_cbranch_execz .LBB18_4
.LBB18_9:                               ;   Parent Loop BB18_3 Depth=1
                                        ;     Parent Loop BB18_5 Depth=2
                                        ; =>    This Loop Header: Depth=3
                                        ;         Child Loop BB18_13 Depth 4
                                        ;         Child Loop BB18_29 Depth 4
	;; [unrolled: 1-line block ×3, first 2 shown]
	v_ashrrev_i32_e32 v4, 31, v3
	v_lshlrev_b64 v[6:7], 2, v[3:4]
	v_mov_b32_e32 v0, s29
	v_add_co_u32_e32 v6, vcc, s28, v6
	v_addc_co_u32_e32 v7, vcc, v0, v7, vcc
	global_load_dword v0, v[6:7], off
	v_mov_b32_e32 v11, s9
	v_mov_b32_e32 v12, s11
	s_waitcnt vmcnt(0)
	v_subrev_u32_e32 v6, s64, v0
	v_ashrrev_i32_e32 v7, 31, v6
	v_lshlrev_b64 v[8:9], 2, v[6:7]
	v_add_co_u32_e32 v10, vcc, s8, v8
	v_addc_co_u32_e32 v11, vcc, v11, v9, vcc
	v_add_co_u32_e32 v8, vcc, s10, v8
	v_addc_co_u32_e32 v9, vcc, v12, v9, vcc
	global_load_dword v0, v[10:11], off
	s_nop 0
	global_load_dword v10, v[8:9], off
	v_mov_b32_e32 v9, 0
	v_mov_b32_e32 v11, 0
	;; [unrolled: 1-line block ×3, first 2 shown]
	s_waitcnt vmcnt(1)
	v_subrev_u32_e32 v8, s66, v0
	s_waitcnt vmcnt(0)
	v_sub_u32_e32 v26, v10, v0
	v_mov_b32_e32 v0, v9
	s_and_saveexec_b64 s[6:7], s[4:5]
	s_cbranch_execz .LBB18_17
; %bb.10:                               ;   in Loop: Header=BB18_9 Depth=3
	v_ashrrev_i32_e32 v9, 31, v8
	v_lshlrev_b64 v[10:11], 2, v[8:9]
	v_mov_b32_e32 v0, s13
	v_add_co_u32_e32 v13, vcc, s12, v10
	v_lshlrev_b64 v[9:10], 3, v[8:9]
	v_addc_co_u32_e32 v14, vcc, v0, v11, vcc
	v_mov_b32_e32 v0, s15
	v_add_co_u32_e32 v15, vcc, s14, v9
	v_addc_co_u32_e32 v27, vcc, v0, v10, vcc
	v_mov_b32_e32 v11, 0
	v_mov_b32_e32 v0, 0
	v_mov_b32_e32 v12, 0
	s_mov_b64 s[48:49], 0
	v_mov_b32_e32 v9, v0
                                        ; implicit-def: $sgpr50_sgpr51
	s_branch .LBB18_13
.LBB18_11:                              ;   in Loop: Header=BB18_13 Depth=4
	s_or_b64 exec, exec, s[54:55]
	v_cmp_le_i32_e32 vcc, v28, v29
	v_addc_co_u32_e32 v0, vcc, 0, v0, vcc
	v_cmp_ge_i32_e32 vcc, v28, v29
	v_addc_co_u32_e32 v9, vcc, 0, v9, vcc
	v_cmp_ge_i32_e32 vcc, v0, v21
	s_andn2_b64 s[50:51], s[50:51], exec
	s_and_b64 s[54:55], vcc, exec
	s_or_b64 s[50:51], s[50:51], s[54:55]
.LBB18_12:                              ;   in Loop: Header=BB18_13 Depth=4
	s_or_b64 exec, exec, s[52:53]
	s_and_b64 s[52:53], exec, s[50:51]
	s_or_b64 s[48:49], s[52:53], s[48:49]
	s_andn2_b64 exec, exec, s[48:49]
	s_cbranch_execz .LBB18_16
.LBB18_13:                              ;   Parent Loop BB18_3 Depth=1
                                        ;     Parent Loop BB18_5 Depth=2
                                        ;       Parent Loop BB18_9 Depth=3
                                        ; =>      This Inner Loop Header: Depth=4
	v_cmp_lt_i32_e32 vcc, v9, v26
	s_or_b64 s[50:51], s[50:51], exec
	s_and_saveexec_b64 s[52:53], vcc
	s_cbranch_execz .LBB18_12
; %bb.14:                               ;   in Loop: Header=BB18_13 Depth=4
	v_lshlrev_b64 v[28:29], 2, v[0:1]
	v_mov_b32_e32 v10, v1
	v_add_co_u32_e32 v28, vcc, v22, v28
	v_addc_co_u32_e32 v29, vcc, v23, v29, vcc
	global_load_dword v30, v[28:29], off
	v_lshlrev_b64 v[28:29], 2, v[9:10]
	v_add_co_u32_e32 v28, vcc, v13, v28
	v_addc_co_u32_e32 v29, vcc, v14, v29, vcc
	global_load_dword v29, v[28:29], off
	s_waitcnt vmcnt(1)
	v_subrev_u32_e32 v28, s65, v30
	s_waitcnt vmcnt(0)
	v_subrev_u32_e32 v29, s66, v29
	v_cmp_eq_u32_e32 vcc, v28, v29
	s_and_saveexec_b64 s[54:55], vcc
	s_cbranch_execz .LBB18_11
; %bb.15:                               ;   in Loop: Header=BB18_13 Depth=4
	v_lshlrev_b64 v[30:31], 3, v[0:1]
	v_lshlrev_b64 v[32:33], 3, v[9:10]
	v_add_co_u32_e32 v30, vcc, v24, v30
	v_addc_co_u32_e32 v31, vcc, v25, v31, vcc
	v_add_co_u32_e32 v32, vcc, v15, v32
	v_addc_co_u32_e32 v33, vcc, v27, v33, vcc
	global_load_dwordx2 v[30:31], v[30:31], off
	s_nop 0
	global_load_dwordx2 v[32:33], v[32:33], off
	s_waitcnt vmcnt(0)
	v_fma_f64 v[11:12], v[30:31], v[32:33], v[11:12]
	s_branch .LBB18_11
.LBB18_16:                              ;   in Loop: Header=BB18_9 Depth=3
	s_or_b64 exec, exec, s[48:49]
.LBB18_17:                              ;   in Loop: Header=BB18_9 Depth=3
	s_or_b64 exec, exec, s[6:7]
	v_lshlrev_b64 v[13:14], 3, v[3:4]
	v_mov_b32_e32 v4, s31
	v_add_co_u32_e32 v13, vcc, s30, v13
	v_addc_co_u32_e32 v14, vcc, v4, v14, vcc
	global_load_dwordx2 v[13:14], v[13:14], off
	v_cmp_le_i32_e64 s[6:7], v2, v6
	v_cmp_gt_i32_e32 vcc, v2, v6
	s_waitcnt vmcnt(0)
	v_add_f64 v[10:11], v[13:14], -v[11:12]
	s_and_saveexec_b64 s[48:49], vcc
	s_cbranch_execz .LBB18_21
; %bb.18:                               ;   in Loop: Header=BB18_9 Depth=3
	v_lshlrev_b64 v[12:13], 3, v[6:7]
	v_mov_b32_e32 v4, s37
	v_add_co_u32_e32 v12, vcc, s36, v12
	v_addc_co_u32_e32 v13, vcc, v4, v13, vcc
	global_load_dwordx2 v[12:13], v[12:13], off
	v_mov_b32_e32 v14, 0
	v_mov_b32_e32 v15, 0
	s_waitcnt vmcnt(0)
	v_cmp_lg_f64_e32 vcc, 0, v[12:13]
	s_and_saveexec_b64 s[50:51], vcc
	s_cbranch_execz .LBB18_20
; %bb.19:                               ;   in Loop: Header=BB18_9 Depth=3
	v_div_scale_f64 v[14:15], s[52:53], v[12:13], v[12:13], v[10:11]
	v_div_scale_f64 v[31:32], vcc, v[10:11], v[12:13], v[10:11]
	v_rcp_f64_e32 v[27:28], v[14:15]
	v_fma_f64 v[29:30], -v[14:15], v[27:28], 1.0
	v_fma_f64 v[27:28], v[27:28], v[29:30], v[27:28]
	v_fma_f64 v[29:30], -v[14:15], v[27:28], 1.0
	v_fma_f64 v[27:28], v[27:28], v[29:30], v[27:28]
	v_mul_f64 v[29:30], v[31:32], v[27:28]
	v_fma_f64 v[14:15], -v[14:15], v[29:30], v[31:32]
	v_div_fmas_f64 v[14:15], v[14:15], v[27:28], v[29:30]
	v_div_fixup_f64 v[14:15], v[14:15], v[12:13], v[10:11]
.LBB18_20:                              ;   in Loop: Header=BB18_9 Depth=3
	s_or_b64 exec, exec, s[50:51]
	v_mov_b32_e32 v10, v14
	v_mov_b32_e32 v11, v15
.LBB18_21:                              ;   in Loop: Header=BB18_9 Depth=3
	s_or_b64 exec, exec, s[48:49]
	v_cmp_class_f64_e64 s[50:51], v[10:11], s68
	s_and_saveexec_b64 s[48:49], s[50:51]
	s_cbranch_execz .LBB18_8
; %bb.22:                               ;   in Loop: Header=BB18_9 Depth=3
	s_and_saveexec_b64 s[50:51], s[6:7]
	s_xor_b64 s[6:7], exec, s[50:51]
	s_cbranch_execz .LBB18_35
; %bb.23:                               ;   in Loop: Header=BB18_9 Depth=3
	v_cmp_ge_i32_e32 vcc, v2, v6
	s_and_saveexec_b64 s[50:51], vcc
	s_xor_b64 s[50:51], exec, s[50:51]
	s_cbranch_execz .LBB18_25
; %bb.24:                               ;   in Loop: Header=BB18_9 Depth=3
	v_lshlrev_b64 v[6:7], 3, v[6:7]
	v_mov_b32_e32 v0, s39
	v_add_co_u32_e32 v6, vcc, s38, v6
	v_addc_co_u32_e32 v7, vcc, v0, v7, vcc
	global_store_dwordx2 v[6:7], v[10:11], off
                                        ; implicit-def: $vgpr9
                                        ; implicit-def: $vgpr26
                                        ; implicit-def: $vgpr10_vgpr11
                                        ; implicit-def: $vgpr8
.LBB18_25:                              ;   in Loop: Header=BB18_9 Depth=3
	s_andn2_saveexec_b64 s[50:51], s[50:51]
	s_cbranch_execz .LBB18_34
; %bb.26:                               ;   in Loop: Header=BB18_9 Depth=3
	v_cmp_lt_i32_e32 vcc, v9, v26
	s_and_saveexec_b64 s[52:53], vcc
	s_cbranch_execz .LBB18_33
; %bb.27:                               ;   in Loop: Header=BB18_9 Depth=3
	s_mov_b64 s[54:55], 0
                                        ; implicit-def: $sgpr56_sgpr57
                                        ; implicit-def: $sgpr60_sgpr61
                                        ; implicit-def: $sgpr58_sgpr59
	s_branch .LBB18_29
.LBB18_28:                              ;   in Loop: Header=BB18_29 Depth=4
	s_or_b64 exec, exec, s[62:63]
	s_and_b64 s[62:63], exec, s[60:61]
	s_or_b64 s[54:55], s[62:63], s[54:55]
	s_andn2_b64 s[56:57], s[56:57], exec
	s_and_b64 s[62:63], s[58:59], exec
	s_or_b64 s[56:57], s[56:57], s[62:63]
	s_andn2_b64 exec, exec, s[54:55]
	s_cbranch_execz .LBB18_31
.LBB18_29:                              ;   Parent Loop BB18_3 Depth=1
                                        ;     Parent Loop BB18_5 Depth=2
                                        ;       Parent Loop BB18_9 Depth=3
                                        ; =>      This Inner Loop Header: Depth=4
	v_add_u32_e32 v6, v8, v9
	v_ashrrev_i32_e32 v7, 31, v6
	v_lshlrev_b64 v[12:13], 2, v[6:7]
	v_mov_b32_e32 v0, s13
	v_add_co_u32_e32 v12, vcc, s12, v12
	v_addc_co_u32_e32 v13, vcc, v0, v13, vcc
	global_load_dword v0, v[12:13], off
	s_or_b64 s[58:59], s[58:59], exec
	s_or_b64 s[60:61], s[60:61], exec
	s_waitcnt vmcnt(0)
	v_subrev_u32_e32 v0, s66, v0
	v_cmp_ne_u32_e32 vcc, v0, v2
	s_and_saveexec_b64 s[62:63], vcc
	s_cbranch_execz .LBB18_28
; %bb.30:                               ;   in Loop: Header=BB18_29 Depth=4
	v_add_u32_e32 v9, 1, v9
	v_cmp_ge_i32_e32 vcc, v9, v26
	s_andn2_b64 s[60:61], s[60:61], exec
	s_and_b64 s[70:71], vcc, exec
	s_andn2_b64 s[58:59], s[58:59], exec
	s_or_b64 s[60:61], s[60:61], s[70:71]
	s_branch .LBB18_28
.LBB18_31:                              ;   in Loop: Header=BB18_9 Depth=3
	s_or_b64 exec, exec, s[54:55]
	s_and_saveexec_b64 s[54:55], s[56:57]
	s_xor_b64 s[54:55], exec, s[54:55]
	s_cbranch_execz .LBB18_33
; %bb.32:                               ;   in Loop: Header=BB18_9 Depth=3
	v_lshlrev_b64 v[6:7], 3, v[6:7]
	v_mov_b32_e32 v0, s43
	v_add_co_u32_e32 v6, vcc, s42, v6
	v_addc_co_u32_e32 v7, vcc, v0, v7, vcc
	global_store_dwordx2 v[6:7], v[10:11], off
.LBB18_33:                              ;   in Loop: Header=BB18_9 Depth=3
	s_or_b64 exec, exec, s[52:53]
.LBB18_34:                              ;   in Loop: Header=BB18_9 Depth=3
	s_or_b64 exec, exec, s[50:51]
                                        ; implicit-def: $vgpr10_vgpr11
                                        ; implicit-def: $vgpr6_vgpr7
.LBB18_35:                              ;   in Loop: Header=BB18_9 Depth=3
	s_andn2_saveexec_b64 s[6:7], s[6:7]
	s_cbranch_execz .LBB18_8
; %bb.36:                               ;   in Loop: Header=BB18_9 Depth=3
	v_cmp_lt_i32_e32 vcc, v0, v21
	s_and_b64 exec, exec, vcc
	s_cbranch_execz .LBB18_8
; %bb.37:                               ;   in Loop: Header=BB18_9 Depth=3
	s_mov_b64 s[6:7], 0
                                        ; implicit-def: $sgpr50_sgpr51
                                        ; implicit-def: $sgpr54_sgpr55
                                        ; implicit-def: $sgpr52_sgpr53
	s_branch .LBB18_39
.LBB18_38:                              ;   in Loop: Header=BB18_39 Depth=4
	s_or_b64 exec, exec, s[56:57]
	s_and_b64 s[56:57], exec, s[54:55]
	s_or_b64 s[6:7], s[56:57], s[6:7]
	s_andn2_b64 s[50:51], s[50:51], exec
	s_and_b64 s[56:57], s[52:53], exec
	s_or_b64 s[50:51], s[50:51], s[56:57]
	s_andn2_b64 exec, exec, s[6:7]
	s_cbranch_execz .LBB18_41
.LBB18_39:                              ;   Parent Loop BB18_3 Depth=1
                                        ;     Parent Loop BB18_5 Depth=2
                                        ;       Parent Loop BB18_9 Depth=3
                                        ; =>      This Inner Loop Header: Depth=4
	v_add_u32_e32 v7, v5, v0
	v_ashrrev_i32_e32 v8, 31, v7
	v_lshlrev_b64 v[12:13], 2, v[7:8]
	v_mov_b32_e32 v4, s21
	v_add_co_u32_e32 v12, vcc, s20, v12
	v_addc_co_u32_e32 v13, vcc, v4, v13, vcc
	global_load_dword v4, v[12:13], off
	s_or_b64 s[52:53], s[52:53], exec
	s_or_b64 s[54:55], s[54:55], exec
	s_waitcnt vmcnt(0)
	v_subrev_u32_e32 v4, s65, v4
	v_cmp_ne_u32_e32 vcc, v4, v6
	s_and_saveexec_b64 s[56:57], vcc
	s_cbranch_execz .LBB18_38
; %bb.40:                               ;   in Loop: Header=BB18_39 Depth=4
	v_add_u32_e32 v0, 1, v0
	v_cmp_ge_i32_e32 vcc, v0, v21
	s_andn2_b64 s[54:55], s[54:55], exec
	s_and_b64 s[58:59], vcc, exec
	s_andn2_b64 s[52:53], s[52:53], exec
	s_or_b64 s[54:55], s[54:55], s[58:59]
	s_branch .LBB18_38
.LBB18_41:                              ;   in Loop: Header=BB18_9 Depth=3
	s_or_b64 exec, exec, s[6:7]
	s_and_saveexec_b64 s[6:7], s[50:51]
	s_xor_b64 s[6:7], exec, s[6:7]
	s_cbranch_execz .LBB18_8
; %bb.42:                               ;   in Loop: Header=BB18_9 Depth=3
	v_lshlrev_b64 v[6:7], 3, v[7:8]
	v_mov_b32_e32 v0, s41
	v_add_co_u32_e32 v6, vcc, s40, v6
	v_addc_co_u32_e32 v7, vcc, v0, v7, vcc
	global_store_dwordx2 v[6:7], v[10:11], off
	s_branch .LBB18_8
.LBB18_43:                              ;   in Loop: Header=BB18_3 Depth=1
	s_and_saveexec_b64 s[4:5], s[0:1]
	s_cbranch_execz .LBB18_2
; %bb.44:                               ;   in Loop: Header=BB18_3 Depth=1
	s_mov_b64 s[6:7], 0
	v_mov_b32_e32 v2, v16
	s_branch .LBB18_46
.LBB18_45:                              ;   in Loop: Header=BB18_46 Depth=2
	s_or_b64 exec, exec, s[44:45]
	v_add_u32_e32 v2, 64, v2
	v_cmp_le_u32_e32 vcc, s67, v2
	s_or_b64 s[6:7], vcc, s[6:7]
	s_andn2_b64 exec, exec, s[6:7]
	s_cbranch_execz .LBB18_2
.LBB18_46:                              ;   Parent Loop BB18_3 Depth=1
                                        ; =>  This Loop Header: Depth=2
                                        ;       Child Loop BB18_49 Depth 3
                                        ;       Child Loop BB18_52 Depth 3
	v_cmp_gt_i32_e32 vcc, s35, v2
	s_and_saveexec_b64 s[44:45], vcc
	s_cbranch_execz .LBB18_45
; %bb.47:                               ;   in Loop: Header=BB18_46 Depth=2
	v_ashrrev_i32_e32 v3, 31, v2
	v_lshlrev_b64 v[4:5], 2, v[2:3]
	v_mov_b32_e32 v0, s17
	v_add_co_u32_e32 v6, vcc, s16, v4
	v_addc_co_u32_e32 v7, vcc, v0, v5, vcc
	global_load_dword v0, v[6:7], off
	v_mov_b32_e32 v7, s19
	v_add_co_u32_e32 v6, vcc, s18, v4
	v_addc_co_u32_e32 v7, vcc, v7, v5, vcc
	global_load_dword v7, v[6:7], off
	s_waitcnt vmcnt(1)
	v_add_u32_e32 v6, v18, v0
	s_waitcnt vmcnt(0)
	v_subrev_u32_e32 v0, s65, v7
	v_cmp_lt_i32_e32 vcc, v6, v0
	s_and_saveexec_b64 s[46:47], vcc
	s_cbranch_execz .LBB18_50
; %bb.48:                               ;   in Loop: Header=BB18_46 Depth=2
	v_ashrrev_i32_e32 v7, 31, v6
	v_lshlrev_b64 v[9:10], 3, v[6:7]
	v_mov_b32_e32 v8, s41
	v_add_co_u32_e32 v7, vcc, s40, v9
	v_addc_co_u32_e32 v8, vcc, v8, v10, vcc
	v_mov_b32_e32 v11, s23
	v_add_co_u32_e32 v9, vcc, s22, v9
	v_addc_co_u32_e32 v10, vcc, v11, v10, vcc
	s_mov_b64 s[48:49], 0
.LBB18_49:                              ;   Parent Loop BB18_3 Depth=1
                                        ;     Parent Loop BB18_46 Depth=2
                                        ; =>    This Inner Loop Header: Depth=3
	global_load_dwordx2 v[11:12], v[7:8], off
	v_add_co_u32_e32 v7, vcc, 0x80, v7
	v_add_u32_e32 v6, 16, v6
	v_addc_co_u32_e32 v8, vcc, 0, v8, vcc
	v_cmp_ge_i32_e32 vcc, v6, v0
	s_or_b64 s[48:49], vcc, s[48:49]
	s_waitcnt vmcnt(0)
	global_store_dwordx2 v[9:10], v[11:12], off
	v_add_co_u32_e32 v9, vcc, 0x80, v9
	v_addc_co_u32_e32 v10, vcc, 0, v10, vcc
	s_andn2_b64 exec, exec, s[48:49]
	s_cbranch_execnz .LBB18_49
.LBB18_50:                              ;   in Loop: Header=BB18_46 Depth=2
	s_or_b64 exec, exec, s[46:47]
	v_mov_b32_e32 v0, s9
	v_add_co_u32_e32 v6, vcc, s8, v4
	v_addc_co_u32_e32 v7, vcc, v0, v5, vcc
	global_load_dword v0, v[6:7], off
	v_mov_b32_e32 v6, s11
	v_add_co_u32_e32 v4, vcc, s10, v4
	v_addc_co_u32_e32 v5, vcc, v6, v5, vcc
	global_load_dword v5, v[4:5], off
	s_waitcnt vmcnt(1)
	v_add_u32_e32 v4, v19, v0
	s_waitcnt vmcnt(0)
	v_subrev_u32_e32 v0, s66, v5
	v_cmp_lt_i32_e32 vcc, v4, v0
	s_and_saveexec_b64 s[46:47], vcc
	s_cbranch_execz .LBB18_53
; %bb.51:                               ;   in Loop: Header=BB18_46 Depth=2
	v_ashrrev_i32_e32 v5, 31, v4
	v_lshlrev_b64 v[7:8], 3, v[4:5]
	v_mov_b32_e32 v6, s43
	v_add_co_u32_e32 v5, vcc, s42, v7
	v_addc_co_u32_e32 v6, vcc, v6, v8, vcc
	v_mov_b32_e32 v9, s15
	v_add_co_u32_e32 v7, vcc, s14, v7
	v_addc_co_u32_e32 v8, vcc, v9, v8, vcc
	s_mov_b64 s[48:49], 0
.LBB18_52:                              ;   Parent Loop BB18_3 Depth=1
                                        ;     Parent Loop BB18_46 Depth=2
                                        ; =>    This Inner Loop Header: Depth=3
	global_load_dwordx2 v[9:10], v[5:6], off
	v_add_co_u32_e32 v5, vcc, 0x80, v5
	v_add_u32_e32 v4, 16, v4
	v_addc_co_u32_e32 v6, vcc, 0, v6, vcc
	v_cmp_ge_i32_e32 vcc, v4, v0
	s_or_b64 s[48:49], vcc, s[48:49]
	s_waitcnt vmcnt(0)
	global_store_dwordx2 v[7:8], v[9:10], off
	v_add_co_u32_e32 v7, vcc, 0x80, v7
	v_addc_co_u32_e32 v8, vcc, 0, v8, vcc
	s_andn2_b64 exec, exec, s[48:49]
	s_cbranch_execnz .LBB18_52
.LBB18_53:                              ;   in Loop: Header=BB18_46 Depth=2
	s_or_b64 exec, exec, s[46:47]
	s_and_b64 exec, exec, s[2:3]
	s_cbranch_execz .LBB18_45
; %bb.54:                               ;   in Loop: Header=BB18_46 Depth=2
	v_lshlrev_b64 v[3:4], 3, v[2:3]
	v_mov_b32_e32 v0, s39
	v_add_co_u32_e32 v5, vcc, s38, v3
	v_addc_co_u32_e32 v6, vcc, v0, v4, vcc
	global_load_dwordx2 v[5:6], v[5:6], off
	v_mov_b32_e32 v0, s37
	v_add_co_u32_e32 v3, vcc, s36, v3
	v_addc_co_u32_e32 v4, vcc, v0, v4, vcc
	s_waitcnt vmcnt(0)
	global_store_dwordx2 v[3:4], v[5:6], off
	s_branch .LBB18_45
.LBB18_55:
	s_endpgm
	.section	.rodata,"a",@progbits
	.p2align	6, 0x0
	.amdhsa_kernel _ZN9rocsparseL14kernel_freerunILi1024ELi16EdiiEEvT3_S1_T2_PKS2_S4_PKS1_PKT1_21rocsparse_index_base_S4_S4_S6_PS7_SB_SA_S4_S4_S6_SB_SB_SA_SB_SB_
		.amdhsa_group_segment_fixed_size 0
		.amdhsa_private_segment_fixed_size 0
		.amdhsa_kernarg_size 168
		.amdhsa_user_sgpr_count 6
		.amdhsa_user_sgpr_private_segment_buffer 1
		.amdhsa_user_sgpr_dispatch_ptr 0
		.amdhsa_user_sgpr_queue_ptr 0
		.amdhsa_user_sgpr_kernarg_segment_ptr 1
		.amdhsa_user_sgpr_dispatch_id 0
		.amdhsa_user_sgpr_flat_scratch_init 0
		.amdhsa_user_sgpr_private_segment_size 0
		.amdhsa_uses_dynamic_stack 0
		.amdhsa_system_sgpr_private_segment_wavefront_offset 0
		.amdhsa_system_sgpr_workgroup_id_x 1
		.amdhsa_system_sgpr_workgroup_id_y 0
		.amdhsa_system_sgpr_workgroup_id_z 0
		.amdhsa_system_sgpr_workgroup_info 0
		.amdhsa_system_vgpr_workitem_id 0
		.amdhsa_next_free_vgpr 34
		.amdhsa_next_free_sgpr 72
		.amdhsa_reserve_vcc 1
		.amdhsa_reserve_flat_scratch 0
		.amdhsa_float_round_mode_32 0
		.amdhsa_float_round_mode_16_64 0
		.amdhsa_float_denorm_mode_32 3
		.amdhsa_float_denorm_mode_16_64 3
		.amdhsa_dx10_clamp 1
		.amdhsa_ieee_mode 1
		.amdhsa_fp16_overflow 0
		.amdhsa_exception_fp_ieee_invalid_op 0
		.amdhsa_exception_fp_denorm_src 0
		.amdhsa_exception_fp_ieee_div_zero 0
		.amdhsa_exception_fp_ieee_overflow 0
		.amdhsa_exception_fp_ieee_underflow 0
		.amdhsa_exception_fp_ieee_inexact 0
		.amdhsa_exception_int_div_zero 0
	.end_amdhsa_kernel
	.section	.text._ZN9rocsparseL14kernel_freerunILi1024ELi16EdiiEEvT3_S1_T2_PKS2_S4_PKS1_PKT1_21rocsparse_index_base_S4_S4_S6_PS7_SB_SA_S4_S4_S6_SB_SB_SA_SB_SB_,"axG",@progbits,_ZN9rocsparseL14kernel_freerunILi1024ELi16EdiiEEvT3_S1_T2_PKS2_S4_PKS1_PKT1_21rocsparse_index_base_S4_S4_S6_PS7_SB_SA_S4_S4_S6_SB_SB_SA_SB_SB_,comdat
.Lfunc_end18:
	.size	_ZN9rocsparseL14kernel_freerunILi1024ELi16EdiiEEvT3_S1_T2_PKS2_S4_PKS1_PKT1_21rocsparse_index_base_S4_S4_S6_PS7_SB_SA_S4_S4_S6_SB_SB_SA_SB_SB_, .Lfunc_end18-_ZN9rocsparseL14kernel_freerunILi1024ELi16EdiiEEvT3_S1_T2_PKS2_S4_PKS1_PKT1_21rocsparse_index_base_S4_S4_S6_PS7_SB_SA_S4_S4_S6_SB_SB_SA_SB_SB_
                                        ; -- End function
	.set _ZN9rocsparseL14kernel_freerunILi1024ELi16EdiiEEvT3_S1_T2_PKS2_S4_PKS1_PKT1_21rocsparse_index_base_S4_S4_S6_PS7_SB_SA_S4_S4_S6_SB_SB_SA_SB_SB_.num_vgpr, 34
	.set _ZN9rocsparseL14kernel_freerunILi1024ELi16EdiiEEvT3_S1_T2_PKS2_S4_PKS1_PKT1_21rocsparse_index_base_S4_S4_S6_PS7_SB_SA_S4_S4_S6_SB_SB_SA_SB_SB_.num_agpr, 0
	.set _ZN9rocsparseL14kernel_freerunILi1024ELi16EdiiEEvT3_S1_T2_PKS2_S4_PKS1_PKT1_21rocsparse_index_base_S4_S4_S6_PS7_SB_SA_S4_S4_S6_SB_SB_SA_SB_SB_.numbered_sgpr, 72
	.set _ZN9rocsparseL14kernel_freerunILi1024ELi16EdiiEEvT3_S1_T2_PKS2_S4_PKS1_PKT1_21rocsparse_index_base_S4_S4_S6_PS7_SB_SA_S4_S4_S6_SB_SB_SA_SB_SB_.num_named_barrier, 0
	.set _ZN9rocsparseL14kernel_freerunILi1024ELi16EdiiEEvT3_S1_T2_PKS2_S4_PKS1_PKT1_21rocsparse_index_base_S4_S4_S6_PS7_SB_SA_S4_S4_S6_SB_SB_SA_SB_SB_.private_seg_size, 0
	.set _ZN9rocsparseL14kernel_freerunILi1024ELi16EdiiEEvT3_S1_T2_PKS2_S4_PKS1_PKT1_21rocsparse_index_base_S4_S4_S6_PS7_SB_SA_S4_S4_S6_SB_SB_SA_SB_SB_.uses_vcc, 1
	.set _ZN9rocsparseL14kernel_freerunILi1024ELi16EdiiEEvT3_S1_T2_PKS2_S4_PKS1_PKT1_21rocsparse_index_base_S4_S4_S6_PS7_SB_SA_S4_S4_S6_SB_SB_SA_SB_SB_.uses_flat_scratch, 0
	.set _ZN9rocsparseL14kernel_freerunILi1024ELi16EdiiEEvT3_S1_T2_PKS2_S4_PKS1_PKT1_21rocsparse_index_base_S4_S4_S6_PS7_SB_SA_S4_S4_S6_SB_SB_SA_SB_SB_.has_dyn_sized_stack, 0
	.set _ZN9rocsparseL14kernel_freerunILi1024ELi16EdiiEEvT3_S1_T2_PKS2_S4_PKS1_PKT1_21rocsparse_index_base_S4_S4_S6_PS7_SB_SA_S4_S4_S6_SB_SB_SA_SB_SB_.has_recursion, 0
	.set _ZN9rocsparseL14kernel_freerunILi1024ELi16EdiiEEvT3_S1_T2_PKS2_S4_PKS1_PKT1_21rocsparse_index_base_S4_S4_S6_PS7_SB_SA_S4_S4_S6_SB_SB_SA_SB_SB_.has_indirect_call, 0
	.section	.AMDGPU.csdata,"",@progbits
; Kernel info:
; codeLenInByte = 2064
; TotalNumSgprs: 76
; NumVgprs: 34
; ScratchSize: 0
; MemoryBound: 1
; FloatMode: 240
; IeeeMode: 1
; LDSByteSize: 0 bytes/workgroup (compile time only)
; SGPRBlocks: 9
; VGPRBlocks: 8
; NumSGPRsForWavesPerEU: 76
; NumVGPRsForWavesPerEU: 34
; Occupancy: 7
; WaveLimiterHint : 1
; COMPUTE_PGM_RSRC2:SCRATCH_EN: 0
; COMPUTE_PGM_RSRC2:USER_SGPR: 6
; COMPUTE_PGM_RSRC2:TRAP_HANDLER: 0
; COMPUTE_PGM_RSRC2:TGID_X_EN: 1
; COMPUTE_PGM_RSRC2:TGID_Y_EN: 0
; COMPUTE_PGM_RSRC2:TGID_Z_EN: 0
; COMPUTE_PGM_RSRC2:TIDIG_COMP_CNT: 0
	.section	.text._ZN9rocsparseL14kernel_freerunILi1024ELi32EdiiEEvT3_S1_T2_PKS2_S4_PKS1_PKT1_21rocsparse_index_base_S4_S4_S6_PS7_SB_SA_S4_S4_S6_SB_SB_SA_SB_SB_,"axG",@progbits,_ZN9rocsparseL14kernel_freerunILi1024ELi32EdiiEEvT3_S1_T2_PKS2_S4_PKS1_PKT1_21rocsparse_index_base_S4_S4_S6_PS7_SB_SA_S4_S4_S6_SB_SB_SA_SB_SB_,comdat
	.globl	_ZN9rocsparseL14kernel_freerunILi1024ELi32EdiiEEvT3_S1_T2_PKS2_S4_PKS1_PKT1_21rocsparse_index_base_S4_S4_S6_PS7_SB_SA_S4_S4_S6_SB_SB_SA_SB_SB_ ; -- Begin function _ZN9rocsparseL14kernel_freerunILi1024ELi32EdiiEEvT3_S1_T2_PKS2_S4_PKS1_PKT1_21rocsparse_index_base_S4_S4_S6_PS7_SB_SA_S4_S4_S6_SB_SB_SA_SB_SB_
	.p2align	8
	.type	_ZN9rocsparseL14kernel_freerunILi1024ELi32EdiiEEvT3_S1_T2_PKS2_S4_PKS1_PKT1_21rocsparse_index_base_S4_S4_S6_PS7_SB_SA_S4_S4_S6_SB_SB_SA_SB_SB_,@function
_ZN9rocsparseL14kernel_freerunILi1024ELi32EdiiEEvT3_S1_T2_PKS2_S4_PKS1_PKT1_21rocsparse_index_base_S4_S4_S6_PS7_SB_SA_S4_S4_S6_SB_SB_SA_SB_SB_: ; @_ZN9rocsparseL14kernel_freerunILi1024ELi32EdiiEEvT3_S1_T2_PKS2_S4_PKS1_PKT1_21rocsparse_index_base_S4_S4_S6_PS7_SB_SA_S4_S4_S6_SB_SB_SA_SB_SB_
; %bb.0:
	s_load_dwordx2 s[34:35], s[4:5], 0x0
	v_lshrrev_b32_e32 v1, 5, v0
	s_lshl_b32 s67, s6, 10
	v_or_b32_e32 v16, s67, v1
	s_mov_b32 s33, 0
	s_waitcnt lgkmcnt(0)
	s_cmp_gt_i32 s34, 0
	v_cmp_gt_i32_e32 vcc, s35, v16
	s_cselect_b64 s[0:1], -1, 0
	s_and_b64 s[0:1], vcc, s[0:1]
	s_and_saveexec_b64 s[2:3], s[0:1]
	s_cbranch_execz .LBB19_55
; %bb.1:
	s_load_dwordx4 s[36:39], s[4:5], 0x98
	s_load_dwordx8 s[8:15], s[4:5], 0x68
	s_load_dwordx8 s[16:23], s[4:5], 0x38
	s_load_dwordx8 s[24:31], s[4:5], 0x10
	s_load_dword s64, s[4:5], 0x30
	s_load_dwordx2 s[40:41], s[4:5], 0x58
	s_load_dword s65, s[4:5], 0x60
	s_load_dwordx2 s[42:43], s[4:5], 0x88
	s_load_dword s66, s[4:5], 0x90
	v_and_b32_e32 v0, 31, v0
	s_addk_i32 s67, 0x400
	s_waitcnt lgkmcnt(0)
	v_subrev_u32_e32 v17, s64, v0
	v_cmp_gt_u32_e64 s[0:1], s67, v16
	v_subrev_u32_e32 v18, s65, v0
	v_subrev_u32_e32 v19, s66, v0
	v_cmp_eq_u32_e64 s[2:3], 0, v0
	v_mov_b32_e32 v1, 0
	s_movk_i32 s68, 0x1f8
	s_branch .LBB19_3
.LBB19_2:                               ;   in Loop: Header=BB19_3 Depth=1
	s_or_b64 exec, exec, s[4:5]
	s_add_i32 s33, s33, 1
	s_cmp_eq_u32 s33, s34
	s_cbranch_scc1 .LBB19_55
.LBB19_3:                               ; =>This Loop Header: Depth=1
                                        ;     Child Loop BB19_5 Depth 2
                                        ;       Child Loop BB19_9 Depth 3
                                        ;         Child Loop BB19_13 Depth 4
                                        ;         Child Loop BB19_29 Depth 4
                                        ;         Child Loop BB19_39 Depth 4
                                        ;     Child Loop BB19_46 Depth 2
                                        ;       Child Loop BB19_49 Depth 3
                                        ;       Child Loop BB19_52 Depth 3
	s_mov_b32 s69, 0
	s_branch .LBB19_5
.LBB19_4:                               ;   in Loop: Header=BB19_5 Depth=2
	s_or_b64 exec, exec, s[44:45]
	s_add_i32 s69, s69, 1
	s_cmp_eq_u32 s69, 32
	s_cbranch_scc1 .LBB19_43
.LBB19_5:                               ;   Parent Loop BB19_3 Depth=1
                                        ; =>  This Loop Header: Depth=2
                                        ;       Child Loop BB19_9 Depth 3
                                        ;         Child Loop BB19_13 Depth 4
                                        ;         Child Loop BB19_29 Depth 4
	;; [unrolled: 1-line block ×3, first 2 shown]
	v_lshl_add_u32 v2, s69, 5, v16
	v_cmp_gt_i32_e32 vcc, s35, v2
	s_and_saveexec_b64 s[44:45], vcc
	s_cbranch_execz .LBB19_4
; %bb.6:                                ;   in Loop: Header=BB19_5 Depth=2
	v_ashrrev_i32_e32 v3, 31, v2
	v_lshlrev_b64 v[4:5], 2, v[2:3]
	v_mov_b32_e32 v0, s25
	v_add_co_u32_e32 v6, vcc, s24, v4
	v_addc_co_u32_e32 v7, vcc, v0, v5, vcc
	global_load_dword v0, v[6:7], off
	v_mov_b32_e32 v3, s27
	v_add_co_u32_e32 v6, vcc, s26, v4
	v_addc_co_u32_e32 v7, vcc, v3, v5, vcc
	global_load_dword v6, v[6:7], off
	s_waitcnt vmcnt(1)
	v_add_u32_e32 v3, v17, v0
	s_waitcnt vmcnt(0)
	v_subrev_u32_e32 v20, s64, v6
	v_cmp_lt_i32_e32 vcc, v3, v20
	s_and_b64 exec, exec, vcc
	s_cbranch_execz .LBB19_4
; %bb.7:                                ;   in Loop: Header=BB19_5 Depth=2
	v_mov_b32_e32 v0, s19
	v_add_co_u32_e32 v6, vcc, s18, v4
	v_addc_co_u32_e32 v7, vcc, v0, v5, vcc
	v_mov_b32_e32 v0, s17
	v_add_co_u32_e32 v4, vcc, s16, v4
	v_addc_co_u32_e32 v5, vcc, v0, v5, vcc
	global_load_dword v0, v[4:5], off
	global_load_dword v8, v[6:7], off
	v_mov_b32_e32 v4, s21
	v_mov_b32_e32 v11, s23
	s_mov_b64 s[46:47], 0
	s_waitcnt vmcnt(1)
	v_subrev_u32_e32 v5, s65, v0
	v_ashrrev_i32_e32 v6, 31, v5
	s_waitcnt vmcnt(0)
	v_sub_u32_e32 v21, v8, v0
	v_lshlrev_b64 v[7:8], 2, v[5:6]
	v_lshlrev_b64 v[9:10], 3, v[5:6]
	v_add_co_u32_e32 v22, vcc, s20, v7
	v_addc_co_u32_e32 v23, vcc, v4, v8, vcc
	v_add_co_u32_e32 v24, vcc, s22, v9
	v_cmp_lt_i32_e64 s[4:5], 0, v21
	v_addc_co_u32_e32 v25, vcc, v11, v10, vcc
	s_branch .LBB19_9
.LBB19_8:                               ;   in Loop: Header=BB19_9 Depth=3
	s_or_b64 exec, exec, s[48:49]
	v_add_u32_e32 v3, 32, v3
	v_cmp_ge_i32_e32 vcc, v3, v20
	s_or_b64 s[46:47], vcc, s[46:47]
	s_andn2_b64 exec, exec, s[46:47]
	s_cbranch_execz .LBB19_4
.LBB19_9:                               ;   Parent Loop BB19_3 Depth=1
                                        ;     Parent Loop BB19_5 Depth=2
                                        ; =>    This Loop Header: Depth=3
                                        ;         Child Loop BB19_13 Depth 4
                                        ;         Child Loop BB19_29 Depth 4
	;; [unrolled: 1-line block ×3, first 2 shown]
	v_ashrrev_i32_e32 v4, 31, v3
	v_lshlrev_b64 v[6:7], 2, v[3:4]
	v_mov_b32_e32 v0, s29
	v_add_co_u32_e32 v6, vcc, s28, v6
	v_addc_co_u32_e32 v7, vcc, v0, v7, vcc
	global_load_dword v0, v[6:7], off
	v_mov_b32_e32 v11, s9
	v_mov_b32_e32 v12, s11
	s_waitcnt vmcnt(0)
	v_subrev_u32_e32 v6, s64, v0
	v_ashrrev_i32_e32 v7, 31, v6
	v_lshlrev_b64 v[8:9], 2, v[6:7]
	v_add_co_u32_e32 v10, vcc, s8, v8
	v_addc_co_u32_e32 v11, vcc, v11, v9, vcc
	v_add_co_u32_e32 v8, vcc, s10, v8
	v_addc_co_u32_e32 v9, vcc, v12, v9, vcc
	global_load_dword v0, v[10:11], off
	s_nop 0
	global_load_dword v10, v[8:9], off
	v_mov_b32_e32 v9, 0
	v_mov_b32_e32 v11, 0
	;; [unrolled: 1-line block ×3, first 2 shown]
	s_waitcnt vmcnt(1)
	v_subrev_u32_e32 v8, s66, v0
	s_waitcnt vmcnt(0)
	v_sub_u32_e32 v26, v10, v0
	v_mov_b32_e32 v0, v9
	s_and_saveexec_b64 s[6:7], s[4:5]
	s_cbranch_execz .LBB19_17
; %bb.10:                               ;   in Loop: Header=BB19_9 Depth=3
	v_ashrrev_i32_e32 v9, 31, v8
	v_lshlrev_b64 v[10:11], 2, v[8:9]
	v_mov_b32_e32 v0, s13
	v_add_co_u32_e32 v13, vcc, s12, v10
	v_lshlrev_b64 v[9:10], 3, v[8:9]
	v_addc_co_u32_e32 v14, vcc, v0, v11, vcc
	v_mov_b32_e32 v0, s15
	v_add_co_u32_e32 v15, vcc, s14, v9
	v_addc_co_u32_e32 v27, vcc, v0, v10, vcc
	v_mov_b32_e32 v11, 0
	v_mov_b32_e32 v0, 0
	;; [unrolled: 1-line block ×3, first 2 shown]
	s_mov_b64 s[48:49], 0
	v_mov_b32_e32 v9, v0
                                        ; implicit-def: $sgpr50_sgpr51
	s_branch .LBB19_13
.LBB19_11:                              ;   in Loop: Header=BB19_13 Depth=4
	s_or_b64 exec, exec, s[54:55]
	v_cmp_le_i32_e32 vcc, v28, v29
	v_addc_co_u32_e32 v0, vcc, 0, v0, vcc
	v_cmp_ge_i32_e32 vcc, v28, v29
	v_addc_co_u32_e32 v9, vcc, 0, v9, vcc
	v_cmp_ge_i32_e32 vcc, v0, v21
	s_andn2_b64 s[50:51], s[50:51], exec
	s_and_b64 s[54:55], vcc, exec
	s_or_b64 s[50:51], s[50:51], s[54:55]
.LBB19_12:                              ;   in Loop: Header=BB19_13 Depth=4
	s_or_b64 exec, exec, s[52:53]
	s_and_b64 s[52:53], exec, s[50:51]
	s_or_b64 s[48:49], s[52:53], s[48:49]
	s_andn2_b64 exec, exec, s[48:49]
	s_cbranch_execz .LBB19_16
.LBB19_13:                              ;   Parent Loop BB19_3 Depth=1
                                        ;     Parent Loop BB19_5 Depth=2
                                        ;       Parent Loop BB19_9 Depth=3
                                        ; =>      This Inner Loop Header: Depth=4
	v_cmp_lt_i32_e32 vcc, v9, v26
	s_or_b64 s[50:51], s[50:51], exec
	s_and_saveexec_b64 s[52:53], vcc
	s_cbranch_execz .LBB19_12
; %bb.14:                               ;   in Loop: Header=BB19_13 Depth=4
	v_lshlrev_b64 v[28:29], 2, v[0:1]
	v_mov_b32_e32 v10, v1
	v_add_co_u32_e32 v28, vcc, v22, v28
	v_addc_co_u32_e32 v29, vcc, v23, v29, vcc
	global_load_dword v30, v[28:29], off
	v_lshlrev_b64 v[28:29], 2, v[9:10]
	v_add_co_u32_e32 v28, vcc, v13, v28
	v_addc_co_u32_e32 v29, vcc, v14, v29, vcc
	global_load_dword v29, v[28:29], off
	s_waitcnt vmcnt(1)
	v_subrev_u32_e32 v28, s65, v30
	s_waitcnt vmcnt(0)
	v_subrev_u32_e32 v29, s66, v29
	v_cmp_eq_u32_e32 vcc, v28, v29
	s_and_saveexec_b64 s[54:55], vcc
	s_cbranch_execz .LBB19_11
; %bb.15:                               ;   in Loop: Header=BB19_13 Depth=4
	v_lshlrev_b64 v[30:31], 3, v[0:1]
	v_lshlrev_b64 v[32:33], 3, v[9:10]
	v_add_co_u32_e32 v30, vcc, v24, v30
	v_addc_co_u32_e32 v31, vcc, v25, v31, vcc
	v_add_co_u32_e32 v32, vcc, v15, v32
	v_addc_co_u32_e32 v33, vcc, v27, v33, vcc
	global_load_dwordx2 v[30:31], v[30:31], off
	s_nop 0
	global_load_dwordx2 v[32:33], v[32:33], off
	s_waitcnt vmcnt(0)
	v_fma_f64 v[11:12], v[30:31], v[32:33], v[11:12]
	s_branch .LBB19_11
.LBB19_16:                              ;   in Loop: Header=BB19_9 Depth=3
	s_or_b64 exec, exec, s[48:49]
.LBB19_17:                              ;   in Loop: Header=BB19_9 Depth=3
	s_or_b64 exec, exec, s[6:7]
	v_lshlrev_b64 v[13:14], 3, v[3:4]
	v_mov_b32_e32 v4, s31
	v_add_co_u32_e32 v13, vcc, s30, v13
	v_addc_co_u32_e32 v14, vcc, v4, v14, vcc
	global_load_dwordx2 v[13:14], v[13:14], off
	v_cmp_le_i32_e64 s[6:7], v2, v6
	v_cmp_gt_i32_e32 vcc, v2, v6
	s_waitcnt vmcnt(0)
	v_add_f64 v[10:11], v[13:14], -v[11:12]
	s_and_saveexec_b64 s[48:49], vcc
	s_cbranch_execz .LBB19_21
; %bb.18:                               ;   in Loop: Header=BB19_9 Depth=3
	v_lshlrev_b64 v[12:13], 3, v[6:7]
	v_mov_b32_e32 v4, s37
	v_add_co_u32_e32 v12, vcc, s36, v12
	v_addc_co_u32_e32 v13, vcc, v4, v13, vcc
	global_load_dwordx2 v[12:13], v[12:13], off
	v_mov_b32_e32 v14, 0
	v_mov_b32_e32 v15, 0
	s_waitcnt vmcnt(0)
	v_cmp_lg_f64_e32 vcc, 0, v[12:13]
	s_and_saveexec_b64 s[50:51], vcc
	s_cbranch_execz .LBB19_20
; %bb.19:                               ;   in Loop: Header=BB19_9 Depth=3
	v_div_scale_f64 v[14:15], s[52:53], v[12:13], v[12:13], v[10:11]
	v_div_scale_f64 v[31:32], vcc, v[10:11], v[12:13], v[10:11]
	v_rcp_f64_e32 v[27:28], v[14:15]
	v_fma_f64 v[29:30], -v[14:15], v[27:28], 1.0
	v_fma_f64 v[27:28], v[27:28], v[29:30], v[27:28]
	v_fma_f64 v[29:30], -v[14:15], v[27:28], 1.0
	v_fma_f64 v[27:28], v[27:28], v[29:30], v[27:28]
	v_mul_f64 v[29:30], v[31:32], v[27:28]
	v_fma_f64 v[14:15], -v[14:15], v[29:30], v[31:32]
	v_div_fmas_f64 v[14:15], v[14:15], v[27:28], v[29:30]
	v_div_fixup_f64 v[14:15], v[14:15], v[12:13], v[10:11]
.LBB19_20:                              ;   in Loop: Header=BB19_9 Depth=3
	s_or_b64 exec, exec, s[50:51]
	v_mov_b32_e32 v10, v14
	v_mov_b32_e32 v11, v15
.LBB19_21:                              ;   in Loop: Header=BB19_9 Depth=3
	s_or_b64 exec, exec, s[48:49]
	v_cmp_class_f64_e64 s[50:51], v[10:11], s68
	s_and_saveexec_b64 s[48:49], s[50:51]
	s_cbranch_execz .LBB19_8
; %bb.22:                               ;   in Loop: Header=BB19_9 Depth=3
	s_and_saveexec_b64 s[50:51], s[6:7]
	s_xor_b64 s[6:7], exec, s[50:51]
	s_cbranch_execz .LBB19_35
; %bb.23:                               ;   in Loop: Header=BB19_9 Depth=3
	v_cmp_ge_i32_e32 vcc, v2, v6
	s_and_saveexec_b64 s[50:51], vcc
	s_xor_b64 s[50:51], exec, s[50:51]
	s_cbranch_execz .LBB19_25
; %bb.24:                               ;   in Loop: Header=BB19_9 Depth=3
	v_lshlrev_b64 v[6:7], 3, v[6:7]
	v_mov_b32_e32 v0, s39
	v_add_co_u32_e32 v6, vcc, s38, v6
	v_addc_co_u32_e32 v7, vcc, v0, v7, vcc
	global_store_dwordx2 v[6:7], v[10:11], off
                                        ; implicit-def: $vgpr9
                                        ; implicit-def: $vgpr26
                                        ; implicit-def: $vgpr10_vgpr11
                                        ; implicit-def: $vgpr8
.LBB19_25:                              ;   in Loop: Header=BB19_9 Depth=3
	s_andn2_saveexec_b64 s[50:51], s[50:51]
	s_cbranch_execz .LBB19_34
; %bb.26:                               ;   in Loop: Header=BB19_9 Depth=3
	v_cmp_lt_i32_e32 vcc, v9, v26
	s_and_saveexec_b64 s[52:53], vcc
	s_cbranch_execz .LBB19_33
; %bb.27:                               ;   in Loop: Header=BB19_9 Depth=3
	s_mov_b64 s[54:55], 0
                                        ; implicit-def: $sgpr56_sgpr57
                                        ; implicit-def: $sgpr60_sgpr61
                                        ; implicit-def: $sgpr58_sgpr59
	s_branch .LBB19_29
.LBB19_28:                              ;   in Loop: Header=BB19_29 Depth=4
	s_or_b64 exec, exec, s[62:63]
	s_and_b64 s[62:63], exec, s[60:61]
	s_or_b64 s[54:55], s[62:63], s[54:55]
	s_andn2_b64 s[56:57], s[56:57], exec
	s_and_b64 s[62:63], s[58:59], exec
	s_or_b64 s[56:57], s[56:57], s[62:63]
	s_andn2_b64 exec, exec, s[54:55]
	s_cbranch_execz .LBB19_31
.LBB19_29:                              ;   Parent Loop BB19_3 Depth=1
                                        ;     Parent Loop BB19_5 Depth=2
                                        ;       Parent Loop BB19_9 Depth=3
                                        ; =>      This Inner Loop Header: Depth=4
	v_add_u32_e32 v6, v8, v9
	v_ashrrev_i32_e32 v7, 31, v6
	v_lshlrev_b64 v[12:13], 2, v[6:7]
	v_mov_b32_e32 v0, s13
	v_add_co_u32_e32 v12, vcc, s12, v12
	v_addc_co_u32_e32 v13, vcc, v0, v13, vcc
	global_load_dword v0, v[12:13], off
	s_or_b64 s[58:59], s[58:59], exec
	s_or_b64 s[60:61], s[60:61], exec
	s_waitcnt vmcnt(0)
	v_subrev_u32_e32 v0, s66, v0
	v_cmp_ne_u32_e32 vcc, v0, v2
	s_and_saveexec_b64 s[62:63], vcc
	s_cbranch_execz .LBB19_28
; %bb.30:                               ;   in Loop: Header=BB19_29 Depth=4
	v_add_u32_e32 v9, 1, v9
	v_cmp_ge_i32_e32 vcc, v9, v26
	s_andn2_b64 s[60:61], s[60:61], exec
	s_and_b64 s[70:71], vcc, exec
	s_andn2_b64 s[58:59], s[58:59], exec
	s_or_b64 s[60:61], s[60:61], s[70:71]
	s_branch .LBB19_28
.LBB19_31:                              ;   in Loop: Header=BB19_9 Depth=3
	s_or_b64 exec, exec, s[54:55]
	s_and_saveexec_b64 s[54:55], s[56:57]
	s_xor_b64 s[54:55], exec, s[54:55]
	s_cbranch_execz .LBB19_33
; %bb.32:                               ;   in Loop: Header=BB19_9 Depth=3
	v_lshlrev_b64 v[6:7], 3, v[6:7]
	v_mov_b32_e32 v0, s43
	v_add_co_u32_e32 v6, vcc, s42, v6
	v_addc_co_u32_e32 v7, vcc, v0, v7, vcc
	global_store_dwordx2 v[6:7], v[10:11], off
.LBB19_33:                              ;   in Loop: Header=BB19_9 Depth=3
	s_or_b64 exec, exec, s[52:53]
.LBB19_34:                              ;   in Loop: Header=BB19_9 Depth=3
	s_or_b64 exec, exec, s[50:51]
                                        ; implicit-def: $vgpr10_vgpr11
                                        ; implicit-def: $vgpr6_vgpr7
.LBB19_35:                              ;   in Loop: Header=BB19_9 Depth=3
	s_andn2_saveexec_b64 s[6:7], s[6:7]
	s_cbranch_execz .LBB19_8
; %bb.36:                               ;   in Loop: Header=BB19_9 Depth=3
	v_cmp_lt_i32_e32 vcc, v0, v21
	s_and_b64 exec, exec, vcc
	s_cbranch_execz .LBB19_8
; %bb.37:                               ;   in Loop: Header=BB19_9 Depth=3
	s_mov_b64 s[6:7], 0
                                        ; implicit-def: $sgpr50_sgpr51
                                        ; implicit-def: $sgpr54_sgpr55
                                        ; implicit-def: $sgpr52_sgpr53
	s_branch .LBB19_39
.LBB19_38:                              ;   in Loop: Header=BB19_39 Depth=4
	s_or_b64 exec, exec, s[56:57]
	s_and_b64 s[56:57], exec, s[54:55]
	s_or_b64 s[6:7], s[56:57], s[6:7]
	s_andn2_b64 s[50:51], s[50:51], exec
	s_and_b64 s[56:57], s[52:53], exec
	s_or_b64 s[50:51], s[50:51], s[56:57]
	s_andn2_b64 exec, exec, s[6:7]
	s_cbranch_execz .LBB19_41
.LBB19_39:                              ;   Parent Loop BB19_3 Depth=1
                                        ;     Parent Loop BB19_5 Depth=2
                                        ;       Parent Loop BB19_9 Depth=3
                                        ; =>      This Inner Loop Header: Depth=4
	v_add_u32_e32 v7, v5, v0
	v_ashrrev_i32_e32 v8, 31, v7
	v_lshlrev_b64 v[12:13], 2, v[7:8]
	v_mov_b32_e32 v4, s21
	v_add_co_u32_e32 v12, vcc, s20, v12
	v_addc_co_u32_e32 v13, vcc, v4, v13, vcc
	global_load_dword v4, v[12:13], off
	s_or_b64 s[52:53], s[52:53], exec
	s_or_b64 s[54:55], s[54:55], exec
	s_waitcnt vmcnt(0)
	v_subrev_u32_e32 v4, s65, v4
	v_cmp_ne_u32_e32 vcc, v4, v6
	s_and_saveexec_b64 s[56:57], vcc
	s_cbranch_execz .LBB19_38
; %bb.40:                               ;   in Loop: Header=BB19_39 Depth=4
	v_add_u32_e32 v0, 1, v0
	v_cmp_ge_i32_e32 vcc, v0, v21
	s_andn2_b64 s[54:55], s[54:55], exec
	s_and_b64 s[58:59], vcc, exec
	s_andn2_b64 s[52:53], s[52:53], exec
	s_or_b64 s[54:55], s[54:55], s[58:59]
	s_branch .LBB19_38
.LBB19_41:                              ;   in Loop: Header=BB19_9 Depth=3
	s_or_b64 exec, exec, s[6:7]
	s_and_saveexec_b64 s[6:7], s[50:51]
	s_xor_b64 s[6:7], exec, s[6:7]
	s_cbranch_execz .LBB19_8
; %bb.42:                               ;   in Loop: Header=BB19_9 Depth=3
	v_lshlrev_b64 v[6:7], 3, v[7:8]
	v_mov_b32_e32 v0, s41
	v_add_co_u32_e32 v6, vcc, s40, v6
	v_addc_co_u32_e32 v7, vcc, v0, v7, vcc
	global_store_dwordx2 v[6:7], v[10:11], off
	s_branch .LBB19_8
.LBB19_43:                              ;   in Loop: Header=BB19_3 Depth=1
	s_and_saveexec_b64 s[4:5], s[0:1]
	s_cbranch_execz .LBB19_2
; %bb.44:                               ;   in Loop: Header=BB19_3 Depth=1
	s_mov_b64 s[6:7], 0
	v_mov_b32_e32 v2, v16
	s_branch .LBB19_46
.LBB19_45:                              ;   in Loop: Header=BB19_46 Depth=2
	s_or_b64 exec, exec, s[44:45]
	v_add_u32_e32 v2, 32, v2
	v_cmp_le_u32_e32 vcc, s67, v2
	s_or_b64 s[6:7], vcc, s[6:7]
	s_andn2_b64 exec, exec, s[6:7]
	s_cbranch_execz .LBB19_2
.LBB19_46:                              ;   Parent Loop BB19_3 Depth=1
                                        ; =>  This Loop Header: Depth=2
                                        ;       Child Loop BB19_49 Depth 3
                                        ;       Child Loop BB19_52 Depth 3
	v_cmp_gt_i32_e32 vcc, s35, v2
	s_and_saveexec_b64 s[44:45], vcc
	s_cbranch_execz .LBB19_45
; %bb.47:                               ;   in Loop: Header=BB19_46 Depth=2
	v_ashrrev_i32_e32 v3, 31, v2
	v_lshlrev_b64 v[4:5], 2, v[2:3]
	v_mov_b32_e32 v0, s17
	v_add_co_u32_e32 v6, vcc, s16, v4
	v_addc_co_u32_e32 v7, vcc, v0, v5, vcc
	global_load_dword v0, v[6:7], off
	v_mov_b32_e32 v7, s19
	v_add_co_u32_e32 v6, vcc, s18, v4
	v_addc_co_u32_e32 v7, vcc, v7, v5, vcc
	global_load_dword v7, v[6:7], off
	s_waitcnt vmcnt(1)
	v_add_u32_e32 v6, v18, v0
	s_waitcnt vmcnt(0)
	v_subrev_u32_e32 v0, s65, v7
	v_cmp_lt_i32_e32 vcc, v6, v0
	s_and_saveexec_b64 s[46:47], vcc
	s_cbranch_execz .LBB19_50
; %bb.48:                               ;   in Loop: Header=BB19_46 Depth=2
	v_ashrrev_i32_e32 v7, 31, v6
	v_lshlrev_b64 v[9:10], 3, v[6:7]
	v_mov_b32_e32 v8, s41
	v_add_co_u32_e32 v7, vcc, s40, v9
	v_addc_co_u32_e32 v8, vcc, v8, v10, vcc
	v_mov_b32_e32 v11, s23
	v_add_co_u32_e32 v9, vcc, s22, v9
	v_addc_co_u32_e32 v10, vcc, v11, v10, vcc
	s_mov_b64 s[48:49], 0
.LBB19_49:                              ;   Parent Loop BB19_3 Depth=1
                                        ;     Parent Loop BB19_46 Depth=2
                                        ; =>    This Inner Loop Header: Depth=3
	global_load_dwordx2 v[11:12], v[7:8], off
	v_add_co_u32_e32 v7, vcc, 0x100, v7
	v_add_u32_e32 v6, 32, v6
	v_addc_co_u32_e32 v8, vcc, 0, v8, vcc
	v_cmp_ge_i32_e32 vcc, v6, v0
	s_or_b64 s[48:49], vcc, s[48:49]
	s_waitcnt vmcnt(0)
	global_store_dwordx2 v[9:10], v[11:12], off
	v_add_co_u32_e32 v9, vcc, 0x100, v9
	v_addc_co_u32_e32 v10, vcc, 0, v10, vcc
	s_andn2_b64 exec, exec, s[48:49]
	s_cbranch_execnz .LBB19_49
.LBB19_50:                              ;   in Loop: Header=BB19_46 Depth=2
	s_or_b64 exec, exec, s[46:47]
	v_mov_b32_e32 v0, s9
	v_add_co_u32_e32 v6, vcc, s8, v4
	v_addc_co_u32_e32 v7, vcc, v0, v5, vcc
	global_load_dword v0, v[6:7], off
	v_mov_b32_e32 v6, s11
	v_add_co_u32_e32 v4, vcc, s10, v4
	v_addc_co_u32_e32 v5, vcc, v6, v5, vcc
	global_load_dword v5, v[4:5], off
	s_waitcnt vmcnt(1)
	v_add_u32_e32 v4, v19, v0
	s_waitcnt vmcnt(0)
	v_subrev_u32_e32 v0, s66, v5
	v_cmp_lt_i32_e32 vcc, v4, v0
	s_and_saveexec_b64 s[46:47], vcc
	s_cbranch_execz .LBB19_53
; %bb.51:                               ;   in Loop: Header=BB19_46 Depth=2
	v_ashrrev_i32_e32 v5, 31, v4
	v_lshlrev_b64 v[7:8], 3, v[4:5]
	v_mov_b32_e32 v6, s43
	v_add_co_u32_e32 v5, vcc, s42, v7
	v_addc_co_u32_e32 v6, vcc, v6, v8, vcc
	v_mov_b32_e32 v9, s15
	v_add_co_u32_e32 v7, vcc, s14, v7
	v_addc_co_u32_e32 v8, vcc, v9, v8, vcc
	s_mov_b64 s[48:49], 0
.LBB19_52:                              ;   Parent Loop BB19_3 Depth=1
                                        ;     Parent Loop BB19_46 Depth=2
                                        ; =>    This Inner Loop Header: Depth=3
	global_load_dwordx2 v[9:10], v[5:6], off
	v_add_co_u32_e32 v5, vcc, 0x100, v5
	v_add_u32_e32 v4, 32, v4
	v_addc_co_u32_e32 v6, vcc, 0, v6, vcc
	v_cmp_ge_i32_e32 vcc, v4, v0
	s_or_b64 s[48:49], vcc, s[48:49]
	s_waitcnt vmcnt(0)
	global_store_dwordx2 v[7:8], v[9:10], off
	v_add_co_u32_e32 v7, vcc, 0x100, v7
	v_addc_co_u32_e32 v8, vcc, 0, v8, vcc
	s_andn2_b64 exec, exec, s[48:49]
	s_cbranch_execnz .LBB19_52
.LBB19_53:                              ;   in Loop: Header=BB19_46 Depth=2
	s_or_b64 exec, exec, s[46:47]
	s_and_b64 exec, exec, s[2:3]
	s_cbranch_execz .LBB19_45
; %bb.54:                               ;   in Loop: Header=BB19_46 Depth=2
	v_lshlrev_b64 v[3:4], 3, v[2:3]
	v_mov_b32_e32 v0, s39
	v_add_co_u32_e32 v5, vcc, s38, v3
	v_addc_co_u32_e32 v6, vcc, v0, v4, vcc
	global_load_dwordx2 v[5:6], v[5:6], off
	v_mov_b32_e32 v0, s37
	v_add_co_u32_e32 v3, vcc, s36, v3
	v_addc_co_u32_e32 v4, vcc, v0, v4, vcc
	s_waitcnt vmcnt(0)
	global_store_dwordx2 v[3:4], v[5:6], off
	s_branch .LBB19_45
.LBB19_55:
	s_endpgm
	.section	.rodata,"a",@progbits
	.p2align	6, 0x0
	.amdhsa_kernel _ZN9rocsparseL14kernel_freerunILi1024ELi32EdiiEEvT3_S1_T2_PKS2_S4_PKS1_PKT1_21rocsparse_index_base_S4_S4_S6_PS7_SB_SA_S4_S4_S6_SB_SB_SA_SB_SB_
		.amdhsa_group_segment_fixed_size 0
		.amdhsa_private_segment_fixed_size 0
		.amdhsa_kernarg_size 168
		.amdhsa_user_sgpr_count 6
		.amdhsa_user_sgpr_private_segment_buffer 1
		.amdhsa_user_sgpr_dispatch_ptr 0
		.amdhsa_user_sgpr_queue_ptr 0
		.amdhsa_user_sgpr_kernarg_segment_ptr 1
		.amdhsa_user_sgpr_dispatch_id 0
		.amdhsa_user_sgpr_flat_scratch_init 0
		.amdhsa_user_sgpr_private_segment_size 0
		.amdhsa_uses_dynamic_stack 0
		.amdhsa_system_sgpr_private_segment_wavefront_offset 0
		.amdhsa_system_sgpr_workgroup_id_x 1
		.amdhsa_system_sgpr_workgroup_id_y 0
		.amdhsa_system_sgpr_workgroup_id_z 0
		.amdhsa_system_sgpr_workgroup_info 0
		.amdhsa_system_vgpr_workitem_id 0
		.amdhsa_next_free_vgpr 34
		.amdhsa_next_free_sgpr 72
		.amdhsa_reserve_vcc 1
		.amdhsa_reserve_flat_scratch 0
		.amdhsa_float_round_mode_32 0
		.amdhsa_float_round_mode_16_64 0
		.amdhsa_float_denorm_mode_32 3
		.amdhsa_float_denorm_mode_16_64 3
		.amdhsa_dx10_clamp 1
		.amdhsa_ieee_mode 1
		.amdhsa_fp16_overflow 0
		.amdhsa_exception_fp_ieee_invalid_op 0
		.amdhsa_exception_fp_denorm_src 0
		.amdhsa_exception_fp_ieee_div_zero 0
		.amdhsa_exception_fp_ieee_overflow 0
		.amdhsa_exception_fp_ieee_underflow 0
		.amdhsa_exception_fp_ieee_inexact 0
		.amdhsa_exception_int_div_zero 0
	.end_amdhsa_kernel
	.section	.text._ZN9rocsparseL14kernel_freerunILi1024ELi32EdiiEEvT3_S1_T2_PKS2_S4_PKS1_PKT1_21rocsparse_index_base_S4_S4_S6_PS7_SB_SA_S4_S4_S6_SB_SB_SA_SB_SB_,"axG",@progbits,_ZN9rocsparseL14kernel_freerunILi1024ELi32EdiiEEvT3_S1_T2_PKS2_S4_PKS1_PKT1_21rocsparse_index_base_S4_S4_S6_PS7_SB_SA_S4_S4_S6_SB_SB_SA_SB_SB_,comdat
.Lfunc_end19:
	.size	_ZN9rocsparseL14kernel_freerunILi1024ELi32EdiiEEvT3_S1_T2_PKS2_S4_PKS1_PKT1_21rocsparse_index_base_S4_S4_S6_PS7_SB_SA_S4_S4_S6_SB_SB_SA_SB_SB_, .Lfunc_end19-_ZN9rocsparseL14kernel_freerunILi1024ELi32EdiiEEvT3_S1_T2_PKS2_S4_PKS1_PKT1_21rocsparse_index_base_S4_S4_S6_PS7_SB_SA_S4_S4_S6_SB_SB_SA_SB_SB_
                                        ; -- End function
	.set _ZN9rocsparseL14kernel_freerunILi1024ELi32EdiiEEvT3_S1_T2_PKS2_S4_PKS1_PKT1_21rocsparse_index_base_S4_S4_S6_PS7_SB_SA_S4_S4_S6_SB_SB_SA_SB_SB_.num_vgpr, 34
	.set _ZN9rocsparseL14kernel_freerunILi1024ELi32EdiiEEvT3_S1_T2_PKS2_S4_PKS1_PKT1_21rocsparse_index_base_S4_S4_S6_PS7_SB_SA_S4_S4_S6_SB_SB_SA_SB_SB_.num_agpr, 0
	.set _ZN9rocsparseL14kernel_freerunILi1024ELi32EdiiEEvT3_S1_T2_PKS2_S4_PKS1_PKT1_21rocsparse_index_base_S4_S4_S6_PS7_SB_SA_S4_S4_S6_SB_SB_SA_SB_SB_.numbered_sgpr, 72
	.set _ZN9rocsparseL14kernel_freerunILi1024ELi32EdiiEEvT3_S1_T2_PKS2_S4_PKS1_PKT1_21rocsparse_index_base_S4_S4_S6_PS7_SB_SA_S4_S4_S6_SB_SB_SA_SB_SB_.num_named_barrier, 0
	.set _ZN9rocsparseL14kernel_freerunILi1024ELi32EdiiEEvT3_S1_T2_PKS2_S4_PKS1_PKT1_21rocsparse_index_base_S4_S4_S6_PS7_SB_SA_S4_S4_S6_SB_SB_SA_SB_SB_.private_seg_size, 0
	.set _ZN9rocsparseL14kernel_freerunILi1024ELi32EdiiEEvT3_S1_T2_PKS2_S4_PKS1_PKT1_21rocsparse_index_base_S4_S4_S6_PS7_SB_SA_S4_S4_S6_SB_SB_SA_SB_SB_.uses_vcc, 1
	.set _ZN9rocsparseL14kernel_freerunILi1024ELi32EdiiEEvT3_S1_T2_PKS2_S4_PKS1_PKT1_21rocsparse_index_base_S4_S4_S6_PS7_SB_SA_S4_S4_S6_SB_SB_SA_SB_SB_.uses_flat_scratch, 0
	.set _ZN9rocsparseL14kernel_freerunILi1024ELi32EdiiEEvT3_S1_T2_PKS2_S4_PKS1_PKT1_21rocsparse_index_base_S4_S4_S6_PS7_SB_SA_S4_S4_S6_SB_SB_SA_SB_SB_.has_dyn_sized_stack, 0
	.set _ZN9rocsparseL14kernel_freerunILi1024ELi32EdiiEEvT3_S1_T2_PKS2_S4_PKS1_PKT1_21rocsparse_index_base_S4_S4_S6_PS7_SB_SA_S4_S4_S6_SB_SB_SA_SB_SB_.has_recursion, 0
	.set _ZN9rocsparseL14kernel_freerunILi1024ELi32EdiiEEvT3_S1_T2_PKS2_S4_PKS1_PKT1_21rocsparse_index_base_S4_S4_S6_PS7_SB_SA_S4_S4_S6_SB_SB_SA_SB_SB_.has_indirect_call, 0
	.section	.AMDGPU.csdata,"",@progbits
; Kernel info:
; codeLenInByte = 2064
; TotalNumSgprs: 76
; NumVgprs: 34
; ScratchSize: 0
; MemoryBound: 1
; FloatMode: 240
; IeeeMode: 1
; LDSByteSize: 0 bytes/workgroup (compile time only)
; SGPRBlocks: 9
; VGPRBlocks: 8
; NumSGPRsForWavesPerEU: 76
; NumVGPRsForWavesPerEU: 34
; Occupancy: 7
; WaveLimiterHint : 1
; COMPUTE_PGM_RSRC2:SCRATCH_EN: 0
; COMPUTE_PGM_RSRC2:USER_SGPR: 6
; COMPUTE_PGM_RSRC2:TRAP_HANDLER: 0
; COMPUTE_PGM_RSRC2:TGID_X_EN: 1
; COMPUTE_PGM_RSRC2:TGID_Y_EN: 0
; COMPUTE_PGM_RSRC2:TGID_Z_EN: 0
; COMPUTE_PGM_RSRC2:TIDIG_COMP_CNT: 0
	.section	.text._ZN9rocsparseL14kernel_freerunILi1024ELi64EdiiEEvT3_S1_T2_PKS2_S4_PKS1_PKT1_21rocsparse_index_base_S4_S4_S6_PS7_SB_SA_S4_S4_S6_SB_SB_SA_SB_SB_,"axG",@progbits,_ZN9rocsparseL14kernel_freerunILi1024ELi64EdiiEEvT3_S1_T2_PKS2_S4_PKS1_PKT1_21rocsparse_index_base_S4_S4_S6_PS7_SB_SA_S4_S4_S6_SB_SB_SA_SB_SB_,comdat
	.globl	_ZN9rocsparseL14kernel_freerunILi1024ELi64EdiiEEvT3_S1_T2_PKS2_S4_PKS1_PKT1_21rocsparse_index_base_S4_S4_S6_PS7_SB_SA_S4_S4_S6_SB_SB_SA_SB_SB_ ; -- Begin function _ZN9rocsparseL14kernel_freerunILi1024ELi64EdiiEEvT3_S1_T2_PKS2_S4_PKS1_PKT1_21rocsparse_index_base_S4_S4_S6_PS7_SB_SA_S4_S4_S6_SB_SB_SA_SB_SB_
	.p2align	8
	.type	_ZN9rocsparseL14kernel_freerunILi1024ELi64EdiiEEvT3_S1_T2_PKS2_S4_PKS1_PKT1_21rocsparse_index_base_S4_S4_S6_PS7_SB_SA_S4_S4_S6_SB_SB_SA_SB_SB_,@function
_ZN9rocsparseL14kernel_freerunILi1024ELi64EdiiEEvT3_S1_T2_PKS2_S4_PKS1_PKT1_21rocsparse_index_base_S4_S4_S6_PS7_SB_SA_S4_S4_S6_SB_SB_SA_SB_SB_: ; @_ZN9rocsparseL14kernel_freerunILi1024ELi64EdiiEEvT3_S1_T2_PKS2_S4_PKS1_PKT1_21rocsparse_index_base_S4_S4_S6_PS7_SB_SA_S4_S4_S6_SB_SB_SA_SB_SB_
; %bb.0:
	s_load_dwordx2 s[34:35], s[4:5], 0x0
	v_lshrrev_b32_e32 v1, 6, v0
	s_lshl_b32 s67, s6, 10
	v_or_b32_e32 v16, s67, v1
	s_mov_b32 s33, 0
	s_waitcnt lgkmcnt(0)
	s_cmp_gt_i32 s34, 0
	v_cmp_gt_i32_e32 vcc, s35, v16
	s_cselect_b64 s[0:1], -1, 0
	s_and_b64 s[0:1], vcc, s[0:1]
	s_and_saveexec_b64 s[2:3], s[0:1]
	s_cbranch_execz .LBB20_55
; %bb.1:
	s_load_dwordx4 s[36:39], s[4:5], 0x98
	s_load_dwordx8 s[8:15], s[4:5], 0x68
	s_load_dwordx8 s[16:23], s[4:5], 0x38
	;; [unrolled: 1-line block ×3, first 2 shown]
	s_load_dword s64, s[4:5], 0x30
	s_load_dwordx2 s[40:41], s[4:5], 0x58
	s_load_dword s65, s[4:5], 0x60
	s_load_dwordx2 s[42:43], s[4:5], 0x88
	s_load_dword s66, s[4:5], 0x90
	v_and_b32_e32 v0, 63, v0
	s_addk_i32 s67, 0x400
	s_waitcnt lgkmcnt(0)
	v_subrev_u32_e32 v17, s64, v0
	v_cmp_gt_u32_e64 s[0:1], s67, v16
	v_subrev_u32_e32 v18, s65, v0
	v_subrev_u32_e32 v19, s66, v0
	v_cmp_eq_u32_e64 s[2:3], 0, v0
	v_mov_b32_e32 v1, 0
	s_movk_i32 s68, 0x1f8
	s_branch .LBB20_3
.LBB20_2:                               ;   in Loop: Header=BB20_3 Depth=1
	s_or_b64 exec, exec, s[4:5]
	s_add_i32 s33, s33, 1
	s_cmp_eq_u32 s33, s34
	s_cbranch_scc1 .LBB20_55
.LBB20_3:                               ; =>This Loop Header: Depth=1
                                        ;     Child Loop BB20_5 Depth 2
                                        ;       Child Loop BB20_9 Depth 3
                                        ;         Child Loop BB20_13 Depth 4
                                        ;         Child Loop BB20_29 Depth 4
	;; [unrolled: 1-line block ×3, first 2 shown]
                                        ;     Child Loop BB20_46 Depth 2
                                        ;       Child Loop BB20_49 Depth 3
                                        ;       Child Loop BB20_52 Depth 3
	s_mov_b32 s69, 0
	s_branch .LBB20_5
.LBB20_4:                               ;   in Loop: Header=BB20_5 Depth=2
	s_or_b64 exec, exec, s[44:45]
	s_add_i32 s69, s69, 1
	s_cmp_eq_u32 s69, 64
	s_cbranch_scc1 .LBB20_43
.LBB20_5:                               ;   Parent Loop BB20_3 Depth=1
                                        ; =>  This Loop Header: Depth=2
                                        ;       Child Loop BB20_9 Depth 3
                                        ;         Child Loop BB20_13 Depth 4
                                        ;         Child Loop BB20_29 Depth 4
	;; [unrolled: 1-line block ×3, first 2 shown]
	v_lshl_add_u32 v2, s69, 4, v16
	v_cmp_gt_i32_e32 vcc, s35, v2
	s_and_saveexec_b64 s[44:45], vcc
	s_cbranch_execz .LBB20_4
; %bb.6:                                ;   in Loop: Header=BB20_5 Depth=2
	v_ashrrev_i32_e32 v3, 31, v2
	v_lshlrev_b64 v[4:5], 2, v[2:3]
	v_mov_b32_e32 v0, s25
	v_add_co_u32_e32 v6, vcc, s24, v4
	v_addc_co_u32_e32 v7, vcc, v0, v5, vcc
	global_load_dword v0, v[6:7], off
	v_mov_b32_e32 v3, s27
	v_add_co_u32_e32 v6, vcc, s26, v4
	v_addc_co_u32_e32 v7, vcc, v3, v5, vcc
	global_load_dword v6, v[6:7], off
	s_waitcnt vmcnt(1)
	v_add_u32_e32 v3, v17, v0
	s_waitcnt vmcnt(0)
	v_subrev_u32_e32 v20, s64, v6
	v_cmp_lt_i32_e32 vcc, v3, v20
	s_and_b64 exec, exec, vcc
	s_cbranch_execz .LBB20_4
; %bb.7:                                ;   in Loop: Header=BB20_5 Depth=2
	v_mov_b32_e32 v0, s19
	v_add_co_u32_e32 v6, vcc, s18, v4
	v_addc_co_u32_e32 v7, vcc, v0, v5, vcc
	v_mov_b32_e32 v0, s17
	v_add_co_u32_e32 v4, vcc, s16, v4
	v_addc_co_u32_e32 v5, vcc, v0, v5, vcc
	global_load_dword v0, v[4:5], off
	global_load_dword v8, v[6:7], off
	v_mov_b32_e32 v4, s21
	v_mov_b32_e32 v11, s23
	s_mov_b64 s[46:47], 0
	s_waitcnt vmcnt(1)
	v_subrev_u32_e32 v5, s65, v0
	v_ashrrev_i32_e32 v6, 31, v5
	s_waitcnt vmcnt(0)
	v_sub_u32_e32 v21, v8, v0
	v_lshlrev_b64 v[7:8], 2, v[5:6]
	v_lshlrev_b64 v[9:10], 3, v[5:6]
	v_add_co_u32_e32 v22, vcc, s20, v7
	v_addc_co_u32_e32 v23, vcc, v4, v8, vcc
	v_add_co_u32_e32 v24, vcc, s22, v9
	v_cmp_lt_i32_e64 s[4:5], 0, v21
	v_addc_co_u32_e32 v25, vcc, v11, v10, vcc
	s_branch .LBB20_9
.LBB20_8:                               ;   in Loop: Header=BB20_9 Depth=3
	s_or_b64 exec, exec, s[48:49]
	v_add_u32_e32 v3, 64, v3
	v_cmp_ge_i32_e32 vcc, v3, v20
	s_or_b64 s[46:47], vcc, s[46:47]
	s_andn2_b64 exec, exec, s[46:47]
	s_cbranch_execz .LBB20_4
.LBB20_9:                               ;   Parent Loop BB20_3 Depth=1
                                        ;     Parent Loop BB20_5 Depth=2
                                        ; =>    This Loop Header: Depth=3
                                        ;         Child Loop BB20_13 Depth 4
                                        ;         Child Loop BB20_29 Depth 4
	;; [unrolled: 1-line block ×3, first 2 shown]
	v_ashrrev_i32_e32 v4, 31, v3
	v_lshlrev_b64 v[6:7], 2, v[3:4]
	v_mov_b32_e32 v0, s29
	v_add_co_u32_e32 v6, vcc, s28, v6
	v_addc_co_u32_e32 v7, vcc, v0, v7, vcc
	global_load_dword v0, v[6:7], off
	v_mov_b32_e32 v11, s9
	v_mov_b32_e32 v12, s11
	s_waitcnt vmcnt(0)
	v_subrev_u32_e32 v6, s64, v0
	v_ashrrev_i32_e32 v7, 31, v6
	v_lshlrev_b64 v[8:9], 2, v[6:7]
	v_add_co_u32_e32 v10, vcc, s8, v8
	v_addc_co_u32_e32 v11, vcc, v11, v9, vcc
	v_add_co_u32_e32 v8, vcc, s10, v8
	v_addc_co_u32_e32 v9, vcc, v12, v9, vcc
	global_load_dword v0, v[10:11], off
	s_nop 0
	global_load_dword v10, v[8:9], off
	v_mov_b32_e32 v9, 0
	v_mov_b32_e32 v11, 0
	;; [unrolled: 1-line block ×3, first 2 shown]
	s_waitcnt vmcnt(1)
	v_subrev_u32_e32 v8, s66, v0
	s_waitcnt vmcnt(0)
	v_sub_u32_e32 v26, v10, v0
	v_mov_b32_e32 v0, v9
	s_and_saveexec_b64 s[6:7], s[4:5]
	s_cbranch_execz .LBB20_17
; %bb.10:                               ;   in Loop: Header=BB20_9 Depth=3
	v_ashrrev_i32_e32 v9, 31, v8
	v_lshlrev_b64 v[10:11], 2, v[8:9]
	v_mov_b32_e32 v0, s13
	v_add_co_u32_e32 v13, vcc, s12, v10
	v_lshlrev_b64 v[9:10], 3, v[8:9]
	v_addc_co_u32_e32 v14, vcc, v0, v11, vcc
	v_mov_b32_e32 v0, s15
	v_add_co_u32_e32 v15, vcc, s14, v9
	v_addc_co_u32_e32 v27, vcc, v0, v10, vcc
	v_mov_b32_e32 v11, 0
	v_mov_b32_e32 v0, 0
	;; [unrolled: 1-line block ×3, first 2 shown]
	s_mov_b64 s[48:49], 0
	v_mov_b32_e32 v9, v0
                                        ; implicit-def: $sgpr50_sgpr51
	s_branch .LBB20_13
.LBB20_11:                              ;   in Loop: Header=BB20_13 Depth=4
	s_or_b64 exec, exec, s[54:55]
	v_cmp_le_i32_e32 vcc, v28, v29
	v_addc_co_u32_e32 v0, vcc, 0, v0, vcc
	v_cmp_ge_i32_e32 vcc, v28, v29
	v_addc_co_u32_e32 v9, vcc, 0, v9, vcc
	v_cmp_ge_i32_e32 vcc, v0, v21
	s_andn2_b64 s[50:51], s[50:51], exec
	s_and_b64 s[54:55], vcc, exec
	s_or_b64 s[50:51], s[50:51], s[54:55]
.LBB20_12:                              ;   in Loop: Header=BB20_13 Depth=4
	s_or_b64 exec, exec, s[52:53]
	s_and_b64 s[52:53], exec, s[50:51]
	s_or_b64 s[48:49], s[52:53], s[48:49]
	s_andn2_b64 exec, exec, s[48:49]
	s_cbranch_execz .LBB20_16
.LBB20_13:                              ;   Parent Loop BB20_3 Depth=1
                                        ;     Parent Loop BB20_5 Depth=2
                                        ;       Parent Loop BB20_9 Depth=3
                                        ; =>      This Inner Loop Header: Depth=4
	v_cmp_lt_i32_e32 vcc, v9, v26
	s_or_b64 s[50:51], s[50:51], exec
	s_and_saveexec_b64 s[52:53], vcc
	s_cbranch_execz .LBB20_12
; %bb.14:                               ;   in Loop: Header=BB20_13 Depth=4
	v_lshlrev_b64 v[28:29], 2, v[0:1]
	v_mov_b32_e32 v10, v1
	v_add_co_u32_e32 v28, vcc, v22, v28
	v_addc_co_u32_e32 v29, vcc, v23, v29, vcc
	global_load_dword v30, v[28:29], off
	v_lshlrev_b64 v[28:29], 2, v[9:10]
	v_add_co_u32_e32 v28, vcc, v13, v28
	v_addc_co_u32_e32 v29, vcc, v14, v29, vcc
	global_load_dword v29, v[28:29], off
	s_waitcnt vmcnt(1)
	v_subrev_u32_e32 v28, s65, v30
	s_waitcnt vmcnt(0)
	v_subrev_u32_e32 v29, s66, v29
	v_cmp_eq_u32_e32 vcc, v28, v29
	s_and_saveexec_b64 s[54:55], vcc
	s_cbranch_execz .LBB20_11
; %bb.15:                               ;   in Loop: Header=BB20_13 Depth=4
	v_lshlrev_b64 v[30:31], 3, v[0:1]
	v_lshlrev_b64 v[32:33], 3, v[9:10]
	v_add_co_u32_e32 v30, vcc, v24, v30
	v_addc_co_u32_e32 v31, vcc, v25, v31, vcc
	v_add_co_u32_e32 v32, vcc, v15, v32
	v_addc_co_u32_e32 v33, vcc, v27, v33, vcc
	global_load_dwordx2 v[30:31], v[30:31], off
	s_nop 0
	global_load_dwordx2 v[32:33], v[32:33], off
	s_waitcnt vmcnt(0)
	v_fma_f64 v[11:12], v[30:31], v[32:33], v[11:12]
	s_branch .LBB20_11
.LBB20_16:                              ;   in Loop: Header=BB20_9 Depth=3
	s_or_b64 exec, exec, s[48:49]
.LBB20_17:                              ;   in Loop: Header=BB20_9 Depth=3
	s_or_b64 exec, exec, s[6:7]
	v_lshlrev_b64 v[13:14], 3, v[3:4]
	v_mov_b32_e32 v4, s31
	v_add_co_u32_e32 v13, vcc, s30, v13
	v_addc_co_u32_e32 v14, vcc, v4, v14, vcc
	global_load_dwordx2 v[13:14], v[13:14], off
	v_cmp_le_i32_e64 s[6:7], v2, v6
	v_cmp_gt_i32_e32 vcc, v2, v6
	s_waitcnt vmcnt(0)
	v_add_f64 v[10:11], v[13:14], -v[11:12]
	s_and_saveexec_b64 s[48:49], vcc
	s_cbranch_execz .LBB20_21
; %bb.18:                               ;   in Loop: Header=BB20_9 Depth=3
	v_lshlrev_b64 v[12:13], 3, v[6:7]
	v_mov_b32_e32 v4, s37
	v_add_co_u32_e32 v12, vcc, s36, v12
	v_addc_co_u32_e32 v13, vcc, v4, v13, vcc
	global_load_dwordx2 v[12:13], v[12:13], off
	v_mov_b32_e32 v14, 0
	v_mov_b32_e32 v15, 0
	s_waitcnt vmcnt(0)
	v_cmp_lg_f64_e32 vcc, 0, v[12:13]
	s_and_saveexec_b64 s[50:51], vcc
	s_cbranch_execz .LBB20_20
; %bb.19:                               ;   in Loop: Header=BB20_9 Depth=3
	v_div_scale_f64 v[14:15], s[52:53], v[12:13], v[12:13], v[10:11]
	v_div_scale_f64 v[31:32], vcc, v[10:11], v[12:13], v[10:11]
	v_rcp_f64_e32 v[27:28], v[14:15]
	v_fma_f64 v[29:30], -v[14:15], v[27:28], 1.0
	v_fma_f64 v[27:28], v[27:28], v[29:30], v[27:28]
	v_fma_f64 v[29:30], -v[14:15], v[27:28], 1.0
	v_fma_f64 v[27:28], v[27:28], v[29:30], v[27:28]
	v_mul_f64 v[29:30], v[31:32], v[27:28]
	v_fma_f64 v[14:15], -v[14:15], v[29:30], v[31:32]
	v_div_fmas_f64 v[14:15], v[14:15], v[27:28], v[29:30]
	v_div_fixup_f64 v[14:15], v[14:15], v[12:13], v[10:11]
.LBB20_20:                              ;   in Loop: Header=BB20_9 Depth=3
	s_or_b64 exec, exec, s[50:51]
	v_mov_b32_e32 v10, v14
	v_mov_b32_e32 v11, v15
.LBB20_21:                              ;   in Loop: Header=BB20_9 Depth=3
	s_or_b64 exec, exec, s[48:49]
	v_cmp_class_f64_e64 s[50:51], v[10:11], s68
	s_and_saveexec_b64 s[48:49], s[50:51]
	s_cbranch_execz .LBB20_8
; %bb.22:                               ;   in Loop: Header=BB20_9 Depth=3
	s_and_saveexec_b64 s[50:51], s[6:7]
	s_xor_b64 s[6:7], exec, s[50:51]
	s_cbranch_execz .LBB20_35
; %bb.23:                               ;   in Loop: Header=BB20_9 Depth=3
	v_cmp_ge_i32_e32 vcc, v2, v6
	s_and_saveexec_b64 s[50:51], vcc
	s_xor_b64 s[50:51], exec, s[50:51]
	s_cbranch_execz .LBB20_25
; %bb.24:                               ;   in Loop: Header=BB20_9 Depth=3
	v_lshlrev_b64 v[6:7], 3, v[6:7]
	v_mov_b32_e32 v0, s39
	v_add_co_u32_e32 v6, vcc, s38, v6
	v_addc_co_u32_e32 v7, vcc, v0, v7, vcc
	global_store_dwordx2 v[6:7], v[10:11], off
                                        ; implicit-def: $vgpr9
                                        ; implicit-def: $vgpr26
                                        ; implicit-def: $vgpr10_vgpr11
                                        ; implicit-def: $vgpr8
.LBB20_25:                              ;   in Loop: Header=BB20_9 Depth=3
	s_andn2_saveexec_b64 s[50:51], s[50:51]
	s_cbranch_execz .LBB20_34
; %bb.26:                               ;   in Loop: Header=BB20_9 Depth=3
	v_cmp_lt_i32_e32 vcc, v9, v26
	s_and_saveexec_b64 s[52:53], vcc
	s_cbranch_execz .LBB20_33
; %bb.27:                               ;   in Loop: Header=BB20_9 Depth=3
	s_mov_b64 s[54:55], 0
                                        ; implicit-def: $sgpr56_sgpr57
                                        ; implicit-def: $sgpr60_sgpr61
                                        ; implicit-def: $sgpr58_sgpr59
	s_branch .LBB20_29
.LBB20_28:                              ;   in Loop: Header=BB20_29 Depth=4
	s_or_b64 exec, exec, s[62:63]
	s_and_b64 s[62:63], exec, s[60:61]
	s_or_b64 s[54:55], s[62:63], s[54:55]
	s_andn2_b64 s[56:57], s[56:57], exec
	s_and_b64 s[62:63], s[58:59], exec
	s_or_b64 s[56:57], s[56:57], s[62:63]
	s_andn2_b64 exec, exec, s[54:55]
	s_cbranch_execz .LBB20_31
.LBB20_29:                              ;   Parent Loop BB20_3 Depth=1
                                        ;     Parent Loop BB20_5 Depth=2
                                        ;       Parent Loop BB20_9 Depth=3
                                        ; =>      This Inner Loop Header: Depth=4
	v_add_u32_e32 v6, v8, v9
	v_ashrrev_i32_e32 v7, 31, v6
	v_lshlrev_b64 v[12:13], 2, v[6:7]
	v_mov_b32_e32 v0, s13
	v_add_co_u32_e32 v12, vcc, s12, v12
	v_addc_co_u32_e32 v13, vcc, v0, v13, vcc
	global_load_dword v0, v[12:13], off
	s_or_b64 s[58:59], s[58:59], exec
	s_or_b64 s[60:61], s[60:61], exec
	s_waitcnt vmcnt(0)
	v_subrev_u32_e32 v0, s66, v0
	v_cmp_ne_u32_e32 vcc, v0, v2
	s_and_saveexec_b64 s[62:63], vcc
	s_cbranch_execz .LBB20_28
; %bb.30:                               ;   in Loop: Header=BB20_29 Depth=4
	v_add_u32_e32 v9, 1, v9
	v_cmp_ge_i32_e32 vcc, v9, v26
	s_andn2_b64 s[60:61], s[60:61], exec
	s_and_b64 s[70:71], vcc, exec
	s_andn2_b64 s[58:59], s[58:59], exec
	s_or_b64 s[60:61], s[60:61], s[70:71]
	s_branch .LBB20_28
.LBB20_31:                              ;   in Loop: Header=BB20_9 Depth=3
	s_or_b64 exec, exec, s[54:55]
	s_and_saveexec_b64 s[54:55], s[56:57]
	s_xor_b64 s[54:55], exec, s[54:55]
	s_cbranch_execz .LBB20_33
; %bb.32:                               ;   in Loop: Header=BB20_9 Depth=3
	v_lshlrev_b64 v[6:7], 3, v[6:7]
	v_mov_b32_e32 v0, s43
	v_add_co_u32_e32 v6, vcc, s42, v6
	v_addc_co_u32_e32 v7, vcc, v0, v7, vcc
	global_store_dwordx2 v[6:7], v[10:11], off
.LBB20_33:                              ;   in Loop: Header=BB20_9 Depth=3
	s_or_b64 exec, exec, s[52:53]
.LBB20_34:                              ;   in Loop: Header=BB20_9 Depth=3
	s_or_b64 exec, exec, s[50:51]
                                        ; implicit-def: $vgpr10_vgpr11
                                        ; implicit-def: $vgpr6_vgpr7
.LBB20_35:                              ;   in Loop: Header=BB20_9 Depth=3
	s_andn2_saveexec_b64 s[6:7], s[6:7]
	s_cbranch_execz .LBB20_8
; %bb.36:                               ;   in Loop: Header=BB20_9 Depth=3
	v_cmp_lt_i32_e32 vcc, v0, v21
	s_and_b64 exec, exec, vcc
	s_cbranch_execz .LBB20_8
; %bb.37:                               ;   in Loop: Header=BB20_9 Depth=3
	s_mov_b64 s[6:7], 0
                                        ; implicit-def: $sgpr50_sgpr51
                                        ; implicit-def: $sgpr54_sgpr55
                                        ; implicit-def: $sgpr52_sgpr53
	s_branch .LBB20_39
.LBB20_38:                              ;   in Loop: Header=BB20_39 Depth=4
	s_or_b64 exec, exec, s[56:57]
	s_and_b64 s[56:57], exec, s[54:55]
	s_or_b64 s[6:7], s[56:57], s[6:7]
	s_andn2_b64 s[50:51], s[50:51], exec
	s_and_b64 s[56:57], s[52:53], exec
	s_or_b64 s[50:51], s[50:51], s[56:57]
	s_andn2_b64 exec, exec, s[6:7]
	s_cbranch_execz .LBB20_41
.LBB20_39:                              ;   Parent Loop BB20_3 Depth=1
                                        ;     Parent Loop BB20_5 Depth=2
                                        ;       Parent Loop BB20_9 Depth=3
                                        ; =>      This Inner Loop Header: Depth=4
	v_add_u32_e32 v7, v5, v0
	v_ashrrev_i32_e32 v8, 31, v7
	v_lshlrev_b64 v[12:13], 2, v[7:8]
	v_mov_b32_e32 v4, s21
	v_add_co_u32_e32 v12, vcc, s20, v12
	v_addc_co_u32_e32 v13, vcc, v4, v13, vcc
	global_load_dword v4, v[12:13], off
	s_or_b64 s[52:53], s[52:53], exec
	s_or_b64 s[54:55], s[54:55], exec
	s_waitcnt vmcnt(0)
	v_subrev_u32_e32 v4, s65, v4
	v_cmp_ne_u32_e32 vcc, v4, v6
	s_and_saveexec_b64 s[56:57], vcc
	s_cbranch_execz .LBB20_38
; %bb.40:                               ;   in Loop: Header=BB20_39 Depth=4
	v_add_u32_e32 v0, 1, v0
	v_cmp_ge_i32_e32 vcc, v0, v21
	s_andn2_b64 s[54:55], s[54:55], exec
	s_and_b64 s[58:59], vcc, exec
	s_andn2_b64 s[52:53], s[52:53], exec
	s_or_b64 s[54:55], s[54:55], s[58:59]
	s_branch .LBB20_38
.LBB20_41:                              ;   in Loop: Header=BB20_9 Depth=3
	s_or_b64 exec, exec, s[6:7]
	s_and_saveexec_b64 s[6:7], s[50:51]
	s_xor_b64 s[6:7], exec, s[6:7]
	s_cbranch_execz .LBB20_8
; %bb.42:                               ;   in Loop: Header=BB20_9 Depth=3
	v_lshlrev_b64 v[6:7], 3, v[7:8]
	v_mov_b32_e32 v0, s41
	v_add_co_u32_e32 v6, vcc, s40, v6
	v_addc_co_u32_e32 v7, vcc, v0, v7, vcc
	global_store_dwordx2 v[6:7], v[10:11], off
	s_branch .LBB20_8
.LBB20_43:                              ;   in Loop: Header=BB20_3 Depth=1
	s_and_saveexec_b64 s[4:5], s[0:1]
	s_cbranch_execz .LBB20_2
; %bb.44:                               ;   in Loop: Header=BB20_3 Depth=1
	s_mov_b64 s[6:7], 0
	v_mov_b32_e32 v2, v16
	s_branch .LBB20_46
.LBB20_45:                              ;   in Loop: Header=BB20_46 Depth=2
	s_or_b64 exec, exec, s[44:45]
	v_add_u32_e32 v2, 16, v2
	v_cmp_le_u32_e32 vcc, s67, v2
	s_or_b64 s[6:7], vcc, s[6:7]
	s_andn2_b64 exec, exec, s[6:7]
	s_cbranch_execz .LBB20_2
.LBB20_46:                              ;   Parent Loop BB20_3 Depth=1
                                        ; =>  This Loop Header: Depth=2
                                        ;       Child Loop BB20_49 Depth 3
                                        ;       Child Loop BB20_52 Depth 3
	v_cmp_gt_i32_e32 vcc, s35, v2
	s_and_saveexec_b64 s[44:45], vcc
	s_cbranch_execz .LBB20_45
; %bb.47:                               ;   in Loop: Header=BB20_46 Depth=2
	v_ashrrev_i32_e32 v3, 31, v2
	v_lshlrev_b64 v[4:5], 2, v[2:3]
	v_mov_b32_e32 v0, s17
	v_add_co_u32_e32 v6, vcc, s16, v4
	v_addc_co_u32_e32 v7, vcc, v0, v5, vcc
	global_load_dword v0, v[6:7], off
	v_mov_b32_e32 v7, s19
	v_add_co_u32_e32 v6, vcc, s18, v4
	v_addc_co_u32_e32 v7, vcc, v7, v5, vcc
	global_load_dword v7, v[6:7], off
	s_waitcnt vmcnt(1)
	v_add_u32_e32 v6, v18, v0
	s_waitcnt vmcnt(0)
	v_subrev_u32_e32 v0, s65, v7
	v_cmp_lt_i32_e32 vcc, v6, v0
	s_and_saveexec_b64 s[46:47], vcc
	s_cbranch_execz .LBB20_50
; %bb.48:                               ;   in Loop: Header=BB20_46 Depth=2
	v_ashrrev_i32_e32 v7, 31, v6
	v_lshlrev_b64 v[9:10], 3, v[6:7]
	v_mov_b32_e32 v8, s41
	v_add_co_u32_e32 v7, vcc, s40, v9
	v_addc_co_u32_e32 v8, vcc, v8, v10, vcc
	v_mov_b32_e32 v11, s23
	v_add_co_u32_e32 v9, vcc, s22, v9
	v_addc_co_u32_e32 v10, vcc, v11, v10, vcc
	s_mov_b64 s[48:49], 0
.LBB20_49:                              ;   Parent Loop BB20_3 Depth=1
                                        ;     Parent Loop BB20_46 Depth=2
                                        ; =>    This Inner Loop Header: Depth=3
	global_load_dwordx2 v[11:12], v[7:8], off
	v_add_co_u32_e32 v7, vcc, 0x200, v7
	v_add_u32_e32 v6, 64, v6
	v_addc_co_u32_e32 v8, vcc, 0, v8, vcc
	v_cmp_ge_i32_e32 vcc, v6, v0
	s_or_b64 s[48:49], vcc, s[48:49]
	s_waitcnt vmcnt(0)
	global_store_dwordx2 v[9:10], v[11:12], off
	v_add_co_u32_e32 v9, vcc, 0x200, v9
	v_addc_co_u32_e32 v10, vcc, 0, v10, vcc
	s_andn2_b64 exec, exec, s[48:49]
	s_cbranch_execnz .LBB20_49
.LBB20_50:                              ;   in Loop: Header=BB20_46 Depth=2
	s_or_b64 exec, exec, s[46:47]
	v_mov_b32_e32 v0, s9
	v_add_co_u32_e32 v6, vcc, s8, v4
	v_addc_co_u32_e32 v7, vcc, v0, v5, vcc
	global_load_dword v0, v[6:7], off
	v_mov_b32_e32 v6, s11
	v_add_co_u32_e32 v4, vcc, s10, v4
	v_addc_co_u32_e32 v5, vcc, v6, v5, vcc
	global_load_dword v5, v[4:5], off
	s_waitcnt vmcnt(1)
	v_add_u32_e32 v4, v19, v0
	s_waitcnt vmcnt(0)
	v_subrev_u32_e32 v0, s66, v5
	v_cmp_lt_i32_e32 vcc, v4, v0
	s_and_saveexec_b64 s[46:47], vcc
	s_cbranch_execz .LBB20_53
; %bb.51:                               ;   in Loop: Header=BB20_46 Depth=2
	v_ashrrev_i32_e32 v5, 31, v4
	v_lshlrev_b64 v[7:8], 3, v[4:5]
	v_mov_b32_e32 v6, s43
	v_add_co_u32_e32 v5, vcc, s42, v7
	v_addc_co_u32_e32 v6, vcc, v6, v8, vcc
	v_mov_b32_e32 v9, s15
	v_add_co_u32_e32 v7, vcc, s14, v7
	v_addc_co_u32_e32 v8, vcc, v9, v8, vcc
	s_mov_b64 s[48:49], 0
.LBB20_52:                              ;   Parent Loop BB20_3 Depth=1
                                        ;     Parent Loop BB20_46 Depth=2
                                        ; =>    This Inner Loop Header: Depth=3
	global_load_dwordx2 v[9:10], v[5:6], off
	v_add_co_u32_e32 v5, vcc, 0x200, v5
	v_add_u32_e32 v4, 64, v4
	v_addc_co_u32_e32 v6, vcc, 0, v6, vcc
	v_cmp_ge_i32_e32 vcc, v4, v0
	s_or_b64 s[48:49], vcc, s[48:49]
	s_waitcnt vmcnt(0)
	global_store_dwordx2 v[7:8], v[9:10], off
	v_add_co_u32_e32 v7, vcc, 0x200, v7
	v_addc_co_u32_e32 v8, vcc, 0, v8, vcc
	s_andn2_b64 exec, exec, s[48:49]
	s_cbranch_execnz .LBB20_52
.LBB20_53:                              ;   in Loop: Header=BB20_46 Depth=2
	s_or_b64 exec, exec, s[46:47]
	s_and_b64 exec, exec, s[2:3]
	s_cbranch_execz .LBB20_45
; %bb.54:                               ;   in Loop: Header=BB20_46 Depth=2
	v_lshlrev_b64 v[3:4], 3, v[2:3]
	v_mov_b32_e32 v0, s39
	v_add_co_u32_e32 v5, vcc, s38, v3
	v_addc_co_u32_e32 v6, vcc, v0, v4, vcc
	global_load_dwordx2 v[5:6], v[5:6], off
	v_mov_b32_e32 v0, s37
	v_add_co_u32_e32 v3, vcc, s36, v3
	v_addc_co_u32_e32 v4, vcc, v0, v4, vcc
	s_waitcnt vmcnt(0)
	global_store_dwordx2 v[3:4], v[5:6], off
	s_branch .LBB20_45
.LBB20_55:
	s_endpgm
	.section	.rodata,"a",@progbits
	.p2align	6, 0x0
	.amdhsa_kernel _ZN9rocsparseL14kernel_freerunILi1024ELi64EdiiEEvT3_S1_T2_PKS2_S4_PKS1_PKT1_21rocsparse_index_base_S4_S4_S6_PS7_SB_SA_S4_S4_S6_SB_SB_SA_SB_SB_
		.amdhsa_group_segment_fixed_size 0
		.amdhsa_private_segment_fixed_size 0
		.amdhsa_kernarg_size 168
		.amdhsa_user_sgpr_count 6
		.amdhsa_user_sgpr_private_segment_buffer 1
		.amdhsa_user_sgpr_dispatch_ptr 0
		.amdhsa_user_sgpr_queue_ptr 0
		.amdhsa_user_sgpr_kernarg_segment_ptr 1
		.amdhsa_user_sgpr_dispatch_id 0
		.amdhsa_user_sgpr_flat_scratch_init 0
		.amdhsa_user_sgpr_private_segment_size 0
		.amdhsa_uses_dynamic_stack 0
		.amdhsa_system_sgpr_private_segment_wavefront_offset 0
		.amdhsa_system_sgpr_workgroup_id_x 1
		.amdhsa_system_sgpr_workgroup_id_y 0
		.amdhsa_system_sgpr_workgroup_id_z 0
		.amdhsa_system_sgpr_workgroup_info 0
		.amdhsa_system_vgpr_workitem_id 0
		.amdhsa_next_free_vgpr 34
		.amdhsa_next_free_sgpr 72
		.amdhsa_reserve_vcc 1
		.amdhsa_reserve_flat_scratch 0
		.amdhsa_float_round_mode_32 0
		.amdhsa_float_round_mode_16_64 0
		.amdhsa_float_denorm_mode_32 3
		.amdhsa_float_denorm_mode_16_64 3
		.amdhsa_dx10_clamp 1
		.amdhsa_ieee_mode 1
		.amdhsa_fp16_overflow 0
		.amdhsa_exception_fp_ieee_invalid_op 0
		.amdhsa_exception_fp_denorm_src 0
		.amdhsa_exception_fp_ieee_div_zero 0
		.amdhsa_exception_fp_ieee_overflow 0
		.amdhsa_exception_fp_ieee_underflow 0
		.amdhsa_exception_fp_ieee_inexact 0
		.amdhsa_exception_int_div_zero 0
	.end_amdhsa_kernel
	.section	.text._ZN9rocsparseL14kernel_freerunILi1024ELi64EdiiEEvT3_S1_T2_PKS2_S4_PKS1_PKT1_21rocsparse_index_base_S4_S4_S6_PS7_SB_SA_S4_S4_S6_SB_SB_SA_SB_SB_,"axG",@progbits,_ZN9rocsparseL14kernel_freerunILi1024ELi64EdiiEEvT3_S1_T2_PKS2_S4_PKS1_PKT1_21rocsparse_index_base_S4_S4_S6_PS7_SB_SA_S4_S4_S6_SB_SB_SA_SB_SB_,comdat
.Lfunc_end20:
	.size	_ZN9rocsparseL14kernel_freerunILi1024ELi64EdiiEEvT3_S1_T2_PKS2_S4_PKS1_PKT1_21rocsparse_index_base_S4_S4_S6_PS7_SB_SA_S4_S4_S6_SB_SB_SA_SB_SB_, .Lfunc_end20-_ZN9rocsparseL14kernel_freerunILi1024ELi64EdiiEEvT3_S1_T2_PKS2_S4_PKS1_PKT1_21rocsparse_index_base_S4_S4_S6_PS7_SB_SA_S4_S4_S6_SB_SB_SA_SB_SB_
                                        ; -- End function
	.set _ZN9rocsparseL14kernel_freerunILi1024ELi64EdiiEEvT3_S1_T2_PKS2_S4_PKS1_PKT1_21rocsparse_index_base_S4_S4_S6_PS7_SB_SA_S4_S4_S6_SB_SB_SA_SB_SB_.num_vgpr, 34
	.set _ZN9rocsparseL14kernel_freerunILi1024ELi64EdiiEEvT3_S1_T2_PKS2_S4_PKS1_PKT1_21rocsparse_index_base_S4_S4_S6_PS7_SB_SA_S4_S4_S6_SB_SB_SA_SB_SB_.num_agpr, 0
	.set _ZN9rocsparseL14kernel_freerunILi1024ELi64EdiiEEvT3_S1_T2_PKS2_S4_PKS1_PKT1_21rocsparse_index_base_S4_S4_S6_PS7_SB_SA_S4_S4_S6_SB_SB_SA_SB_SB_.numbered_sgpr, 72
	.set _ZN9rocsparseL14kernel_freerunILi1024ELi64EdiiEEvT3_S1_T2_PKS2_S4_PKS1_PKT1_21rocsparse_index_base_S4_S4_S6_PS7_SB_SA_S4_S4_S6_SB_SB_SA_SB_SB_.num_named_barrier, 0
	.set _ZN9rocsparseL14kernel_freerunILi1024ELi64EdiiEEvT3_S1_T2_PKS2_S4_PKS1_PKT1_21rocsparse_index_base_S4_S4_S6_PS7_SB_SA_S4_S4_S6_SB_SB_SA_SB_SB_.private_seg_size, 0
	.set _ZN9rocsparseL14kernel_freerunILi1024ELi64EdiiEEvT3_S1_T2_PKS2_S4_PKS1_PKT1_21rocsparse_index_base_S4_S4_S6_PS7_SB_SA_S4_S4_S6_SB_SB_SA_SB_SB_.uses_vcc, 1
	.set _ZN9rocsparseL14kernel_freerunILi1024ELi64EdiiEEvT3_S1_T2_PKS2_S4_PKS1_PKT1_21rocsparse_index_base_S4_S4_S6_PS7_SB_SA_S4_S4_S6_SB_SB_SA_SB_SB_.uses_flat_scratch, 0
	.set _ZN9rocsparseL14kernel_freerunILi1024ELi64EdiiEEvT3_S1_T2_PKS2_S4_PKS1_PKT1_21rocsparse_index_base_S4_S4_S6_PS7_SB_SA_S4_S4_S6_SB_SB_SA_SB_SB_.has_dyn_sized_stack, 0
	.set _ZN9rocsparseL14kernel_freerunILi1024ELi64EdiiEEvT3_S1_T2_PKS2_S4_PKS1_PKT1_21rocsparse_index_base_S4_S4_S6_PS7_SB_SA_S4_S4_S6_SB_SB_SA_SB_SB_.has_recursion, 0
	.set _ZN9rocsparseL14kernel_freerunILi1024ELi64EdiiEEvT3_S1_T2_PKS2_S4_PKS1_PKT1_21rocsparse_index_base_S4_S4_S6_PS7_SB_SA_S4_S4_S6_SB_SB_SA_SB_SB_.has_indirect_call, 0
	.section	.AMDGPU.csdata,"",@progbits
; Kernel info:
; codeLenInByte = 2064
; TotalNumSgprs: 76
; NumVgprs: 34
; ScratchSize: 0
; MemoryBound: 1
; FloatMode: 240
; IeeeMode: 1
; LDSByteSize: 0 bytes/workgroup (compile time only)
; SGPRBlocks: 9
; VGPRBlocks: 8
; NumSGPRsForWavesPerEU: 76
; NumVGPRsForWavesPerEU: 34
; Occupancy: 7
; WaveLimiterHint : 1
; COMPUTE_PGM_RSRC2:SCRATCH_EN: 0
; COMPUTE_PGM_RSRC2:USER_SGPR: 6
; COMPUTE_PGM_RSRC2:TRAP_HANDLER: 0
; COMPUTE_PGM_RSRC2:TGID_X_EN: 1
; COMPUTE_PGM_RSRC2:TGID_Y_EN: 0
; COMPUTE_PGM_RSRC2:TGID_Z_EN: 0
; COMPUTE_PGM_RSRC2:TIDIG_COMP_CNT: 0
	.section	.text._ZN9rocsparseL6kernelILi1024ELi1EdiiEEvbbbT3_PS1_NS_15floating_traitsIT1_E6data_tES1_T2_PKS7_S9_PKS1_PKS4_21rocsparse_index_base_S9_S9_SB_PS4_SF_SE_S9_S9_SB_SF_SF_SE_SF_SF_PS6_SG_PKS6_,"axG",@progbits,_ZN9rocsparseL6kernelILi1024ELi1EdiiEEvbbbT3_PS1_NS_15floating_traitsIT1_E6data_tES1_T2_PKS7_S9_PKS1_PKS4_21rocsparse_index_base_S9_S9_SB_PS4_SF_SE_S9_S9_SB_SF_SF_SE_SF_SF_PS6_SG_PKS6_,comdat
	.globl	_ZN9rocsparseL6kernelILi1024ELi1EdiiEEvbbbT3_PS1_NS_15floating_traitsIT1_E6data_tES1_T2_PKS7_S9_PKS1_PKS4_21rocsparse_index_base_S9_S9_SB_PS4_SF_SE_S9_S9_SB_SF_SF_SE_SF_SF_PS6_SG_PKS6_ ; -- Begin function _ZN9rocsparseL6kernelILi1024ELi1EdiiEEvbbbT3_PS1_NS_15floating_traitsIT1_E6data_tES1_T2_PKS7_S9_PKS1_PKS4_21rocsparse_index_base_S9_S9_SB_PS4_SF_SE_S9_S9_SB_SF_SF_SE_SF_SF_PS6_SG_PKS6_
	.p2align	8
	.type	_ZN9rocsparseL6kernelILi1024ELi1EdiiEEvbbbT3_PS1_NS_15floating_traitsIT1_E6data_tES1_T2_PKS7_S9_PKS1_PKS4_21rocsparse_index_base_S9_S9_SB_PS4_SF_SE_S9_S9_SB_SF_SF_SE_SF_SF_PS6_SG_PKS6_,@function
_ZN9rocsparseL6kernelILi1024ELi1EdiiEEvbbbT3_PS1_NS_15floating_traitsIT1_E6data_tES1_T2_PKS7_S9_PKS1_PKS4_21rocsparse_index_base_S9_S9_SB_PS4_SF_SE_S9_S9_SB_SF_SF_SE_SF_SF_PS6_SG_PKS6_: ; @_ZN9rocsparseL6kernelILi1024ELi1EdiiEEvbbbT3_PS1_NS_15floating_traitsIT1_E6data_tES1_T2_PKS7_S9_PKS1_PKS4_21rocsparse_index_base_S9_S9_SB_PS4_SF_SE_S9_S9_SB_SF_SF_SE_SF_SF_PS6_SG_PKS6_
; %bb.0:
	s_load_dword s0, s[4:5], 0x0
	s_load_dwordx2 s[68:69], s[4:5], 0x0
	s_load_dwordx4 s[8:11], s[4:5], 0xb8
	s_load_dwordx4 s[12:15], s[4:5], 0x8
	s_load_dword s33, s[4:5], 0x18
	s_waitcnt lgkmcnt(0)
	s_bitcmp1_b32 s0, 0
	s_cselect_b64 s[66:67], -1, 0
	s_bitcmp1_b32 s0, 8
                                        ; implicit-def: $vgpr40 : SGPR spill to VGPR lane
	s_cselect_b64 s[64:65], -1, 0
	s_bitcmp1_b32 s68, 16
	v_writelane_b32 v40, s12, 0
	s_cselect_b64 s[34:35], -1, 0
	s_lshl_b32 s55, s6, 10
	v_writelane_b32 v40, s13, 1
	v_or_b32_e32 v1, s55, v0
	v_mov_b32_e32 v6, 0
	s_cmp_gt_i32 s69, 0
	v_mov_b32_e32 v4, 0
	v_mov_b32_e32 v2, 0
	v_writelane_b32 v40, s14, 2
	v_lshlrev_b32_e32 v25, 3, v0
	s_mov_b32 s68, 0
	v_mov_b32_e32 v7, v6
	v_cmp_gt_i32_e32 vcc, s33, v1
	s_cselect_b64 s[0:1], -1, 0
	v_mov_b32_e32 v5, 0
	v_mov_b32_e32 v3, 0
	v_writelane_b32 v40, s15, 3
	ds_write_b64 v25, v[6:7]
	s_waitcnt lgkmcnt(0)
	s_barrier
	s_and_b64 s[0:1], s[0:1], vcc
	s_mov_b64 s[2:3], exec
	v_writelane_b32 v40, s2, 4
	s_and_b64 s[0:1], s[2:3], s[0:1]
	v_writelane_b32 v40, s3, 5
	s_mov_b64 exec, s[0:1]
	s_cbranch_execz .LBB21_147
; %bb.1:
	s_load_dwordx8 s[36:43], s[4:5], 0x48
	s_load_dwordx8 s[24:31], s[4:5], 0x20
	v_ashrrev_i32_e32 v2, 31, v1
	v_lshlrev_b64 v[2:3], 2, v[1:2]
	s_load_dwordx2 s[0:1], s[4:5], 0xc8
	s_waitcnt lgkmcnt(0)
	v_mov_b32_e32 v5, s39
	v_add_co_u32_e32 v4, vcc, s38, v2
	v_addc_co_u32_e32 v5, vcc, v5, v3, vcc
	v_mov_b32_e32 v7, s37
	v_add_co_u32_e32 v6, vcc, s36, v2
	v_addc_co_u32_e32 v7, vcc, v7, v3, vcc
	;; [unrolled: 3-line block ×3, first 2 shown]
	v_mov_b32_e32 v10, s27
	global_load_dword v11, v[4:5], off
	global_load_dword v12, v[6:7], off
	v_add_co_u32_e32 v2, vcc, s26, v2
	v_addc_co_u32_e32 v3, vcc, v10, v3, vcc
	global_load_dword v6, v[2:3], off
	global_load_dword v10, v[8:9], off
	v_writelane_b32 v40, s8, 6
	v_writelane_b32 v40, s9, 7
	;; [unrolled: 1-line block ×5, first 2 shown]
	s_load_dwordx4 s[60:63], s[4:5], 0xa8
	s_load_dwordx8 s[44:51], s[4:5], 0x78
	s_load_dword s52, s[4:5], 0x40
	s_load_dwordx2 s[76:77], s[4:5], 0x68
	s_load_dword s53, s[4:5], 0x70
	s_load_dwordx2 s[78:79], s[4:5], 0x98
	s_load_dword s54, s[4:5], 0xa0
	v_writelane_b32 v40, s1, 11
	s_xor_b64 s[0:1], s[64:65], -1
	v_writelane_b32 v40, s0, 12
	s_and_b64 s[22:23], s[64:65], s[34:35]
	v_writelane_b32 v40, s1, 13
	s_xor_b64 s[22:23], s[22:23], -1
	v_writelane_b32 v40, s22, 14
	v_writelane_b32 v40, s23, 15
	v_mov_b32_e32 v14, s41
	s_addk_i32 s55, 0x400
	s_movk_i32 s16, 0x200
	s_movk_i32 s18, 0x100
	;; [unrolled: 1-line block ×3, first 2 shown]
	v_mov_b32_e32 v2, 0
	v_mov_b32_e32 v4, 0
	;; [unrolled: 1-line block ×3, first 2 shown]
	v_cmp_gt_u32_e64 s[0:1], 64, v0
	v_cmp_gt_u32_e64 s[2:3], 32, v0
	;; [unrolled: 1-line block ×6, first 2 shown]
	v_cmp_eq_u32_e64 s[12:13], 0, v0
	v_mov_b32_e32 v3, 0
	s_mov_b64 s[80:81], 0
	v_mov_b32_e32 v7, 0
	v_mov_b32_e32 v5, 0
	v_cmp_gt_u32_e64 s[14:15], s55, v1
	v_cmp_gt_u32_e64 s[16:17], s16, v0
	;; [unrolled: 1-line block ×4, first 2 shown]
	s_movk_i32 s72, 0x1f8
	s_waitcnt vmcnt(2) lgkmcnt(0)
	v_subrev_u32_e32 v8, s53, v12
	v_ashrrev_i32_e32 v9, 31, v8
	v_sub_u32_e32 v26, v11, v12
	v_lshlrev_b64 v[12:13], 3, v[8:9]
	s_waitcnt vmcnt(1)
	v_subrev_u32_e32 v27, s52, v6
	s_waitcnt vmcnt(0)
	v_cmp_lt_i32_e64 s[22:23], v10, v6
	v_subrev_u32_e32 v28, s52, v10
	v_lshlrev_b64 v[10:11], 2, v[8:9]
	v_cmp_lt_i32_e64 s[24:25], 0, v26
	v_add_co_u32_e32 v29, vcc, s40, v10
	v_addc_co_u32_e32 v30, vcc, v14, v11, vcc
	v_add_co_u32_e32 v31, vcc, s42, v12
	v_addc_co_u32_e32 v32, vcc, v15, v13, vcc
	s_branch .LBB21_3
.LBB21_2:                               ;   in Loop: Header=BB21_3 Depth=1
	s_or_b64 exec, exec, s[26:27]
	s_and_b64 s[26:27], exec, s[84:85]
	s_or_b64 s[80:81], s[26:27], s[80:81]
	s_andn2_b64 exec, exec, s[80:81]
	s_cbranch_execz .LBB21_146
.LBB21_3:                               ; =>This Loop Header: Depth=1
                                        ;     Child Loop BB21_10 Depth 2
                                        ;       Child Loop BB21_14 Depth 3
                                        ;       Child Loop BB21_35 Depth 3
	;; [unrolled: 1-line block ×5, first 2 shown]
                                        ;     Child Loop BB21_127 Depth 2
                                        ;       Child Loop BB21_130 Depth 3
                                        ;       Child Loop BB21_133 Depth 3
	v_cndmask_b32_e64 v3, v3, 0, s[64:65]
	v_cndmask_b32_e64 v2, v2, 0, s[64:65]
	;; [unrolled: 1-line block ×4, first 2 shown]
	s_and_saveexec_b64 s[84:85], s[22:23]
	s_cbranch_execnz .LBB21_7
; %bb.4:                                ;   in Loop: Header=BB21_3 Depth=1
	s_or_b64 exec, exec, s[84:85]
	s_andn2_b64 vcc, exec, s[64:65]
	s_cbranch_vccz .LBB21_82
.LBB21_5:                               ;   in Loop: Header=BB21_3 Depth=1
	s_andn2_b64 vcc, exec, s[34:35]
	s_cbranch_vccz .LBB21_103
.LBB21_6:                               ;   in Loop: Header=BB21_3 Depth=1
	s_and_saveexec_b64 s[26:27], s[14:15]
	s_cbranch_execnz .LBB21_124
	s_branch .LBB21_134
.LBB21_7:                               ;   in Loop: Header=BB21_3 Depth=1
	s_mov_b64 s[86:87], 0
	v_mov_b32_e32 v9, v28
	s_branch .LBB21_10
.LBB21_8:                               ;   in Loop: Header=BB21_10 Depth=2
	s_or_b64 exec, exec, s[56:57]
.LBB21_9:                               ;   in Loop: Header=BB21_10 Depth=2
	s_or_b64 exec, exec, s[26:27]
	v_add_u32_e32 v9, 1, v9
	v_cmp_ge_i32_e32 vcc, v9, v27
	s_or_b64 s[86:87], vcc, s[86:87]
	s_andn2_b64 exec, exec, s[86:87]
	s_cbranch_execz .LBB21_81
.LBB21_10:                              ;   Parent Loop BB21_3 Depth=1
                                        ; =>  This Loop Header: Depth=2
                                        ;       Child Loop BB21_14 Depth 3
                                        ;       Child Loop BB21_35 Depth 3
	;; [unrolled: 1-line block ×5, first 2 shown]
	v_ashrrev_i32_e32 v10, 31, v9
	v_lshlrev_b64 v[11:12], 2, v[9:10]
	v_mov_b32_e32 v6, s29
	v_add_co_u32_e32 v11, vcc, s28, v11
	v_addc_co_u32_e32 v12, vcc, v6, v12, vcc
	global_load_dword v6, v[11:12], off
	v_mov_b32_e32 v16, s45
	v_mov_b32_e32 v17, s47
	;; [unrolled: 1-line block ×3, first 2 shown]
	s_waitcnt vmcnt(0)
	v_subrev_u32_e32 v11, s52, v6
	v_ashrrev_i32_e32 v12, 31, v11
	v_lshlrev_b64 v[13:14], 2, v[11:12]
	v_add_co_u32_e32 v15, vcc, s44, v13
	v_addc_co_u32_e32 v16, vcc, v16, v14, vcc
	v_add_co_u32_e32 v13, vcc, s46, v13
	v_addc_co_u32_e32 v14, vcc, v17, v14, vcc
	global_load_dword v6, v[15:16], off
	s_nop 0
	global_load_dword v15, v[13:14], off
	v_mov_b32_e32 v13, 0
	v_mov_b32_e32 v14, 0
	s_waitcnt vmcnt(1)
	v_subrev_u32_e32 v17, s54, v6
	s_waitcnt vmcnt(0)
	v_sub_u32_e32 v33, v15, v6
	v_mov_b32_e32 v6, v18
	s_and_saveexec_b64 s[26:27], s[24:25]
	s_cbranch_execz .LBB21_18
; %bb.11:                               ;   in Loop: Header=BB21_10 Depth=2
	v_ashrrev_i32_e32 v18, 31, v17
	v_lshlrev_b64 v[13:14], 2, v[17:18]
	v_mov_b32_e32 v6, s49
	v_add_co_u32_e32 v15, vcc, s48, v13
	v_addc_co_u32_e32 v16, vcc, v6, v14, vcc
	v_lshlrev_b64 v[13:14], 3, v[17:18]
	v_mov_b32_e32 v6, s51
	v_add_co_u32_e32 v20, vcc, s50, v13
	v_addc_co_u32_e32 v21, vcc, v6, v14, vcc
	v_mov_b32_e32 v13, 0
	v_mov_b32_e32 v6, 0
	;; [unrolled: 1-line block ×3, first 2 shown]
	s_mov_b64 s[88:89], 0
	v_mov_b32_e32 v18, v6
                                        ; implicit-def: $sgpr90_sgpr91
	s_branch .LBB21_14
.LBB21_12:                              ;   in Loop: Header=BB21_14 Depth=3
	s_or_b64 exec, exec, s[56:57]
	v_cmp_le_i32_e32 vcc, v22, v23
	v_addc_co_u32_e32 v6, vcc, 0, v6, vcc
	v_cmp_ge_i32_e32 vcc, v22, v23
	v_addc_co_u32_e32 v18, vcc, 0, v18, vcc
	v_cmp_ge_i32_e32 vcc, v6, v26
	s_andn2_b64 s[56:57], s[90:91], exec
	s_and_b64 s[58:59], vcc, exec
	s_or_b64 s[90:91], s[56:57], s[58:59]
.LBB21_13:                              ;   in Loop: Header=BB21_14 Depth=3
	s_or_b64 exec, exec, s[70:71]
	s_and_b64 s[56:57], exec, s[90:91]
	s_or_b64 s[88:89], s[56:57], s[88:89]
	s_andn2_b64 exec, exec, s[88:89]
	s_cbranch_execz .LBB21_17
.LBB21_14:                              ;   Parent Loop BB21_3 Depth=1
                                        ;     Parent Loop BB21_10 Depth=2
                                        ; =>    This Inner Loop Header: Depth=3
	v_cmp_lt_i32_e32 vcc, v18, v33
	s_or_b64 s[90:91], s[90:91], exec
	s_and_saveexec_b64 s[70:71], vcc
	s_cbranch_execz .LBB21_13
; %bb.15:                               ;   in Loop: Header=BB21_14 Depth=3
	v_lshlrev_b64 v[22:23], 2, v[6:7]
	v_mov_b32_e32 v19, v7
	v_add_co_u32_e32 v22, vcc, v29, v22
	v_addc_co_u32_e32 v23, vcc, v30, v23, vcc
	global_load_dword v24, v[22:23], off
	v_lshlrev_b64 v[22:23], 2, v[18:19]
	v_add_co_u32_e32 v22, vcc, v15, v22
	v_addc_co_u32_e32 v23, vcc, v16, v23, vcc
	global_load_dword v23, v[22:23], off
	s_waitcnt vmcnt(1)
	v_subrev_u32_e32 v22, s53, v24
	s_waitcnt vmcnt(0)
	v_subrev_u32_e32 v23, s54, v23
	v_cmp_eq_u32_e32 vcc, v22, v23
	s_and_saveexec_b64 s[56:57], vcc
	s_cbranch_execz .LBB21_12
; %bb.16:                               ;   in Loop: Header=BB21_14 Depth=3
	v_lshlrev_b64 v[34:35], 3, v[6:7]
	v_lshlrev_b64 v[36:37], 3, v[18:19]
	v_add_co_u32_e32 v34, vcc, v31, v34
	v_addc_co_u32_e32 v35, vcc, v32, v35, vcc
	v_add_co_u32_e32 v36, vcc, v20, v36
	v_addc_co_u32_e32 v37, vcc, v21, v37, vcc
	global_load_dwordx2 v[34:35], v[34:35], off
	s_nop 0
	global_load_dwordx2 v[36:37], v[36:37], off
	s_waitcnt vmcnt(0)
	v_fma_f64 v[13:14], v[34:35], v[36:37], v[13:14]
	s_branch .LBB21_12
.LBB21_17:                              ;   in Loop: Header=BB21_10 Depth=2
	s_or_b64 exec, exec, s[88:89]
.LBB21_18:                              ;   in Loop: Header=BB21_10 Depth=2
	s_or_b64 exec, exec, s[26:27]
	v_lshlrev_b64 v[15:16], 3, v[9:10]
	v_mov_b32_e32 v10, s31
	v_add_co_u32_e32 v15, vcc, s30, v15
	v_addc_co_u32_e32 v16, vcc, v10, v16, vcc
	global_load_dwordx2 v[15:16], v[15:16], off
	v_cmp_le_i32_e64 s[26:27], v1, v11
	v_cmp_gt_i32_e32 vcc, v1, v11
	s_waitcnt vmcnt(0)
	v_add_f64 v[19:20], v[15:16], -v[13:14]
	s_and_saveexec_b64 s[56:57], vcc
	s_cbranch_execnz .LBB21_21
; %bb.19:                               ;   in Loop: Header=BB21_10 Depth=2
	s_or_b64 exec, exec, s[56:57]
	v_cmp_class_f64_e64 s[88:89], v[19:20], s72
	s_and_saveexec_b64 s[90:91], s[88:89]
	s_cbranch_execnz .LBB21_24
.LBB21_20:                              ;   in Loop: Header=BB21_10 Depth=2
	s_or_b64 exec, exec, s[90:91]
	s_and_b64 s[56:57], s[34:35], s[88:89]
	s_and_saveexec_b64 s[26:27], s[56:57]
	s_cbranch_execz .LBB21_9
	s_branch .LBB21_59
.LBB21_21:                              ;   in Loop: Header=BB21_10 Depth=2
	v_lshlrev_b64 v[21:22], 3, v[11:12]
	v_mov_b32_e32 v10, s61
	v_add_co_u32_e32 v21, vcc, s60, v21
	v_addc_co_u32_e32 v22, vcc, v10, v22, vcc
	global_load_dwordx2 v[21:22], v[21:22], off
	v_mov_b32_e32 v23, 0
	v_mov_b32_e32 v24, 0
	s_waitcnt vmcnt(0)
	v_cmp_lg_f64_e32 vcc, 0, v[21:22]
	s_and_saveexec_b64 s[58:59], vcc
	s_cbranch_execz .LBB21_23
; %bb.22:                               ;   in Loop: Header=BB21_10 Depth=2
	v_div_scale_f64 v[23:24], s[70:71], v[21:22], v[21:22], v[19:20]
	v_div_scale_f64 v[38:39], vcc, v[19:20], v[21:22], v[19:20]
	v_rcp_f64_e32 v[34:35], v[23:24]
	v_fma_f64 v[36:37], -v[23:24], v[34:35], 1.0
	v_fma_f64 v[34:35], v[34:35], v[36:37], v[34:35]
	v_fma_f64 v[36:37], -v[23:24], v[34:35], 1.0
	v_fma_f64 v[34:35], v[34:35], v[36:37], v[34:35]
	v_mul_f64 v[36:37], v[38:39], v[34:35]
	v_fma_f64 v[23:24], -v[23:24], v[36:37], v[38:39]
	v_div_fmas_f64 v[23:24], v[23:24], v[34:35], v[36:37]
	v_div_fixup_f64 v[23:24], v[23:24], v[21:22], v[19:20]
.LBB21_23:                              ;   in Loop: Header=BB21_10 Depth=2
	s_or_b64 exec, exec, s[58:59]
	v_mov_b32_e32 v19, v23
	v_mov_b32_e32 v20, v24
	s_or_b64 exec, exec, s[56:57]
	v_cmp_class_f64_e64 s[88:89], v[19:20], s72
	s_and_saveexec_b64 s[90:91], s[88:89]
	s_cbranch_execz .LBB21_20
.LBB21_24:                              ;   in Loop: Header=BB21_10 Depth=2
	s_and_saveexec_b64 s[56:57], s[26:27]
	s_xor_b64 s[26:27], exec, s[56:57]
	s_cbranch_execz .LBB21_45
; %bb.25:                               ;   in Loop: Header=BB21_10 Depth=2
	v_cmp_ge_i32_e32 vcc, v1, v11
	s_and_saveexec_b64 s[56:57], vcc
	s_xor_b64 s[56:57], exec, s[56:57]
	s_cbranch_execz .LBB21_31
; %bb.26:                               ;   in Loop: Header=BB21_10 Depth=2
	v_lshlrev_b64 v[21:22], 3, v[11:12]
	v_mov_b32_e32 v10, s63
	v_add_co_u32_e32 v23, vcc, s62, v21
	v_addc_co_u32_e32 v24, vcc, v10, v22, vcc
	s_andn2_b64 vcc, exec, s[64:65]
	global_store_dwordx2 v[23:24], v[19:20], off
	s_cbranch_vccnz .LBB21_30
; %bb.27:                               ;   in Loop: Header=BB21_10 Depth=2
	v_mov_b32_e32 v10, s61
	v_add_co_u32_e32 v21, vcc, s60, v21
	v_addc_co_u32_e32 v22, vcc, v10, v22, vcc
	global_load_dwordx2 v[21:22], v[21:22], off
	s_waitcnt vmcnt(0)
	v_add_f64 v[19:20], v[21:22], -v[19:20]
	v_cmp_class_f64_e64 s[70:71], v[19:20], s72
	s_and_saveexec_b64 s[58:59], s[70:71]
	s_cbranch_execz .LBB21_29
; %bb.28:                               ;   in Loop: Header=BB21_10 Depth=2
	v_cmp_lt_f64_e64 vcc, v[2:3], |v[19:20]|
	v_and_b32_e32 v10, 0x7fffffff, v20
	v_cndmask_b32_e32 v3, v3, v10, vcc
	v_cndmask_b32_e32 v2, v2, v19, vcc
.LBB21_29:                              ;   in Loop: Header=BB21_10 Depth=2
	s_or_b64 exec, exec, s[58:59]
.LBB21_30:                              ;   in Loop: Header=BB21_10 Depth=2
                                        ; implicit-def: $vgpr19_vgpr20
.LBB21_31:                              ;   in Loop: Header=BB21_10 Depth=2
	s_andn2_saveexec_b64 s[92:93], s[56:57]
	s_cbranch_execz .LBB21_44
; %bb.32:                               ;   in Loop: Header=BB21_10 Depth=2
	v_cmp_lt_i32_e32 vcc, v18, v33
	s_and_saveexec_b64 s[94:95], vcc
	s_cbranch_execz .LBB21_43
; %bb.33:                               ;   in Loop: Header=BB21_10 Depth=2
	s_mov_b64 s[70:71], 0
	v_mov_b32_e32 v10, v18
                                        ; implicit-def: $sgpr74_sgpr75
                                        ; implicit-def: $sgpr56_sgpr57
                                        ; implicit-def: $sgpr82_sgpr83
	s_branch .LBB21_35
.LBB21_34:                              ;   in Loop: Header=BB21_35 Depth=3
	s_or_b64 exec, exec, s[58:59]
	s_and_b64 s[58:59], exec, s[56:57]
	s_or_b64 s[70:71], s[58:59], s[70:71]
	s_andn2_b64 s[58:59], s[74:75], exec
	s_and_b64 s[74:75], s[82:83], exec
	s_or_b64 s[74:75], s[58:59], s[74:75]
	s_andn2_b64 exec, exec, s[70:71]
	s_cbranch_execz .LBB21_37
.LBB21_35:                              ;   Parent Loop BB21_3 Depth=1
                                        ;     Parent Loop BB21_10 Depth=2
                                        ; =>    This Inner Loop Header: Depth=3
	v_add_u32_e32 v21, v17, v10
	v_ashrrev_i32_e32 v22, 31, v21
	v_lshlrev_b64 v[23:24], 2, v[21:22]
	v_mov_b32_e32 v34, s49
	v_add_co_u32_e32 v23, vcc, s48, v23
	v_addc_co_u32_e32 v24, vcc, v34, v24, vcc
	global_load_dword v23, v[23:24], off
	s_or_b64 s[82:83], s[82:83], exec
	s_or_b64 s[56:57], s[56:57], exec
	s_waitcnt vmcnt(0)
	v_subrev_u32_e32 v23, s54, v23
	v_cmp_ne_u32_e32 vcc, v23, v1
	s_and_saveexec_b64 s[58:59], vcc
	s_cbranch_execz .LBB21_34
; %bb.36:                               ;   in Loop: Header=BB21_35 Depth=3
	v_add_u32_e32 v10, 1, v10
	v_cmp_ge_i32_e32 vcc, v10, v33
	s_andn2_b64 s[56:57], s[56:57], exec
	s_and_b64 vcc, vcc, exec
	s_andn2_b64 s[82:83], s[82:83], exec
	s_or_b64 s[56:57], s[56:57], vcc
	s_branch .LBB21_34
.LBB21_37:                              ;   in Loop: Header=BB21_10 Depth=2
	s_or_b64 exec, exec, s[70:71]
	s_and_saveexec_b64 s[56:57], s[74:75]
	s_xor_b64 s[56:57], exec, s[56:57]
	s_cbranch_execz .LBB21_42
; %bb.38:                               ;   in Loop: Header=BB21_10 Depth=2
	v_lshlrev_b64 v[21:22], 3, v[21:22]
	v_mov_b32_e32 v10, s79
	v_add_co_u32_e32 v23, vcc, s78, v21
	v_addc_co_u32_e32 v24, vcc, v10, v22, vcc
	s_andn2_b64 vcc, exec, s[64:65]
	global_store_dwordx2 v[23:24], v[19:20], off
	s_cbranch_vccnz .LBB21_42
; %bb.39:                               ;   in Loop: Header=BB21_10 Depth=2
	v_mov_b32_e32 v10, s51
	v_add_co_u32_e32 v21, vcc, s50, v21
	v_addc_co_u32_e32 v22, vcc, v10, v22, vcc
	global_load_dwordx2 v[21:22], v[21:22], off
	s_waitcnt vmcnt(0)
	v_add_f64 v[19:20], v[21:22], -v[19:20]
	v_cmp_class_f64_e64 s[70:71], v[19:20], s72
	s_and_saveexec_b64 s[58:59], s[70:71]
	s_cbranch_execz .LBB21_41
; %bb.40:                               ;   in Loop: Header=BB21_10 Depth=2
	v_cmp_lt_f64_e64 vcc, v[2:3], |v[19:20]|
	v_and_b32_e32 v10, 0x7fffffff, v20
	v_cndmask_b32_e32 v3, v3, v10, vcc
	v_cndmask_b32_e32 v2, v2, v19, vcc
.LBB21_41:                              ;   in Loop: Header=BB21_10 Depth=2
	s_or_b64 exec, exec, s[58:59]
.LBB21_42:                              ;   in Loop: Header=BB21_10 Depth=2
	s_or_b64 exec, exec, s[56:57]
.LBB21_43:                              ;   in Loop: Header=BB21_10 Depth=2
	s_or_b64 exec, exec, s[94:95]
.LBB21_44:                              ;   in Loop: Header=BB21_10 Depth=2
	s_or_b64 exec, exec, s[92:93]
                                        ; implicit-def: $vgpr19_vgpr20
.LBB21_45:                              ;   in Loop: Header=BB21_10 Depth=2
	s_andn2_saveexec_b64 s[26:27], s[26:27]
	s_cbranch_execz .LBB21_58
; %bb.46:                               ;   in Loop: Header=BB21_10 Depth=2
	v_cmp_lt_i32_e32 vcc, v6, v26
	s_and_saveexec_b64 s[92:93], vcc
	s_cbranch_execz .LBB21_57
; %bb.47:                               ;   in Loop: Header=BB21_10 Depth=2
	s_mov_b64 s[94:95], 0
	v_mov_b32_e32 v10, v6
                                        ; implicit-def: $sgpr70_sgpr71
                                        ; implicit-def: $sgpr56_sgpr57
                                        ; implicit-def: $sgpr74_sgpr75
	s_branch .LBB21_49
.LBB21_48:                              ;   in Loop: Header=BB21_49 Depth=3
	s_or_b64 exec, exec, s[58:59]
	s_and_b64 s[58:59], exec, s[56:57]
	s_or_b64 s[94:95], s[58:59], s[94:95]
	s_andn2_b64 s[58:59], s[70:71], exec
	s_and_b64 s[70:71], s[74:75], exec
	s_or_b64 s[70:71], s[58:59], s[70:71]
	s_andn2_b64 exec, exec, s[94:95]
	s_cbranch_execz .LBB21_51
.LBB21_49:                              ;   Parent Loop BB21_3 Depth=1
                                        ;     Parent Loop BB21_10 Depth=2
                                        ; =>    This Inner Loop Header: Depth=3
	v_add_u32_e32 v21, v8, v10
	v_ashrrev_i32_e32 v22, 31, v21
	v_lshlrev_b64 v[23:24], 2, v[21:22]
	v_mov_b32_e32 v34, s41
	v_add_co_u32_e32 v23, vcc, s40, v23
	v_addc_co_u32_e32 v24, vcc, v34, v24, vcc
	global_load_dword v23, v[23:24], off
	s_or_b64 s[74:75], s[74:75], exec
	s_or_b64 s[56:57], s[56:57], exec
	s_waitcnt vmcnt(0)
	v_subrev_u32_e32 v23, s53, v23
	v_cmp_ne_u32_e32 vcc, v23, v11
	s_and_saveexec_b64 s[58:59], vcc
	s_cbranch_execz .LBB21_48
; %bb.50:                               ;   in Loop: Header=BB21_49 Depth=3
	v_add_u32_e32 v10, 1, v10
	v_cmp_ge_i32_e32 vcc, v10, v26
	s_andn2_b64 s[56:57], s[56:57], exec
	s_and_b64 s[82:83], vcc, exec
	s_andn2_b64 s[74:75], s[74:75], exec
	s_or_b64 s[56:57], s[56:57], s[82:83]
	s_branch .LBB21_48
.LBB21_51:                              ;   in Loop: Header=BB21_10 Depth=2
	s_or_b64 exec, exec, s[94:95]
	s_and_saveexec_b64 s[56:57], s[70:71]
	s_xor_b64 s[56:57], exec, s[56:57]
	s_cbranch_execz .LBB21_56
; %bb.52:                               ;   in Loop: Header=BB21_10 Depth=2
	v_lshlrev_b64 v[21:22], 3, v[21:22]
	v_mov_b32_e32 v10, s77
	v_add_co_u32_e32 v23, vcc, s76, v21
	v_addc_co_u32_e32 v24, vcc, v10, v22, vcc
	s_andn2_b64 vcc, exec, s[64:65]
	global_store_dwordx2 v[23:24], v[19:20], off
	s_cbranch_vccnz .LBB21_56
; %bb.53:                               ;   in Loop: Header=BB21_10 Depth=2
	v_mov_b32_e32 v10, s43
	v_add_co_u32_e32 v21, vcc, s42, v21
	v_addc_co_u32_e32 v22, vcc, v10, v22, vcc
	global_load_dwordx2 v[21:22], v[21:22], off
	s_waitcnt vmcnt(0)
	v_add_f64 v[19:20], v[21:22], -v[19:20]
	v_cmp_class_f64_e64 s[70:71], v[19:20], s72
	s_and_saveexec_b64 s[58:59], s[70:71]
	s_cbranch_execz .LBB21_55
; %bb.54:                               ;   in Loop: Header=BB21_10 Depth=2
	v_cmp_lt_f64_e64 vcc, v[2:3], |v[19:20]|
	v_and_b32_e32 v10, 0x7fffffff, v20
	v_cndmask_b32_e32 v3, v3, v10, vcc
	v_cndmask_b32_e32 v2, v2, v19, vcc
.LBB21_55:                              ;   in Loop: Header=BB21_10 Depth=2
	s_or_b64 exec, exec, s[58:59]
.LBB21_56:                              ;   in Loop: Header=BB21_10 Depth=2
	s_or_b64 exec, exec, s[56:57]
.LBB21_57:                              ;   in Loop: Header=BB21_10 Depth=2
	s_or_b64 exec, exec, s[92:93]
.LBB21_58:                              ;   in Loop: Header=BB21_10 Depth=2
	s_or_b64 exec, exec, s[26:27]
	s_or_b64 exec, exec, s[90:91]
	s_and_b64 s[56:57], s[34:35], s[88:89]
	s_and_saveexec_b64 s[26:27], s[56:57]
	s_cbranch_execz .LBB21_9
.LBB21_59:                              ;   in Loop: Header=BB21_10 Depth=2
	v_cmp_ge_i32_e32 vcc, v18, v33
	s_and_saveexec_b64 s[56:57], vcc
	s_xor_b64 s[88:89], exec, s[56:57]
	s_cbranch_execnz .LBB21_65
; %bb.60:                               ;   in Loop: Header=BB21_10 Depth=2
	s_andn2_saveexec_b64 s[88:89], s[88:89]
	s_cbranch_execnz .LBB21_74
.LBB21_61:                              ;   in Loop: Header=BB21_10 Depth=2
	s_or_b64 exec, exec, s[88:89]
	v_cmp_eq_u32_e32 vcc, v1, v11
	s_and_saveexec_b64 s[56:57], vcc
	s_cbranch_execz .LBB21_63
.LBB21_62:                              ;   in Loop: Header=BB21_10 Depth=2
	v_lshlrev_b64 v[10:11], 3, v[11:12]
	v_mov_b32_e32 v6, s61
	v_add_co_u32_e32 v10, vcc, s60, v10
	v_addc_co_u32_e32 v11, vcc, v6, v11, vcc
	global_load_dwordx2 v[10:11], v[10:11], off
	s_waitcnt vmcnt(0)
	v_add_f64 v[13:14], v[13:14], v[10:11]
.LBB21_63:                              ;   in Loop: Header=BB21_10 Depth=2
	s_or_b64 exec, exec, s[56:57]
	v_add_f64 v[10:11], v[15:16], -v[13:14]
	v_cmp_class_f64_e64 s[58:59], v[10:11], s72
	s_and_saveexec_b64 s[56:57], s[58:59]
	s_cbranch_execz .LBB21_8
; %bb.64:                               ;   in Loop: Header=BB21_10 Depth=2
	v_cmp_lt_f64_e64 vcc, v[4:5], |v[10:11]|
	v_and_b32_e32 v6, 0x7fffffff, v11
	v_cndmask_b32_e32 v5, v5, v6, vcc
	v_cndmask_b32_e32 v4, v4, v10, vcc
	s_branch .LBB21_8
.LBB21_65:                              ;   in Loop: Header=BB21_10 Depth=2
	v_cmp_lt_i32_e32 vcc, v6, v26
	s_and_saveexec_b64 s[90:91], vcc
	s_cbranch_execz .LBB21_73
; %bb.66:                               ;   in Loop: Header=BB21_10 Depth=2
	s_mov_b64 s[70:71], 0
                                        ; implicit-def: $sgpr74_sgpr75
                                        ; implicit-def: $sgpr56_sgpr57
                                        ; implicit-def: $sgpr82_sgpr83
	s_branch .LBB21_68
.LBB21_67:                              ;   in Loop: Header=BB21_68 Depth=3
	s_or_b64 exec, exec, s[58:59]
	s_and_b64 s[58:59], exec, s[56:57]
	s_or_b64 s[70:71], s[58:59], s[70:71]
	s_andn2_b64 s[58:59], s[74:75], exec
	s_and_b64 s[74:75], s[82:83], exec
	s_or_b64 s[74:75], s[58:59], s[74:75]
	s_andn2_b64 exec, exec, s[70:71]
	s_cbranch_execz .LBB21_70
.LBB21_68:                              ;   Parent Loop BB21_3 Depth=1
                                        ;     Parent Loop BB21_10 Depth=2
                                        ; =>    This Inner Loop Header: Depth=3
	v_add_u32_e32 v17, v8, v6
	v_ashrrev_i32_e32 v18, 31, v17
	v_lshlrev_b64 v[19:20], 2, v[17:18]
	v_mov_b32_e32 v10, s41
	v_add_co_u32_e32 v19, vcc, s40, v19
	v_addc_co_u32_e32 v20, vcc, v10, v20, vcc
	global_load_dword v10, v[19:20], off
	s_or_b64 s[82:83], s[82:83], exec
	s_or_b64 s[56:57], s[56:57], exec
	s_waitcnt vmcnt(0)
	v_subrev_u32_e32 v10, s53, v10
	v_cmp_ne_u32_e32 vcc, v10, v11
	s_and_saveexec_b64 s[58:59], vcc
	s_cbranch_execz .LBB21_67
; %bb.69:                               ;   in Loop: Header=BB21_68 Depth=3
	v_add_u32_e32 v6, 1, v6
	v_cmp_ge_i32_e32 vcc, v6, v26
	s_andn2_b64 s[56:57], s[56:57], exec
	s_and_b64 s[92:93], vcc, exec
	s_andn2_b64 s[82:83], s[82:83], exec
	s_or_b64 s[56:57], s[56:57], s[92:93]
	s_branch .LBB21_67
.LBB21_70:                              ;   in Loop: Header=BB21_10 Depth=2
	s_or_b64 exec, exec, s[70:71]
	s_and_saveexec_b64 s[56:57], s[74:75]
	s_xor_b64 s[56:57], exec, s[56:57]
	s_cbranch_execz .LBB21_72
; %bb.71:                               ;   in Loop: Header=BB21_10 Depth=2
	v_lshlrev_b64 v[17:18], 3, v[17:18]
	v_mov_b32_e32 v6, s43
	v_add_co_u32_e32 v17, vcc, s42, v17
	v_lshlrev_b64 v[19:20], 3, v[11:12]
	v_addc_co_u32_e32 v18, vcc, v6, v18, vcc
	v_mov_b32_e32 v6, s61
	v_add_co_u32_e32 v19, vcc, s60, v19
	v_addc_co_u32_e32 v20, vcc, v6, v20, vcc
	global_load_dwordx2 v[17:18], v[17:18], off
	s_nop 0
	global_load_dwordx2 v[19:20], v[19:20], off
	s_waitcnt vmcnt(0)
	v_fma_f64 v[13:14], v[17:18], v[19:20], v[13:14]
.LBB21_72:                              ;   in Loop: Header=BB21_10 Depth=2
	s_or_b64 exec, exec, s[56:57]
.LBB21_73:                              ;   in Loop: Header=BB21_10 Depth=2
	s_or_b64 exec, exec, s[90:91]
                                        ; implicit-def: $vgpr18
                                        ; implicit-def: $vgpr17
                                        ; implicit-def: $vgpr33
	s_andn2_saveexec_b64 s[88:89], s[88:89]
	s_cbranch_execz .LBB21_61
.LBB21_74:                              ;   in Loop: Header=BB21_10 Depth=2
	s_mov_b64 s[70:71], 0
                                        ; implicit-def: $sgpr74_sgpr75
                                        ; implicit-def: $sgpr56_sgpr57
                                        ; implicit-def: $sgpr82_sgpr83
	s_branch .LBB21_76
.LBB21_75:                              ;   in Loop: Header=BB21_76 Depth=3
	s_or_b64 exec, exec, s[58:59]
	s_and_b64 s[58:59], exec, s[56:57]
	s_or_b64 s[70:71], s[58:59], s[70:71]
	s_andn2_b64 s[58:59], s[74:75], exec
	s_and_b64 s[74:75], s[82:83], exec
	s_or_b64 s[74:75], s[58:59], s[74:75]
	s_andn2_b64 exec, exec, s[70:71]
	s_cbranch_execz .LBB21_78
.LBB21_76:                              ;   Parent Loop BB21_3 Depth=1
                                        ;     Parent Loop BB21_10 Depth=2
                                        ; =>    This Inner Loop Header: Depth=3
	v_add_u32_e32 v19, v17, v18
	v_ashrrev_i32_e32 v20, 31, v19
	v_lshlrev_b64 v[21:22], 2, v[19:20]
	v_mov_b32_e32 v6, s49
	v_add_co_u32_e32 v21, vcc, s48, v21
	v_addc_co_u32_e32 v22, vcc, v6, v22, vcc
	global_load_dword v6, v[21:22], off
	s_or_b64 s[82:83], s[82:83], exec
	s_or_b64 s[56:57], s[56:57], exec
	s_waitcnt vmcnt(0)
	v_subrev_u32_e32 v6, s54, v6
	v_cmp_ne_u32_e32 vcc, v6, v1
	s_and_saveexec_b64 s[58:59], vcc
	s_cbranch_execz .LBB21_75
; %bb.77:                               ;   in Loop: Header=BB21_76 Depth=3
	v_add_u32_e32 v18, 1, v18
	v_cmp_ge_i32_e32 vcc, v18, v33
	s_andn2_b64 s[56:57], s[56:57], exec
	s_and_b64 s[90:91], vcc, exec
	s_andn2_b64 s[82:83], s[82:83], exec
	s_or_b64 s[56:57], s[56:57], s[90:91]
	s_branch .LBB21_75
.LBB21_78:                              ;   in Loop: Header=BB21_10 Depth=2
	s_or_b64 exec, exec, s[70:71]
	s_and_saveexec_b64 s[56:57], s[74:75]
	s_xor_b64 s[56:57], exec, s[56:57]
	s_cbranch_execz .LBB21_80
; %bb.79:                               ;   in Loop: Header=BB21_10 Depth=2
	v_lshlrev_b64 v[17:18], 3, v[19:20]
	v_mov_b32_e32 v6, s51
	v_add_co_u32_e32 v17, vcc, s50, v17
	v_addc_co_u32_e32 v18, vcc, v6, v18, vcc
	global_load_dwordx2 v[17:18], v[17:18], off
	s_waitcnt vmcnt(0)
	v_add_f64 v[13:14], v[13:14], v[17:18]
.LBB21_80:                              ;   in Loop: Header=BB21_10 Depth=2
	s_or_b64 exec, exec, s[56:57]
	s_or_b64 exec, exec, s[88:89]
	v_cmp_eq_u32_e32 vcc, v1, v11
	s_and_saveexec_b64 s[56:57], vcc
	s_cbranch_execnz .LBB21_62
	s_branch .LBB21_63
.LBB21_81:                              ;   in Loop: Header=BB21_3 Depth=1
	s_or_b64 exec, exec, s[86:87]
	s_or_b64 exec, exec, s[84:85]
	s_andn2_b64 vcc, exec, s[64:65]
	s_cbranch_vccnz .LBB21_5
.LBB21_82:                              ;   in Loop: Header=BB21_3 Depth=1
	ds_write_b64 v25, v[2:3]
	s_waitcnt vmcnt(0) lgkmcnt(0)
	s_barrier
	s_and_saveexec_b64 s[26:27], s[16:17]
	s_cbranch_execz .LBB21_84
; %bb.83:                               ;   in Loop: Header=BB21_3 Depth=1
	ds_read2st64_b64 v[9:12], v25 offset1:8
	s_waitcnt lgkmcnt(0)
	v_cmp_lt_f64_e32 vcc, v[9:10], v[11:12]
	v_cndmask_b32_e32 v3, v10, v12, vcc
	v_cndmask_b32_e32 v2, v9, v11, vcc
	ds_write_b64 v25, v[2:3]
.LBB21_84:                              ;   in Loop: Header=BB21_3 Depth=1
	s_or_b64 exec, exec, s[26:27]
	s_waitcnt lgkmcnt(0)
	s_barrier
	s_and_saveexec_b64 s[26:27], s[18:19]
	s_cbranch_execz .LBB21_86
; %bb.85:                               ;   in Loop: Header=BB21_3 Depth=1
	ds_read2st64_b64 v[9:12], v25 offset1:4
	s_waitcnt lgkmcnt(0)
	v_cmp_lt_f64_e32 vcc, v[9:10], v[11:12]
	v_cndmask_b32_e32 v3, v10, v12, vcc
	v_cndmask_b32_e32 v2, v9, v11, vcc
	ds_write_b64 v25, v[2:3]
.LBB21_86:                              ;   in Loop: Header=BB21_3 Depth=1
	s_or_b64 exec, exec, s[26:27]
	s_waitcnt lgkmcnt(0)
	;; [unrolled: 13-line block ×4, first 2 shown]
	s_barrier
	s_and_saveexec_b64 s[26:27], s[2:3]
	s_cbranch_execz .LBB21_92
; %bb.91:                               ;   in Loop: Header=BB21_3 Depth=1
	ds_read2_b64 v[9:12], v25 offset1:32
	s_waitcnt lgkmcnt(0)
	v_cmp_lt_f64_e32 vcc, v[9:10], v[11:12]
	v_cndmask_b32_e32 v3, v10, v12, vcc
	v_cndmask_b32_e32 v2, v9, v11, vcc
	ds_write_b64 v25, v[2:3]
.LBB21_92:                              ;   in Loop: Header=BB21_3 Depth=1
	s_or_b64 exec, exec, s[26:27]
	s_waitcnt lgkmcnt(0)
	s_barrier
	s_and_saveexec_b64 s[26:27], s[4:5]
	s_cbranch_execz .LBB21_94
; %bb.93:                               ;   in Loop: Header=BB21_3 Depth=1
	ds_read2_b64 v[9:12], v25 offset1:16
	s_waitcnt lgkmcnt(0)
	v_cmp_lt_f64_e32 vcc, v[9:10], v[11:12]
	v_cndmask_b32_e32 v3, v10, v12, vcc
	v_cndmask_b32_e32 v2, v9, v11, vcc
	ds_write_b64 v25, v[2:3]
.LBB21_94:                              ;   in Loop: Header=BB21_3 Depth=1
	s_or_b64 exec, exec, s[26:27]
	s_waitcnt lgkmcnt(0)
	s_barrier
	s_and_saveexec_b64 s[26:27], s[6:7]
	s_cbranch_execz .LBB21_96
; %bb.95:                               ;   in Loop: Header=BB21_3 Depth=1
	ds_read2_b64 v[9:12], v25 offset1:8
	s_waitcnt lgkmcnt(0)
	v_cmp_lt_f64_e32 vcc, v[9:10], v[11:12]
	v_cndmask_b32_e32 v3, v10, v12, vcc
	v_cndmask_b32_e32 v2, v9, v11, vcc
	ds_write_b64 v25, v[2:3]
.LBB21_96:                              ;   in Loop: Header=BB21_3 Depth=1
	s_or_b64 exec, exec, s[26:27]
	s_waitcnt lgkmcnt(0)
	s_barrier
	s_and_saveexec_b64 s[26:27], s[8:9]
	s_cbranch_execz .LBB21_98
; %bb.97:                               ;   in Loop: Header=BB21_3 Depth=1
	ds_read2_b64 v[9:12], v25 offset1:4
	s_waitcnt lgkmcnt(0)
	v_cmp_lt_f64_e32 vcc, v[9:10], v[11:12]
	v_cndmask_b32_e32 v3, v10, v12, vcc
	v_cndmask_b32_e32 v2, v9, v11, vcc
	ds_write_b64 v25, v[2:3]
.LBB21_98:                              ;   in Loop: Header=BB21_3 Depth=1
	s_or_b64 exec, exec, s[26:27]
	s_waitcnt lgkmcnt(0)
	s_barrier
	s_and_saveexec_b64 s[26:27], s[10:11]
	s_cbranch_execz .LBB21_100
; %bb.99:                               ;   in Loop: Header=BB21_3 Depth=1
	ds_read2_b64 v[9:12], v25 offset1:2
	s_waitcnt lgkmcnt(0)
	v_cmp_lt_f64_e32 vcc, v[9:10], v[11:12]
	v_cndmask_b32_e32 v3, v10, v12, vcc
	v_cndmask_b32_e32 v2, v9, v11, vcc
	ds_write_b64 v25, v[2:3]
.LBB21_100:                             ;   in Loop: Header=BB21_3 Depth=1
	s_or_b64 exec, exec, s[26:27]
	s_waitcnt lgkmcnt(0)
	s_barrier
	s_and_saveexec_b64 s[26:27], s[12:13]
	s_cbranch_execz .LBB21_102
; %bb.101:                              ;   in Loop: Header=BB21_3 Depth=1
	ds_read_b128 v[9:12], v7
	s_waitcnt lgkmcnt(0)
	v_cmp_lt_f64_e32 vcc, v[9:10], v[11:12]
	v_cndmask_b32_e32 v3, v10, v12, vcc
	v_cndmask_b32_e32 v2, v9, v11, vcc
	ds_write_b64 v7, v[2:3]
.LBB21_102:                             ;   in Loop: Header=BB21_3 Depth=1
	s_or_b64 exec, exec, s[26:27]
	v_readlane_b32 s26, v40, 10
	v_readlane_b32 s27, v40, 11
	s_waitcnt lgkmcnt(0)
	s_barrier
	ds_read_b64 v[2:3], v7
	s_load_dwordx2 s[26:27], s[26:27], 0x0
	s_waitcnt lgkmcnt(0)
	v_div_scale_f64 v[9:10], s[56:57], s[26:27], s[26:27], v[2:3]
	v_div_scale_f64 v[15:16], vcc, v[2:3], s[26:27], v[2:3]
	v_rcp_f64_e32 v[11:12], v[9:10]
	v_fma_f64 v[13:14], -v[9:10], v[11:12], 1.0
	v_fma_f64 v[11:12], v[11:12], v[13:14], v[11:12]
	v_fma_f64 v[13:14], -v[9:10], v[11:12], 1.0
	v_fma_f64 v[11:12], v[11:12], v[13:14], v[11:12]
	v_mul_f64 v[13:14], v[15:16], v[11:12]
	v_fma_f64 v[9:10], -v[9:10], v[13:14], v[15:16]
	v_div_fmas_f64 v[9:10], v[9:10], v[11:12], v[13:14]
	v_div_fixup_f64 v[2:3], v[9:10], s[26:27], v[2:3]
	s_andn2_b64 vcc, exec, s[34:35]
	s_cbranch_vccnz .LBB21_6
.LBB21_103:                             ;   in Loop: Header=BB21_3 Depth=1
	ds_write_b64 v25, v[4:5]
	s_waitcnt vmcnt(0) lgkmcnt(0)
	s_barrier
	s_and_saveexec_b64 s[26:27], s[16:17]
	s_cbranch_execz .LBB21_105
; %bb.104:                              ;   in Loop: Header=BB21_3 Depth=1
	ds_read2st64_b64 v[9:12], v25 offset1:8
	s_waitcnt lgkmcnt(0)
	v_cmp_lt_f64_e32 vcc, v[9:10], v[11:12]
	v_cndmask_b32_e32 v5, v10, v12, vcc
	v_cndmask_b32_e32 v4, v9, v11, vcc
	ds_write_b64 v25, v[4:5]
.LBB21_105:                             ;   in Loop: Header=BB21_3 Depth=1
	s_or_b64 exec, exec, s[26:27]
	s_waitcnt lgkmcnt(0)
	s_barrier
	s_and_saveexec_b64 s[26:27], s[18:19]
	s_cbranch_execz .LBB21_107
; %bb.106:                              ;   in Loop: Header=BB21_3 Depth=1
	ds_read2st64_b64 v[9:12], v25 offset1:4
	s_waitcnt lgkmcnt(0)
	v_cmp_lt_f64_e32 vcc, v[9:10], v[11:12]
	v_cndmask_b32_e32 v5, v10, v12, vcc
	v_cndmask_b32_e32 v4, v9, v11, vcc
	ds_write_b64 v25, v[4:5]
.LBB21_107:                             ;   in Loop: Header=BB21_3 Depth=1
	s_or_b64 exec, exec, s[26:27]
	s_waitcnt lgkmcnt(0)
	;; [unrolled: 13-line block ×4, first 2 shown]
	s_barrier
	s_and_saveexec_b64 s[26:27], s[2:3]
	s_cbranch_execz .LBB21_113
; %bb.112:                              ;   in Loop: Header=BB21_3 Depth=1
	ds_read2_b64 v[9:12], v25 offset1:32
	s_waitcnt lgkmcnt(0)
	v_cmp_lt_f64_e32 vcc, v[9:10], v[11:12]
	v_cndmask_b32_e32 v5, v10, v12, vcc
	v_cndmask_b32_e32 v4, v9, v11, vcc
	ds_write_b64 v25, v[4:5]
.LBB21_113:                             ;   in Loop: Header=BB21_3 Depth=1
	s_or_b64 exec, exec, s[26:27]
	s_waitcnt lgkmcnt(0)
	s_barrier
	s_and_saveexec_b64 s[26:27], s[4:5]
	s_cbranch_execz .LBB21_115
; %bb.114:                              ;   in Loop: Header=BB21_3 Depth=1
	ds_read2_b64 v[9:12], v25 offset1:16
	s_waitcnt lgkmcnt(0)
	v_cmp_lt_f64_e32 vcc, v[9:10], v[11:12]
	v_cndmask_b32_e32 v5, v10, v12, vcc
	v_cndmask_b32_e32 v4, v9, v11, vcc
	ds_write_b64 v25, v[4:5]
.LBB21_115:                             ;   in Loop: Header=BB21_3 Depth=1
	s_or_b64 exec, exec, s[26:27]
	s_waitcnt lgkmcnt(0)
	;; [unrolled: 13-line block ×5, first 2 shown]
	s_barrier
	s_and_saveexec_b64 s[26:27], s[12:13]
	s_cbranch_execz .LBB21_123
; %bb.122:                              ;   in Loop: Header=BB21_3 Depth=1
	ds_read_b128 v[9:12], v7
	s_waitcnt lgkmcnt(0)
	v_cmp_lt_f64_e32 vcc, v[9:10], v[11:12]
	v_cndmask_b32_e32 v5, v10, v12, vcc
	v_cndmask_b32_e32 v4, v9, v11, vcc
	ds_write_b64 v7, v[4:5]
.LBB21_123:                             ;   in Loop: Header=BB21_3 Depth=1
	s_or_b64 exec, exec, s[26:27]
	v_readlane_b32 s26, v40, 10
	v_readlane_b32 s27, v40, 11
	s_waitcnt lgkmcnt(0)
	s_barrier
	ds_read_b64 v[4:5], v7
	s_load_dwordx2 s[26:27], s[26:27], 0x0
	s_waitcnt lgkmcnt(0)
	v_div_scale_f64 v[9:10], s[56:57], s[26:27], s[26:27], v[4:5]
	v_div_scale_f64 v[15:16], vcc, v[4:5], s[26:27], v[4:5]
	v_rcp_f64_e32 v[11:12], v[9:10]
	v_fma_f64 v[13:14], -v[9:10], v[11:12], 1.0
	v_fma_f64 v[11:12], v[11:12], v[13:14], v[11:12]
	v_fma_f64 v[13:14], -v[9:10], v[11:12], 1.0
	v_fma_f64 v[11:12], v[11:12], v[13:14], v[11:12]
	v_mul_f64 v[13:14], v[15:16], v[11:12]
	v_fma_f64 v[9:10], -v[9:10], v[13:14], v[15:16]
	v_div_fmas_f64 v[9:10], v[9:10], v[11:12], v[13:14]
	v_div_fixup_f64 v[4:5], v[9:10], s[26:27], v[4:5]
	s_and_saveexec_b64 s[26:27], s[14:15]
	s_cbranch_execz .LBB21_134
.LBB21_124:                             ;   in Loop: Header=BB21_3 Depth=1
	s_mov_b64 s[84:85], 0
	v_mov_b32_e32 v9, v1
	s_branch .LBB21_127
.LBB21_125:                             ;   in Loop: Header=BB21_127 Depth=2
	s_or_b64 exec, exec, s[56:57]
	v_lshlrev_b64 v[10:11], 3, v[9:10]
	v_mov_b32_e32 v6, s63
	v_add_co_u32_e32 v12, vcc, s62, v10
	v_addc_co_u32_e32 v13, vcc, v6, v11, vcc
	global_load_dwordx2 v[12:13], v[12:13], off
	v_mov_b32_e32 v6, s61
	v_add_co_u32_e32 v10, vcc, s60, v10
	v_addc_co_u32_e32 v11, vcc, v6, v11, vcc
	s_waitcnt vmcnt(0)
	global_store_dwordx2 v[10:11], v[12:13], off
.LBB21_126:                             ;   in Loop: Header=BB21_127 Depth=2
	s_or_b64 exec, exec, s[86:87]
	v_add_u32_e32 v9, 0x400, v9
	v_cmp_le_u32_e32 vcc, s55, v9
	s_or_b64 s[84:85], vcc, s[84:85]
	s_andn2_b64 exec, exec, s[84:85]
	s_cbranch_execz .LBB21_134
.LBB21_127:                             ;   Parent Loop BB21_3 Depth=1
                                        ; =>  This Loop Header: Depth=2
                                        ;       Child Loop BB21_130 Depth 3
                                        ;       Child Loop BB21_133 Depth 3
	v_cmp_gt_i32_e32 vcc, s33, v9
	s_and_saveexec_b64 s[86:87], vcc
	s_cbranch_execz .LBB21_126
; %bb.128:                              ;   in Loop: Header=BB21_127 Depth=2
	v_ashrrev_i32_e32 v10, 31, v9
	v_lshlrev_b64 v[11:12], 2, v[9:10]
	v_mov_b32_e32 v6, s37
	v_add_co_u32_e32 v13, vcc, s36, v11
	v_addc_co_u32_e32 v14, vcc, v6, v12, vcc
	global_load_dword v13, v[13:14], off
	v_mov_b32_e32 v6, s39
	v_add_co_u32_e32 v14, vcc, s38, v11
	v_addc_co_u32_e32 v15, vcc, v6, v12, vcc
	global_load_dword v6, v[14:15], off
	s_waitcnt vmcnt(0)
	v_cmp_lt_i32_e32 vcc, v13, v6
	s_and_saveexec_b64 s[56:57], vcc
	s_cbranch_execz .LBB21_131
; %bb.129:                              ;   in Loop: Header=BB21_127 Depth=2
	v_subrev_u32_e32 v13, s53, v13
	v_ashrrev_i32_e32 v14, 31, v13
	v_lshlrev_b64 v[16:17], 3, v[13:14]
	v_mov_b32_e32 v15, s77
	v_add_co_u32_e32 v14, vcc, s76, v16
	v_addc_co_u32_e32 v15, vcc, v15, v17, vcc
	v_mov_b32_e32 v18, s43
	v_add_co_u32_e32 v16, vcc, s42, v16
	v_subrev_u32_e32 v6, s53, v6
	v_addc_co_u32_e32 v17, vcc, v18, v17, vcc
	s_mov_b64 s[58:59], 0
.LBB21_130:                             ;   Parent Loop BB21_3 Depth=1
                                        ;     Parent Loop BB21_127 Depth=2
                                        ; =>    This Inner Loop Header: Depth=3
	global_load_dwordx2 v[18:19], v[14:15], off
	v_add_co_u32_e32 v14, vcc, 8, v14
	v_add_u32_e32 v13, 1, v13
	v_addc_co_u32_e32 v15, vcc, 0, v15, vcc
	v_cmp_ge_i32_e32 vcc, v13, v6
	s_or_b64 s[58:59], vcc, s[58:59]
	s_waitcnt vmcnt(0)
	global_store_dwordx2 v[16:17], v[18:19], off
	v_add_co_u32_e32 v16, vcc, 8, v16
	v_addc_co_u32_e32 v17, vcc, 0, v17, vcc
	s_andn2_b64 exec, exec, s[58:59]
	s_cbranch_execnz .LBB21_130
.LBB21_131:                             ;   in Loop: Header=BB21_127 Depth=2
	s_or_b64 exec, exec, s[56:57]
	v_mov_b32_e32 v6, s45
	v_add_co_u32_e32 v13, vcc, s44, v11
	v_addc_co_u32_e32 v14, vcc, v6, v12, vcc
	v_mov_b32_e32 v6, s47
	v_add_co_u32_e32 v11, vcc, s46, v11
	v_addc_co_u32_e32 v12, vcc, v6, v12, vcc
	global_load_dword v13, v[13:14], off
	s_nop 0
	global_load_dword v6, v[11:12], off
	s_waitcnt vmcnt(0)
	v_cmp_lt_i32_e32 vcc, v13, v6
	s_and_saveexec_b64 s[56:57], vcc
	s_cbranch_execz .LBB21_125
; %bb.132:                              ;   in Loop: Header=BB21_127 Depth=2
	v_subrev_u32_e32 v11, s54, v13
	v_ashrrev_i32_e32 v12, 31, v11
	v_lshlrev_b64 v[14:15], 3, v[11:12]
	v_mov_b32_e32 v13, s79
	v_add_co_u32_e32 v12, vcc, s78, v14
	v_addc_co_u32_e32 v13, vcc, v13, v15, vcc
	v_mov_b32_e32 v16, s51
	v_add_co_u32_e32 v14, vcc, s50, v14
	v_subrev_u32_e32 v6, s54, v6
	v_addc_co_u32_e32 v15, vcc, v16, v15, vcc
	s_mov_b64 s[58:59], 0
.LBB21_133:                             ;   Parent Loop BB21_3 Depth=1
                                        ;     Parent Loop BB21_127 Depth=2
                                        ; =>    This Inner Loop Header: Depth=3
	global_load_dwordx2 v[16:17], v[12:13], off
	v_add_co_u32_e32 v12, vcc, 8, v12
	v_add_u32_e32 v11, 1, v11
	v_addc_co_u32_e32 v13, vcc, 0, v13, vcc
	v_cmp_ge_i32_e32 vcc, v11, v6
	s_or_b64 s[58:59], vcc, s[58:59]
	s_waitcnt vmcnt(0)
	global_store_dwordx2 v[14:15], v[16:17], off
	v_add_co_u32_e32 v14, vcc, 8, v14
	v_addc_co_u32_e32 v15, vcc, 0, v15, vcc
	s_andn2_b64 exec, exec, s[58:59]
	s_cbranch_execnz .LBB21_133
	s_branch .LBB21_125
.LBB21_134:                             ;   in Loop: Header=BB21_3 Depth=1
	s_or_b64 exec, exec, s[26:27]
	s_mov_b64 s[84:85], -1
	s_and_b64 vcc, exec, s[66:67]
	s_mov_b64 s[56:57], -1
	s_cbranch_vccz .LBB21_144
; %bb.135:                              ;   in Loop: Header=BB21_3 Depth=1
	v_readlane_b32 s56, v40, 14
	v_readlane_b32 s57, v40, 15
	s_mov_b64 s[26:27], -1
	s_and_b64 vcc, exec, s[56:57]
                                        ; implicit-def: $sgpr56_sgpr57
	s_cbranch_vccz .LBB21_141
; %bb.136:                              ;   in Loop: Header=BB21_3 Depth=1
	v_readlane_b32 s56, v40, 12
	v_readlane_b32 s57, v40, 13
	s_and_b64 vcc, exec, s[56:57]
                                        ; implicit-def: $sgpr56_sgpr57
	s_cbranch_vccz .LBB21_138
; %bb.137:                              ;   in Loop: Header=BB21_3 Depth=1
	v_readlane_b32 s56, v40, 0
	v_readlane_b32 s57, v40, 1
	;; [unrolled: 1-line block ×4, first 2 shown]
	v_cmp_ge_f64_e64 s[56:57], s[58:59], v[4:5]
	s_mov_b64 s[26:27], 0
.LBB21_138:                             ;   in Loop: Header=BB21_3 Depth=1
	s_andn2_b64 vcc, exec, s[26:27]
	s_cbranch_vccnz .LBB21_140
; %bb.139:                              ;   in Loop: Header=BB21_3 Depth=1
	v_readlane_b32 s88, v40, 0
	v_readlane_b32 s90, v40, 2
	v_readlane_b32 s91, v40, 3
	v_cmp_ge_f64_e32 vcc, s[90:91], v[2:3]
	s_andn2_b64 s[26:27], s[56:57], exec
	v_readlane_b32 s89, v40, 1
	s_and_b64 s[56:57], vcc, exec
	s_or_b64 s[56:57], s[26:27], s[56:57]
.LBB21_140:                             ;   in Loop: Header=BB21_3 Depth=1
	s_mov_b64 s[26:27], 0
.LBB21_141:                             ;   in Loop: Header=BB21_3 Depth=1
	s_andn2_b64 vcc, exec, s[26:27]
	s_cbranch_vccnz .LBB21_143
; %bb.142:                              ;   in Loop: Header=BB21_3 Depth=1
	v_readlane_b32 s88, v40, 0
	v_readlane_b32 s90, v40, 2
	;; [unrolled: 1-line block ×3, first 2 shown]
	v_cmp_ge_f64_e32 vcc, s[90:91], v[2:3]
	v_cmp_ge_f64_e64 s[26:27], s[90:91], v[4:5]
	s_andn2_b64 s[56:57], s[56:57], exec
	v_readlane_b32 s89, v40, 1
	s_and_b64 s[26:27], vcc, s[26:27]
	s_and_b64 s[26:27], s[26:27], exec
	s_or_b64 s[56:57], s[56:57], s[26:27]
.LBB21_143:                             ;   in Loop: Header=BB21_3 Depth=1
	s_xor_b64 s[56:57], s[56:57], -1
.LBB21_144:                             ;   in Loop: Header=BB21_3 Depth=1
	v_mov_b32_e32 v6, s68
	s_and_saveexec_b64 s[26:27], s[56:57]
	s_cbranch_execz .LBB21_2
; %bb.145:                              ;   in Loop: Header=BB21_3 Depth=1
	s_add_i32 s68, s68, 1
	s_cmp_eq_u32 s68, s69
	s_cselect_b64 s[56:57], -1, 0
	v_mov_b32_e32 v6, s69
	s_orn2_b64 s[84:85], s[56:57], exec
	s_branch .LBB21_2
.LBB21_146:
	s_or_b64 exec, exec, s[80:81]
	v_readlane_b32 s8, v40, 6
	v_readlane_b32 s9, v40, 7
	;; [unrolled: 1-line block ×4, first 2 shown]
.LBB21_147:
	v_readlane_b32 s0, v40, 4
	v_readlane_b32 s1, v40, 5
	s_or_b64 exec, exec, s[0:1]
	s_andn2_b64 vcc, exec, s[66:67]
	s_cbranch_vccnz .LBB21_172
; %bb.148:
	v_lshlrev_b32_e32 v7, 2, v0
	s_movk_i32 s0, 0x200
	v_or_b32_e32 v1, 0x2000, v7
	v_cmp_gt_u32_e32 vcc, s0, v0
	ds_write_b32 v7, v6 offset:8192
	s_waitcnt vmcnt(0) lgkmcnt(0)
	s_barrier
	s_and_saveexec_b64 s[0:1], vcc
	s_cbranch_execz .LBB21_150
; %bb.149:
	ds_read2st64_b32 v[6:7], v1 offset1:8
	s_waitcnt lgkmcnt(0)
	v_max_i32_e32 v6, v6, v7
	ds_write_b32 v1, v6
.LBB21_150:
	s_or_b64 exec, exec, s[0:1]
	s_movk_i32 s0, 0x100
	v_cmp_gt_u32_e32 vcc, s0, v0
	s_waitcnt lgkmcnt(0)
	s_barrier
	s_and_saveexec_b64 s[0:1], vcc
	s_cbranch_execz .LBB21_152
; %bb.151:
	ds_read2st64_b32 v[6:7], v1 offset1:4
	s_waitcnt lgkmcnt(0)
	v_max_i32_e32 v6, v6, v7
	ds_write_b32 v1, v6
.LBB21_152:
	s_or_b64 exec, exec, s[0:1]
	s_movk_i32 s0, 0x80
	v_cmp_gt_u32_e32 vcc, s0, v0
	s_waitcnt lgkmcnt(0)
	s_barrier
	s_and_saveexec_b64 s[0:1], vcc
	s_cbranch_execz .LBB21_154
; %bb.153:
	ds_read2st64_b32 v[6:7], v1 offset1:2
	s_waitcnt lgkmcnt(0)
	v_max_i32_e32 v6, v6, v7
	ds_write_b32 v1, v6
.LBB21_154:
	s_or_b64 exec, exec, s[0:1]
	v_cmp_gt_u32_e32 vcc, 64, v0
	s_waitcnt lgkmcnt(0)
	s_barrier
	s_and_saveexec_b64 s[0:1], vcc
	s_cbranch_execz .LBB21_156
; %bb.155:
	ds_read2st64_b32 v[6:7], v1 offset1:1
	s_waitcnt lgkmcnt(0)
	v_max_i32_e32 v6, v6, v7
	ds_write_b32 v1, v6
.LBB21_156:
	s_or_b64 exec, exec, s[0:1]
	v_cmp_gt_u32_e32 vcc, 32, v0
	s_waitcnt lgkmcnt(0)
	s_barrier
	s_and_saveexec_b64 s[0:1], vcc
	s_cbranch_execz .LBB21_158
; %bb.157:
	ds_read2_b32 v[6:7], v1 offset1:32
	s_waitcnt lgkmcnt(0)
	v_max_i32_e32 v6, v6, v7
	ds_write_b32 v1, v6
.LBB21_158:
	s_or_b64 exec, exec, s[0:1]
	v_cmp_gt_u32_e32 vcc, 16, v0
	s_waitcnt lgkmcnt(0)
	s_barrier
	s_and_saveexec_b64 s[0:1], vcc
	s_cbranch_execz .LBB21_160
; %bb.159:
	ds_read2_b32 v[6:7], v1 offset1:16
	s_waitcnt lgkmcnt(0)
	v_max_i32_e32 v6, v6, v7
	ds_write_b32 v1, v6
.LBB21_160:
	;; [unrolled: 12-line block ×5, first 2 shown]
	s_or_b64 exec, exec, s[0:1]
	v_cmp_eq_u32_e32 vcc, 0, v0
	s_waitcnt lgkmcnt(0)
	s_barrier
	s_and_saveexec_b64 s[0:1], vcc
	s_cbranch_execz .LBB21_168
; %bb.167:
	v_mov_b32_e32 v1, 0
	ds_read_b64 v[6:7], v1 offset:8192
	s_waitcnt lgkmcnt(0)
	v_max_i32_e32 v6, v6, v7
	ds_write_b32 v1, v6 offset:8192
.LBB21_168:
	s_or_b64 exec, exec, s[0:1]
	s_waitcnt lgkmcnt(0)
	s_barrier
	s_and_saveexec_b64 s[0:1], vcc
	s_cbranch_execz .LBB21_171
; %bb.169:
	v_mbcnt_lo_u32_b32 v1, exec_lo, 0
	v_mbcnt_hi_u32_b32 v1, exec_hi, v1
	v_cmp_eq_u32_e32 vcc, 0, v1
	s_and_b64 exec, exec, vcc
	s_cbranch_execz .LBB21_171
; %bb.170:
	v_mov_b32_e32 v1, 0
	ds_read_b32 v6, v1 offset:8192
	v_readlane_b32 s4, v40, 0
	v_readlane_b32 s5, v40, 1
	;; [unrolled: 1-line block ×4, first 2 shown]
	s_waitcnt lgkmcnt(0)
	v_add_u32_e32 v6, 1, v6
	s_nop 0
	global_atomic_smax v1, v6, s[4:5]
.LBB21_171:
	s_or_b64 exec, exec, s[0:1]
.LBB21_172:
	v_cmp_eq_u32_e32 vcc, 0, v0
	s_and_b64 s[0:1], vcc, s[64:65]
	s_and_saveexec_b64 s[2:3], s[0:1]
	s_cbranch_execz .LBB21_179
; %bb.173:
	v_mov_b32_e32 v0, 0
	s_mov_b64 s[0:1], exec
	v_mov_b32_e32 v1, 0x7ff80000
.LBB21_174:                             ; =>This Inner Loop Header: Depth=1
	s_ff1_i32_b64 s6, s[0:1]
	v_readlane_b32 s5, v3, s6
	v_readlane_b32 s4, v2, s6
	v_max_f64 v[0:1], v[0:1], v[0:1]
	v_max_f64 v[6:7], s[4:5], s[4:5]
	s_lshl_b64 s[4:5], 1, s6
	s_andn2_b64 s[0:1], s[0:1], s[4:5]
	s_cmp_lg_u64 s[0:1], 0
	v_max_f64 v[0:1], v[0:1], v[6:7]
	s_cbranch_scc1 .LBB21_174
; %bb.175:
	v_mbcnt_lo_u32_b32 v2, exec_lo, 0
	v_mbcnt_hi_u32_b32 v2, exec_hi, v2
	v_cmp_eq_u32_e64 s[0:1], 0, v2
	s_and_saveexec_b64 s[4:5], s[0:1]
	s_xor_b64 s[4:5], exec, s[4:5]
	s_cbranch_execz .LBB21_179
; %bb.176:
	v_mov_b32_e32 v8, 0
	global_load_dwordx2 v[2:3], v8, s[8:9]
	v_max_f64 v[6:7], v[0:1], v[0:1]
	s_mov_b64 s[4:5], 0
.LBB21_177:                             ; =>This Inner Loop Header: Depth=1
	s_waitcnt vmcnt(0)
	v_max_f64 v[0:1], v[2:3], v[2:3]
	v_max_f64 v[0:1], v[0:1], v[6:7]
	global_atomic_cmpswap_x2 v[0:1], v8, v[0:3], s[8:9] glc
	s_waitcnt vmcnt(0)
	v_cmp_eq_u64_e64 s[0:1], v[0:1], v[2:3]
	v_mov_b32_e32 v3, v1
	s_or_b64 s[4:5], s[0:1], s[4:5]
	v_mov_b32_e32 v2, v0
	s_andn2_b64 exec, exec, s[4:5]
	s_cbranch_execnz .LBB21_177
; %bb.178:
	s_or_b64 exec, exec, s[4:5]
.LBB21_179:
	s_or_b64 exec, exec, s[2:3]
	s_and_b64 s[0:1], vcc, s[34:35]
	s_and_saveexec_b64 s[2:3], s[0:1]
	s_cbranch_execz .LBB21_185
; %bb.180:
	v_mov_b32_e32 v0, 0
	s_mov_b64 s[0:1], exec
	v_mov_b32_e32 v1, 0x7ff80000
.LBB21_181:                             ; =>This Inner Loop Header: Depth=1
	s_ff1_i32_b64 s4, s[0:1]
	v_readlane_b32 s3, v5, s4
	v_readlane_b32 s2, v4, s4
	v_max_f64 v[0:1], v[0:1], v[0:1]
	v_max_f64 v[2:3], s[2:3], s[2:3]
	s_lshl_b64 s[2:3], 1, s4
	s_andn2_b64 s[0:1], s[0:1], s[2:3]
	s_cmp_lg_u64 s[0:1], 0
	v_max_f64 v[0:1], v[0:1], v[2:3]
	s_cbranch_scc1 .LBB21_181
; %bb.182:
	v_mbcnt_lo_u32_b32 v2, exec_lo, 0
	v_mbcnt_hi_u32_b32 v2, exec_hi, v2
	v_cmp_eq_u32_e32 vcc, 0, v2
	s_and_saveexec_b64 s[0:1], vcc
	s_xor_b64 s[0:1], exec, s[0:1]
	s_cbranch_execz .LBB21_185
; %bb.183:
	v_mov_b32_e32 v6, 0
	global_load_dwordx2 v[2:3], v6, s[10:11]
	v_max_f64 v[4:5], v[0:1], v[0:1]
	s_mov_b64 s[0:1], 0
.LBB21_184:                             ; =>This Inner Loop Header: Depth=1
	s_waitcnt vmcnt(0)
	v_max_f64 v[0:1], v[2:3], v[2:3]
	v_max_f64 v[0:1], v[0:1], v[4:5]
	global_atomic_cmpswap_x2 v[0:1], v6, v[0:3], s[10:11] glc
	s_waitcnt vmcnt(0)
	v_cmp_eq_u64_e32 vcc, v[0:1], v[2:3]
	v_mov_b32_e32 v3, v1
	s_or_b64 s[0:1], vcc, s[0:1]
	v_mov_b32_e32 v2, v0
	s_andn2_b64 exec, exec, s[0:1]
	s_cbranch_execnz .LBB21_184
.LBB21_185:
	s_endpgm
	.section	.rodata,"a",@progbits
	.p2align	6, 0x0
	.amdhsa_kernel _ZN9rocsparseL6kernelILi1024ELi1EdiiEEvbbbT3_PS1_NS_15floating_traitsIT1_E6data_tES1_T2_PKS7_S9_PKS1_PKS4_21rocsparse_index_base_S9_S9_SB_PS4_SF_SE_S9_S9_SB_SF_SF_SE_SF_SF_PS6_SG_PKS6_
		.amdhsa_group_segment_fixed_size 12288
		.amdhsa_private_segment_fixed_size 0
		.amdhsa_kernarg_size 208
		.amdhsa_user_sgpr_count 6
		.amdhsa_user_sgpr_private_segment_buffer 1
		.amdhsa_user_sgpr_dispatch_ptr 0
		.amdhsa_user_sgpr_queue_ptr 0
		.amdhsa_user_sgpr_kernarg_segment_ptr 1
		.amdhsa_user_sgpr_dispatch_id 0
		.amdhsa_user_sgpr_flat_scratch_init 0
		.amdhsa_user_sgpr_private_segment_size 0
		.amdhsa_uses_dynamic_stack 0
		.amdhsa_system_sgpr_private_segment_wavefront_offset 0
		.amdhsa_system_sgpr_workgroup_id_x 1
		.amdhsa_system_sgpr_workgroup_id_y 0
		.amdhsa_system_sgpr_workgroup_id_z 0
		.amdhsa_system_sgpr_workgroup_info 0
		.amdhsa_system_vgpr_workitem_id 0
		.amdhsa_next_free_vgpr 41
		.amdhsa_next_free_sgpr 96
		.amdhsa_reserve_vcc 1
		.amdhsa_reserve_flat_scratch 0
		.amdhsa_float_round_mode_32 0
		.amdhsa_float_round_mode_16_64 0
		.amdhsa_float_denorm_mode_32 3
		.amdhsa_float_denorm_mode_16_64 3
		.amdhsa_dx10_clamp 1
		.amdhsa_ieee_mode 1
		.amdhsa_fp16_overflow 0
		.amdhsa_exception_fp_ieee_invalid_op 0
		.amdhsa_exception_fp_denorm_src 0
		.amdhsa_exception_fp_ieee_div_zero 0
		.amdhsa_exception_fp_ieee_overflow 0
		.amdhsa_exception_fp_ieee_underflow 0
		.amdhsa_exception_fp_ieee_inexact 0
		.amdhsa_exception_int_div_zero 0
	.end_amdhsa_kernel
	.section	.text._ZN9rocsparseL6kernelILi1024ELi1EdiiEEvbbbT3_PS1_NS_15floating_traitsIT1_E6data_tES1_T2_PKS7_S9_PKS1_PKS4_21rocsparse_index_base_S9_S9_SB_PS4_SF_SE_S9_S9_SB_SF_SF_SE_SF_SF_PS6_SG_PKS6_,"axG",@progbits,_ZN9rocsparseL6kernelILi1024ELi1EdiiEEvbbbT3_PS1_NS_15floating_traitsIT1_E6data_tES1_T2_PKS7_S9_PKS1_PKS4_21rocsparse_index_base_S9_S9_SB_PS4_SF_SE_S9_S9_SB_SF_SF_SE_SF_SF_PS6_SG_PKS6_,comdat
.Lfunc_end21:
	.size	_ZN9rocsparseL6kernelILi1024ELi1EdiiEEvbbbT3_PS1_NS_15floating_traitsIT1_E6data_tES1_T2_PKS7_S9_PKS1_PKS4_21rocsparse_index_base_S9_S9_SB_PS4_SF_SE_S9_S9_SB_SF_SF_SE_SF_SF_PS6_SG_PKS6_, .Lfunc_end21-_ZN9rocsparseL6kernelILi1024ELi1EdiiEEvbbbT3_PS1_NS_15floating_traitsIT1_E6data_tES1_T2_PKS7_S9_PKS1_PKS4_21rocsparse_index_base_S9_S9_SB_PS4_SF_SE_S9_S9_SB_SF_SF_SE_SF_SF_PS6_SG_PKS6_
                                        ; -- End function
	.set _ZN9rocsparseL6kernelILi1024ELi1EdiiEEvbbbT3_PS1_NS_15floating_traitsIT1_E6data_tES1_T2_PKS7_S9_PKS1_PKS4_21rocsparse_index_base_S9_S9_SB_PS4_SF_SE_S9_S9_SB_SF_SF_SE_SF_SF_PS6_SG_PKS6_.num_vgpr, 41
	.set _ZN9rocsparseL6kernelILi1024ELi1EdiiEEvbbbT3_PS1_NS_15floating_traitsIT1_E6data_tES1_T2_PKS7_S9_PKS1_PKS4_21rocsparse_index_base_S9_S9_SB_PS4_SF_SE_S9_S9_SB_SF_SF_SE_SF_SF_PS6_SG_PKS6_.num_agpr, 0
	.set _ZN9rocsparseL6kernelILi1024ELi1EdiiEEvbbbT3_PS1_NS_15floating_traitsIT1_E6data_tES1_T2_PKS7_S9_PKS1_PKS4_21rocsparse_index_base_S9_S9_SB_PS4_SF_SE_S9_S9_SB_SF_SF_SE_SF_SF_PS6_SG_PKS6_.numbered_sgpr, 96
	.set _ZN9rocsparseL6kernelILi1024ELi1EdiiEEvbbbT3_PS1_NS_15floating_traitsIT1_E6data_tES1_T2_PKS7_S9_PKS1_PKS4_21rocsparse_index_base_S9_S9_SB_PS4_SF_SE_S9_S9_SB_SF_SF_SE_SF_SF_PS6_SG_PKS6_.num_named_barrier, 0
	.set _ZN9rocsparseL6kernelILi1024ELi1EdiiEEvbbbT3_PS1_NS_15floating_traitsIT1_E6data_tES1_T2_PKS7_S9_PKS1_PKS4_21rocsparse_index_base_S9_S9_SB_PS4_SF_SE_S9_S9_SB_SF_SF_SE_SF_SF_PS6_SG_PKS6_.private_seg_size, 0
	.set _ZN9rocsparseL6kernelILi1024ELi1EdiiEEvbbbT3_PS1_NS_15floating_traitsIT1_E6data_tES1_T2_PKS7_S9_PKS1_PKS4_21rocsparse_index_base_S9_S9_SB_PS4_SF_SE_S9_S9_SB_SF_SF_SE_SF_SF_PS6_SG_PKS6_.uses_vcc, 1
	.set _ZN9rocsparseL6kernelILi1024ELi1EdiiEEvbbbT3_PS1_NS_15floating_traitsIT1_E6data_tES1_T2_PKS7_S9_PKS1_PKS4_21rocsparse_index_base_S9_S9_SB_PS4_SF_SE_S9_S9_SB_SF_SF_SE_SF_SF_PS6_SG_PKS6_.uses_flat_scratch, 0
	.set _ZN9rocsparseL6kernelILi1024ELi1EdiiEEvbbbT3_PS1_NS_15floating_traitsIT1_E6data_tES1_T2_PKS7_S9_PKS1_PKS4_21rocsparse_index_base_S9_S9_SB_PS4_SF_SE_S9_S9_SB_SF_SF_SE_SF_SF_PS6_SG_PKS6_.has_dyn_sized_stack, 0
	.set _ZN9rocsparseL6kernelILi1024ELi1EdiiEEvbbbT3_PS1_NS_15floating_traitsIT1_E6data_tES1_T2_PKS7_S9_PKS1_PKS4_21rocsparse_index_base_S9_S9_SB_PS4_SF_SE_S9_S9_SB_SF_SF_SE_SF_SF_PS6_SG_PKS6_.has_recursion, 0
	.set _ZN9rocsparseL6kernelILi1024ELi1EdiiEEvbbbT3_PS1_NS_15floating_traitsIT1_E6data_tES1_T2_PKS7_S9_PKS1_PKS4_21rocsparse_index_base_S9_S9_SB_PS4_SF_SE_S9_S9_SB_SF_SF_SE_SF_SF_PS6_SG_PKS6_.has_indirect_call, 0
	.section	.AMDGPU.csdata,"",@progbits
; Kernel info:
; codeLenInByte = 6068
; TotalNumSgprs: 100
; NumVgprs: 41
; ScratchSize: 0
; MemoryBound: 1
; FloatMode: 240
; IeeeMode: 1
; LDSByteSize: 12288 bytes/workgroup (compile time only)
; SGPRBlocks: 12
; VGPRBlocks: 10
; NumSGPRsForWavesPerEU: 100
; NumVGPRsForWavesPerEU: 41
; Occupancy: 5
; WaveLimiterHint : 1
; COMPUTE_PGM_RSRC2:SCRATCH_EN: 0
; COMPUTE_PGM_RSRC2:USER_SGPR: 6
; COMPUTE_PGM_RSRC2:TRAP_HANDLER: 0
; COMPUTE_PGM_RSRC2:TGID_X_EN: 1
; COMPUTE_PGM_RSRC2:TGID_Y_EN: 0
; COMPUTE_PGM_RSRC2:TGID_Z_EN: 0
; COMPUTE_PGM_RSRC2:TIDIG_COMP_CNT: 0
	.section	.text._ZN9rocsparseL6kernelILi1024ELi2EdiiEEvbbbT3_PS1_NS_15floating_traitsIT1_E6data_tES1_T2_PKS7_S9_PKS1_PKS4_21rocsparse_index_base_S9_S9_SB_PS4_SF_SE_S9_S9_SB_SF_SF_SE_SF_SF_PS6_SG_PKS6_,"axG",@progbits,_ZN9rocsparseL6kernelILi1024ELi2EdiiEEvbbbT3_PS1_NS_15floating_traitsIT1_E6data_tES1_T2_PKS7_S9_PKS1_PKS4_21rocsparse_index_base_S9_S9_SB_PS4_SF_SE_S9_S9_SB_SF_SF_SE_SF_SF_PS6_SG_PKS6_,comdat
	.globl	_ZN9rocsparseL6kernelILi1024ELi2EdiiEEvbbbT3_PS1_NS_15floating_traitsIT1_E6data_tES1_T2_PKS7_S9_PKS1_PKS4_21rocsparse_index_base_S9_S9_SB_PS4_SF_SE_S9_S9_SB_SF_SF_SE_SF_SF_PS6_SG_PKS6_ ; -- Begin function _ZN9rocsparseL6kernelILi1024ELi2EdiiEEvbbbT3_PS1_NS_15floating_traitsIT1_E6data_tES1_T2_PKS7_S9_PKS1_PKS4_21rocsparse_index_base_S9_S9_SB_PS4_SF_SE_S9_S9_SB_SF_SF_SE_SF_SF_PS6_SG_PKS6_
	.p2align	8
	.type	_ZN9rocsparseL6kernelILi1024ELi2EdiiEEvbbbT3_PS1_NS_15floating_traitsIT1_E6data_tES1_T2_PKS7_S9_PKS1_PKS4_21rocsparse_index_base_S9_S9_SB_PS4_SF_SE_S9_S9_SB_SF_SF_SE_SF_SF_PS6_SG_PKS6_,@function
_ZN9rocsparseL6kernelILi1024ELi2EdiiEEvbbbT3_PS1_NS_15floating_traitsIT1_E6data_tES1_T2_PKS7_S9_PKS1_PKS4_21rocsparse_index_base_S9_S9_SB_PS4_SF_SE_S9_S9_SB_SF_SF_SE_SF_SF_PS6_SG_PKS6_: ; @_ZN9rocsparseL6kernelILi1024ELi2EdiiEEvbbbT3_PS1_NS_15floating_traitsIT1_E6data_tES1_T2_PKS7_S9_PKS1_PKS4_21rocsparse_index_base_S9_S9_SB_PS4_SF_SE_S9_S9_SB_SF_SF_SE_SF_SF_PS6_SG_PKS6_
; %bb.0:
	s_load_dword s0, s[4:5], 0x0
	s_load_dwordx2 s[72:73], s[4:5], 0x0
	s_load_dwordx4 s[8:11], s[4:5], 0xb8
	s_load_dwordx4 s[12:15], s[4:5], 0x8
	s_load_dword s33, s[4:5], 0x18
	s_waitcnt lgkmcnt(0)
	s_bitcmp1_b32 s0, 0
	s_cselect_b64 s[70:71], -1, 0
	s_bitcmp1_b32 s0, 8
                                        ; implicit-def: $vgpr46 : SGPR spill to VGPR lane
	s_cselect_b64 s[68:69], -1, 0
	s_bitcmp1_b32 s72, 16
	v_mov_b32_e32 v3, 0
	v_writelane_b32 v46, s12, 0
	s_cselect_b64 s[34:35], -1, 0
	v_lshrrev_b32_e32 v26, 1, v0
	s_lshl_b32 s0, s6, 10
	v_lshlrev_b32_e32 v29, 3, v0
	v_mov_b32_e32 v4, v3
	v_writelane_b32 v46, s13, 1
	v_or_b32_e32 v28, s0, v26
	ds_write_b64 v29, v[3:4]
	s_cmp_gt_i32 s73, 0
	v_mov_b32_e32 v4, 0
	v_mov_b32_e32 v1, 0
	v_writelane_b32 v46, s14, 2
	v_and_b32_e32 v27, 1, v0
	s_mov_b32 s72, 0
	v_cmp_gt_i32_e32 vcc, s33, v28
	s_cselect_b64 s[2:3], -1, 0
	v_mov_b32_e32 v5, 0
	v_mov_b32_e32 v2, 0
	v_writelane_b32 v46, s15, 3
	s_waitcnt lgkmcnt(0)
	s_barrier
	s_and_b64 s[2:3], s[2:3], vcc
	s_mov_b64 s[6:7], exec
	v_writelane_b32 v46, s6, 4
	s_and_b64 s[2:3], s[6:7], s[2:3]
	v_writelane_b32 v46, s7, 5
	s_mov_b64 exec, s[2:3]
	s_cbranch_execz .LBB22_152
; %bb.1:
	s_load_dwordx2 s[2:3], s[4:5], 0xc8
	v_writelane_b32 v46, s8, 6
	v_writelane_b32 v46, s9, 7
	;; [unrolled: 1-line block ×4, first 2 shown]
	s_waitcnt lgkmcnt(0)
	v_writelane_b32 v46, s2, 10
	v_writelane_b32 v46, s3, 11
	s_xor_b64 s[2:3], s[68:69], -1
	s_load_dwordx4 s[64:67], s[4:5], 0xa8
	s_load_dwordx8 s[36:43], s[4:5], 0x78
	s_load_dwordx8 s[44:51], s[4:5], 0x48
	;; [unrolled: 1-line block ×3, first 2 shown]
	v_writelane_b32 v46, s2, 12
	s_load_dword s6, s[4:5], 0x40
	s_load_dwordx2 s[80:81], s[4:5], 0x68
	s_load_dword s7, s[4:5], 0x70
	s_load_dwordx2 s[82:83], s[4:5], 0x98
	s_nop 0
	s_load_dword s4, s[4:5], 0xa0
	s_add_i32 s5, s0, 0x400
	v_writelane_b32 v46, s3, 13
	v_cmp_gt_u32_e64 s[0:1], s5, v28
	v_writelane_b32 v46, s0, 14
	v_writelane_b32 v46, s1, 15
	v_cmp_ne_u32_e64 s[0:1], 0, v27
	v_writelane_b32 v46, s0, 16
	v_writelane_b32 v46, s1, 17
	s_movk_i32 s0, 0x100
	v_cmp_gt_u32_e64 s[0:1], s0, v0
	v_writelane_b32 v46, s0, 18
	v_writelane_b32 v46, s1, 19
	s_movk_i32 s0, 0x80
	v_cmp_gt_u32_e64 s[0:1], s0, v0
	v_writelane_b32 v46, s0, 20
	v_writelane_b32 v46, s1, 21
	s_and_b64 s[0:1], s[68:69], s[34:35]
	s_xor_b64 s[0:1], s[0:1], -1
	v_mov_b32_e32 v1, 0
	v_mov_b32_e32 v4, 0
	s_waitcnt lgkmcnt(0)
	v_subrev_u32_e32 v30, s6, v27
	v_cmp_eq_u32_e64 s[2:3], 0, v27
	v_lshlrev_b32_e32 v31, 3, v26
	v_cmp_gt_u32_e64 s[10:11], 64, v0
	v_cmp_gt_u32_e64 s[12:13], 32, v0
	;; [unrolled: 1-line block ×6, first 2 shown]
	v_cmp_eq_u32_e64 s[22:23], 0, v0
	v_subrev_u32_e32 v32, s7, v27
	v_subrev_u32_e32 v33, s4, v27
	v_writelane_b32 v46, s0, 22
	v_mov_b32_e32 v2, 0
	s_mov_b64 s[86:87], 0
	v_mov_b32_e32 v7, 0
	v_mov_b32_e32 v5, 0
	s_movk_i32 s8, 0x1f8
	v_writelane_b32 v46, s1, 23
	s_branch .LBB22_3
.LBB22_2:                               ;   in Loop: Header=BB22_3 Depth=1
	s_or_b64 exec, exec, s[0:1]
	s_and_b64 s[0:1], exec, s[26:27]
	s_or_b64 s[86:87], s[0:1], s[86:87]
	s_andn2_b64 exec, exec, s[86:87]
	s_cbranch_execz .LBB22_151
.LBB22_3:                               ; =>This Loop Header: Depth=1
                                        ;     Child Loop BB22_7 Depth 2
                                        ;       Child Loop BB22_12 Depth 3
                                        ;         Child Loop BB22_16 Depth 4
                                        ;         Child Loop BB22_37 Depth 4
	;; [unrolled: 1-line block ×5, first 2 shown]
                                        ;     Child Loop BB22_130 Depth 2
                                        ;       Child Loop BB22_133 Depth 3
                                        ;       Child Loop BB22_136 Depth 3
	s_mov_b32 s0, 0
	v_cndmask_b32_e64 v2, v2, 0, s[68:69]
	v_cndmask_b32_e64 v1, v1, 0, s[68:69]
	;; [unrolled: 1-line block ×4, first 2 shown]
	s_mov_b64 s[88:89], -1
	s_branch .LBB22_7
.LBB22_4:                               ;   in Loop: Header=BB22_7 Depth=2
	s_or_b64 exec, exec, s[94:95]
.LBB22_5:                               ;   in Loop: Header=BB22_7 Depth=2
	s_or_b64 exec, exec, s[92:93]
.LBB22_6:                               ;   in Loop: Header=BB22_7 Depth=2
	s_or_b64 exec, exec, s[90:91]
	s_xor_b64 s[24:25], s[88:89], -1
	s_movk_i32 s0, 0x200
	s_mov_b64 s[88:89], 0
	s_and_b64 vcc, exec, s[24:25]
	s_cbranch_vccnz .LBB22_83
.LBB22_7:                               ;   Parent Loop BB22_3 Depth=1
                                        ; =>  This Loop Header: Depth=2
                                        ;       Child Loop BB22_12 Depth 3
                                        ;         Child Loop BB22_16 Depth 4
                                        ;         Child Loop BB22_37 Depth 4
	;; [unrolled: 1-line block ×5, first 2 shown]
	v_or_b32_e32 v8, s0, v28
	v_cmp_gt_i32_e32 vcc, s33, v8
	s_and_saveexec_b64 s[90:91], vcc
	s_cbranch_execz .LBB22_6
; %bb.8:                                ;   in Loop: Header=BB22_7 Depth=2
	v_ashrrev_i32_e32 v9, 31, v8
	v_lshlrev_b64 v[10:11], 2, v[8:9]
	v_mov_b32_e32 v3, s53
	v_add_co_u32_e32 v12, vcc, s52, v10
	v_addc_co_u32_e32 v13, vcc, v3, v11, vcc
	global_load_dword v3, v[12:13], off
	v_mov_b32_e32 v6, s55
	v_add_co_u32_e32 v12, vcc, s54, v10
	v_addc_co_u32_e32 v13, vcc, v6, v11, vcc
	global_load_dword v6, v[12:13], off
	s_waitcnt vmcnt(1)
	v_add_u32_e32 v9, v30, v3
	s_waitcnt vmcnt(0)
	v_subrev_u32_e32 v3, s6, v6
	v_cmp_lt_i32_e32 vcc, v9, v3
	s_and_saveexec_b64 s[92:93], vcc
	s_cbranch_execz .LBB22_5
; %bb.9:                                ;   in Loop: Header=BB22_7 Depth=2
	v_mov_b32_e32 v6, s47
	v_add_co_u32_e32 v12, vcc, s46, v10
	v_addc_co_u32_e32 v13, vcc, v6, v11, vcc
	v_mov_b32_e32 v6, s45
	v_add_co_u32_e32 v10, vcc, s44, v10
	v_addc_co_u32_e32 v11, vcc, v6, v11, vcc
	global_load_dword v6, v[10:11], off
	s_nop 0
	global_load_dword v10, v[12:13], off
	v_mov_b32_e32 v17, s49
	v_mov_b32_e32 v18, s51
	s_mov_b64 s[94:95], 0
	s_waitcnt vmcnt(1)
	v_subrev_u32_e32 v11, s7, v6
	v_ashrrev_i32_e32 v12, 31, v11
	v_lshlrev_b64 v[13:14], 2, v[11:12]
	v_lshlrev_b64 v[15:16], 3, v[11:12]
	v_add_co_u32_e32 v35, vcc, s48, v13
	v_addc_co_u32_e32 v36, vcc, v17, v14, vcc
	s_waitcnt vmcnt(0)
	v_sub_u32_e32 v34, v10, v6
	v_add_co_u32_e32 v37, vcc, s50, v15
	v_cmp_lt_i32_e64 s[24:25], 0, v34
	v_addc_co_u32_e32 v38, vcc, v18, v16, vcc
	s_branch .LBB22_12
.LBB22_10:                              ;   in Loop: Header=BB22_12 Depth=3
	s_or_b64 exec, exec, s[0:1]
.LBB22_11:                              ;   in Loop: Header=BB22_12 Depth=3
	s_or_b64 exec, exec, s[26:27]
	v_add_u32_e32 v9, 2, v9
	v_cmp_ge_i32_e32 vcc, v9, v3
	s_or_b64 s[94:95], vcc, s[94:95]
	s_andn2_b64 exec, exec, s[94:95]
	s_cbranch_execz .LBB22_4
.LBB22_12:                              ;   Parent Loop BB22_3 Depth=1
                                        ;     Parent Loop BB22_7 Depth=2
                                        ; =>    This Loop Header: Depth=3
                                        ;         Child Loop BB22_16 Depth 4
                                        ;         Child Loop BB22_37 Depth 4
	;; [unrolled: 1-line block ×5, first 2 shown]
	v_ashrrev_i32_e32 v10, 31, v9
	v_lshlrev_b64 v[12:13], 2, v[9:10]
	v_mov_b32_e32 v6, s57
	v_add_co_u32_e32 v12, vcc, s56, v12
	v_addc_co_u32_e32 v13, vcc, v6, v13, vcc
	global_load_dword v6, v[12:13], off
	v_mov_b32_e32 v17, s37
	v_mov_b32_e32 v18, s39
	v_mov_b32_e32 v19, 0
	s_waitcnt vmcnt(0)
	v_subrev_u32_e32 v12, s6, v6
	v_ashrrev_i32_e32 v13, 31, v12
	v_lshlrev_b64 v[14:15], 2, v[12:13]
	v_add_co_u32_e32 v16, vcc, s36, v14
	v_addc_co_u32_e32 v17, vcc, v17, v15, vcc
	v_add_co_u32_e32 v14, vcc, s38, v14
	v_addc_co_u32_e32 v15, vcc, v18, v15, vcc
	global_load_dword v6, v[16:17], off
	s_nop 0
	global_load_dword v16, v[14:15], off
	v_mov_b32_e32 v14, 0
	v_mov_b32_e32 v15, 0
	s_waitcnt vmcnt(1)
	v_subrev_u32_e32 v18, s4, v6
	s_waitcnt vmcnt(0)
	v_sub_u32_e32 v39, v16, v6
	v_mov_b32_e32 v6, v19
	s_and_saveexec_b64 s[26:27], s[24:25]
	s_cbranch_execz .LBB22_20
; %bb.13:                               ;   in Loop: Header=BB22_12 Depth=3
	v_ashrrev_i32_e32 v19, 31, v18
	v_lshlrev_b64 v[14:15], 2, v[18:19]
	v_mov_b32_e32 v6, s41
	v_add_co_u32_e32 v16, vcc, s40, v14
	v_addc_co_u32_e32 v17, vcc, v6, v15, vcc
	v_lshlrev_b64 v[14:15], 3, v[18:19]
	v_mov_b32_e32 v6, s43
	v_add_co_u32_e32 v21, vcc, s42, v14
	v_addc_co_u32_e32 v22, vcc, v6, v15, vcc
	v_mov_b32_e32 v14, 0
	v_mov_b32_e32 v6, 0
	;; [unrolled: 1-line block ×3, first 2 shown]
	s_mov_b64 s[60:61], 0
	v_mov_b32_e32 v19, v6
                                        ; implicit-def: $sgpr62_sgpr63
	s_branch .LBB22_16
.LBB22_14:                              ;   in Loop: Header=BB22_16 Depth=4
	s_or_b64 exec, exec, s[30:31]
	v_cmp_le_i32_e32 vcc, v23, v24
	v_addc_co_u32_e32 v6, vcc, 0, v6, vcc
	v_cmp_ge_i32_e32 vcc, v23, v24
	v_addc_co_u32_e32 v19, vcc, 0, v19, vcc
	v_cmp_ge_i32_e32 vcc, v6, v34
	s_andn2_b64 s[0:1], s[62:63], exec
	s_and_b64 s[30:31], vcc, exec
	s_or_b64 s[62:63], s[0:1], s[30:31]
.LBB22_15:                              ;   in Loop: Header=BB22_16 Depth=4
	s_or_b64 exec, exec, s[28:29]
	s_and_b64 s[0:1], exec, s[62:63]
	s_or_b64 s[60:61], s[0:1], s[60:61]
	s_andn2_b64 exec, exec, s[60:61]
	s_cbranch_execz .LBB22_19
.LBB22_16:                              ;   Parent Loop BB22_3 Depth=1
                                        ;     Parent Loop BB22_7 Depth=2
                                        ;       Parent Loop BB22_12 Depth=3
                                        ; =>      This Inner Loop Header: Depth=4
	v_cmp_lt_i32_e32 vcc, v19, v39
	s_or_b64 s[62:63], s[62:63], exec
	s_and_saveexec_b64 s[28:29], vcc
	s_cbranch_execz .LBB22_15
; %bb.17:                               ;   in Loop: Header=BB22_16 Depth=4
	v_lshlrev_b64 v[23:24], 2, v[6:7]
	v_mov_b32_e32 v20, v7
	v_add_co_u32_e32 v23, vcc, v35, v23
	v_addc_co_u32_e32 v24, vcc, v36, v24, vcc
	global_load_dword v25, v[23:24], off
	v_lshlrev_b64 v[23:24], 2, v[19:20]
	v_add_co_u32_e32 v23, vcc, v16, v23
	v_addc_co_u32_e32 v24, vcc, v17, v24, vcc
	global_load_dword v24, v[23:24], off
	s_waitcnt vmcnt(1)
	v_subrev_u32_e32 v23, s7, v25
	s_waitcnt vmcnt(0)
	v_subrev_u32_e32 v24, s4, v24
	v_cmp_eq_u32_e32 vcc, v23, v24
	s_and_saveexec_b64 s[30:31], vcc
	s_cbranch_execz .LBB22_14
; %bb.18:                               ;   in Loop: Header=BB22_16 Depth=4
	v_lshlrev_b64 v[40:41], 3, v[6:7]
	v_lshlrev_b64 v[42:43], 3, v[19:20]
	v_add_co_u32_e32 v40, vcc, v37, v40
	v_addc_co_u32_e32 v41, vcc, v38, v41, vcc
	v_add_co_u32_e32 v42, vcc, v21, v42
	v_addc_co_u32_e32 v43, vcc, v22, v43, vcc
	global_load_dwordx2 v[40:41], v[40:41], off
	s_nop 0
	global_load_dwordx2 v[42:43], v[42:43], off
	s_waitcnt vmcnt(0)
	v_fma_f64 v[14:15], v[40:41], v[42:43], v[14:15]
	s_branch .LBB22_14
.LBB22_19:                              ;   in Loop: Header=BB22_12 Depth=3
	s_or_b64 exec, exec, s[60:61]
.LBB22_20:                              ;   in Loop: Header=BB22_12 Depth=3
	s_or_b64 exec, exec, s[26:27]
	v_lshlrev_b64 v[16:17], 3, v[9:10]
	v_mov_b32_e32 v10, s59
	v_add_co_u32_e32 v16, vcc, s58, v16
	v_addc_co_u32_e32 v17, vcc, v10, v17, vcc
	global_load_dwordx2 v[16:17], v[16:17], off
	v_cmp_le_i32_e64 s[26:27], v8, v12
	v_cmp_gt_i32_e32 vcc, v8, v12
	s_waitcnt vmcnt(0)
	v_add_f64 v[20:21], v[16:17], -v[14:15]
	s_and_saveexec_b64 s[28:29], vcc
	s_cbranch_execnz .LBB22_23
; %bb.21:                               ;   in Loop: Header=BB22_12 Depth=3
	s_or_b64 exec, exec, s[28:29]
	v_cmp_class_f64_e64 s[74:75], v[20:21], s8
	s_and_saveexec_b64 s[78:79], s[74:75]
	s_cbranch_execnz .LBB22_26
.LBB22_22:                              ;   in Loop: Header=BB22_12 Depth=3
	s_or_b64 exec, exec, s[78:79]
	s_and_b64 s[0:1], s[34:35], s[74:75]
	s_and_saveexec_b64 s[26:27], s[0:1]
	s_cbranch_execz .LBB22_11
	s_branch .LBB22_61
.LBB22_23:                              ;   in Loop: Header=BB22_12 Depth=3
	v_lshlrev_b64 v[22:23], 3, v[12:13]
	v_mov_b32_e32 v10, s65
	v_add_co_u32_e32 v22, vcc, s64, v22
	v_addc_co_u32_e32 v23, vcc, v10, v23, vcc
	global_load_dwordx2 v[22:23], v[22:23], off
	v_mov_b32_e32 v24, 0
	v_mov_b32_e32 v25, 0
	s_waitcnt vmcnt(0)
	v_cmp_lg_f64_e32 vcc, 0, v[22:23]
	s_and_saveexec_b64 s[30:31], vcc
	s_cbranch_execz .LBB22_25
; %bb.24:                               ;   in Loop: Header=BB22_12 Depth=3
	v_div_scale_f64 v[24:25], s[0:1], v[22:23], v[22:23], v[20:21]
	v_div_scale_f64 v[44:45], vcc, v[20:21], v[22:23], v[20:21]
	v_rcp_f64_e32 v[40:41], v[24:25]
	v_fma_f64 v[42:43], -v[24:25], v[40:41], 1.0
	v_fma_f64 v[40:41], v[40:41], v[42:43], v[40:41]
	v_fma_f64 v[42:43], -v[24:25], v[40:41], 1.0
	v_fma_f64 v[40:41], v[40:41], v[42:43], v[40:41]
	v_mul_f64 v[42:43], v[44:45], v[40:41]
	v_fma_f64 v[24:25], -v[24:25], v[42:43], v[44:45]
	v_div_fmas_f64 v[24:25], v[24:25], v[40:41], v[42:43]
	v_div_fixup_f64 v[24:25], v[24:25], v[22:23], v[20:21]
.LBB22_25:                              ;   in Loop: Header=BB22_12 Depth=3
	s_or_b64 exec, exec, s[30:31]
	v_mov_b32_e32 v20, v24
	v_mov_b32_e32 v21, v25
	s_or_b64 exec, exec, s[28:29]
	v_cmp_class_f64_e64 s[74:75], v[20:21], s8
	s_and_saveexec_b64 s[78:79], s[74:75]
	s_cbranch_execz .LBB22_22
.LBB22_26:                              ;   in Loop: Header=BB22_12 Depth=3
	s_and_saveexec_b64 s[0:1], s[26:27]
	s_xor_b64 s[26:27], exec, s[0:1]
	s_cbranch_execz .LBB22_47
; %bb.27:                               ;   in Loop: Header=BB22_12 Depth=3
	v_cmp_ge_i32_e32 vcc, v8, v12
	s_and_saveexec_b64 s[0:1], vcc
	s_xor_b64 s[28:29], exec, s[0:1]
	s_cbranch_execz .LBB22_33
; %bb.28:                               ;   in Loop: Header=BB22_12 Depth=3
	v_lshlrev_b64 v[22:23], 3, v[12:13]
	v_mov_b32_e32 v10, s67
	v_add_co_u32_e32 v24, vcc, s66, v22
	v_addc_co_u32_e32 v25, vcc, v10, v23, vcc
	s_andn2_b64 vcc, exec, s[68:69]
	global_store_dwordx2 v[24:25], v[20:21], off
	s_cbranch_vccnz .LBB22_32
; %bb.29:                               ;   in Loop: Header=BB22_12 Depth=3
	v_mov_b32_e32 v10, s65
	v_add_co_u32_e32 v22, vcc, s64, v22
	v_addc_co_u32_e32 v23, vcc, v10, v23, vcc
	global_load_dwordx2 v[22:23], v[22:23], off
	s_waitcnt vmcnt(0)
	v_add_f64 v[20:21], v[22:23], -v[20:21]
	v_cmp_class_f64_e64 s[30:31], v[20:21], s8
	s_and_saveexec_b64 s[0:1], s[30:31]
	s_cbranch_execz .LBB22_31
; %bb.30:                               ;   in Loop: Header=BB22_12 Depth=3
	v_cmp_lt_f64_e64 vcc, v[1:2], |v[20:21]|
	v_and_b32_e32 v10, 0x7fffffff, v21
	v_cndmask_b32_e32 v2, v2, v10, vcc
	v_cndmask_b32_e32 v1, v1, v20, vcc
.LBB22_31:                              ;   in Loop: Header=BB22_12 Depth=3
	s_or_b64 exec, exec, s[0:1]
.LBB22_32:                              ;   in Loop: Header=BB22_12 Depth=3
                                        ; implicit-def: $vgpr20_vgpr21
.LBB22_33:                              ;   in Loop: Header=BB22_12 Depth=3
	s_andn2_saveexec_b64 s[84:85], s[28:29]
	s_cbranch_execz .LBB22_46
; %bb.34:                               ;   in Loop: Header=BB22_12 Depth=3
	v_cmp_lt_i32_e32 vcc, v19, v39
	s_and_saveexec_b64 s[60:61], vcc
	s_cbranch_execz .LBB22_45
; %bb.35:                               ;   in Loop: Header=BB22_12 Depth=3
	s_mov_b64 s[62:63], 0
	v_mov_b32_e32 v10, v19
                                        ; implicit-def: $sgpr28_sgpr29
                                        ; implicit-def: $sgpr76_sgpr77
                                        ; implicit-def: $sgpr30_sgpr31
	s_branch .LBB22_37
.LBB22_36:                              ;   in Loop: Header=BB22_37 Depth=4
	s_or_b64 exec, exec, s[0:1]
	s_and_b64 s[0:1], exec, s[76:77]
	s_or_b64 s[62:63], s[0:1], s[62:63]
	s_andn2_b64 s[0:1], s[28:29], exec
	s_and_b64 s[28:29], s[30:31], exec
	s_or_b64 s[28:29], s[0:1], s[28:29]
	s_andn2_b64 exec, exec, s[62:63]
	s_cbranch_execz .LBB22_39
.LBB22_37:                              ;   Parent Loop BB22_3 Depth=1
                                        ;     Parent Loop BB22_7 Depth=2
                                        ;       Parent Loop BB22_12 Depth=3
                                        ; =>      This Inner Loop Header: Depth=4
	v_add_u32_e32 v22, v18, v10
	v_ashrrev_i32_e32 v23, 31, v22
	v_lshlrev_b64 v[24:25], 2, v[22:23]
	v_mov_b32_e32 v40, s41
	v_add_co_u32_e32 v24, vcc, s40, v24
	v_addc_co_u32_e32 v25, vcc, v40, v25, vcc
	global_load_dword v24, v[24:25], off
	s_or_b64 s[30:31], s[30:31], exec
	s_or_b64 s[76:77], s[76:77], exec
	s_waitcnt vmcnt(0)
	v_subrev_u32_e32 v24, s4, v24
	v_cmp_ne_u32_e32 vcc, v24, v8
	s_and_saveexec_b64 s[0:1], vcc
	s_cbranch_execz .LBB22_36
; %bb.38:                               ;   in Loop: Header=BB22_37 Depth=4
	v_add_u32_e32 v10, 1, v10
	v_cmp_ge_i32_e32 vcc, v10, v39
	s_andn2_b64 s[76:77], s[76:77], exec
	s_and_b64 vcc, vcc, exec
	s_andn2_b64 s[30:31], s[30:31], exec
	s_or_b64 s[76:77], s[76:77], vcc
	s_branch .LBB22_36
.LBB22_39:                              ;   in Loop: Header=BB22_12 Depth=3
	s_or_b64 exec, exec, s[62:63]
	s_and_saveexec_b64 s[0:1], s[28:29]
	s_xor_b64 s[28:29], exec, s[0:1]
	s_cbranch_execz .LBB22_44
; %bb.40:                               ;   in Loop: Header=BB22_12 Depth=3
	v_lshlrev_b64 v[22:23], 3, v[22:23]
	v_mov_b32_e32 v10, s83
	v_add_co_u32_e32 v24, vcc, s82, v22
	v_addc_co_u32_e32 v25, vcc, v10, v23, vcc
	s_andn2_b64 vcc, exec, s[68:69]
	global_store_dwordx2 v[24:25], v[20:21], off
	s_cbranch_vccnz .LBB22_44
; %bb.41:                               ;   in Loop: Header=BB22_12 Depth=3
	v_mov_b32_e32 v10, s43
	v_add_co_u32_e32 v22, vcc, s42, v22
	v_addc_co_u32_e32 v23, vcc, v10, v23, vcc
	global_load_dwordx2 v[22:23], v[22:23], off
	s_waitcnt vmcnt(0)
	v_add_f64 v[20:21], v[22:23], -v[20:21]
	v_cmp_class_f64_e64 s[30:31], v[20:21], s8
	s_and_saveexec_b64 s[0:1], s[30:31]
	s_cbranch_execz .LBB22_43
; %bb.42:                               ;   in Loop: Header=BB22_12 Depth=3
	v_cmp_lt_f64_e64 vcc, v[1:2], |v[20:21]|
	v_and_b32_e32 v10, 0x7fffffff, v21
	v_cndmask_b32_e32 v2, v2, v10, vcc
	v_cndmask_b32_e32 v1, v1, v20, vcc
.LBB22_43:                              ;   in Loop: Header=BB22_12 Depth=3
	s_or_b64 exec, exec, s[0:1]
.LBB22_44:                              ;   in Loop: Header=BB22_12 Depth=3
	s_or_b64 exec, exec, s[28:29]
.LBB22_45:                              ;   in Loop: Header=BB22_12 Depth=3
	s_or_b64 exec, exec, s[60:61]
.LBB22_46:                              ;   in Loop: Header=BB22_12 Depth=3
	s_or_b64 exec, exec, s[84:85]
                                        ; implicit-def: $vgpr20_vgpr21
.LBB22_47:                              ;   in Loop: Header=BB22_12 Depth=3
	s_andn2_saveexec_b64 s[26:27], s[26:27]
	s_cbranch_execz .LBB22_60
; %bb.48:                               ;   in Loop: Header=BB22_12 Depth=3
	v_cmp_lt_i32_e32 vcc, v6, v34
	s_and_saveexec_b64 s[84:85], vcc
	s_cbranch_execz .LBB22_59
; %bb.49:                               ;   in Loop: Header=BB22_12 Depth=3
	s_mov_b64 s[60:61], 0
	v_mov_b32_e32 v10, v6
                                        ; implicit-def: $sgpr28_sgpr29
                                        ; implicit-def: $sgpr62_sgpr63
                                        ; implicit-def: $sgpr30_sgpr31
	s_branch .LBB22_51
.LBB22_50:                              ;   in Loop: Header=BB22_51 Depth=4
	s_or_b64 exec, exec, s[76:77]
	s_and_b64 s[0:1], exec, s[62:63]
	s_or_b64 s[60:61], s[0:1], s[60:61]
	s_andn2_b64 s[0:1], s[28:29], exec
	s_and_b64 s[28:29], s[30:31], exec
	s_or_b64 s[28:29], s[0:1], s[28:29]
	s_andn2_b64 exec, exec, s[60:61]
	s_cbranch_execz .LBB22_53
.LBB22_51:                              ;   Parent Loop BB22_3 Depth=1
                                        ;     Parent Loop BB22_7 Depth=2
                                        ;       Parent Loop BB22_12 Depth=3
                                        ; =>      This Inner Loop Header: Depth=4
	v_add_u32_e32 v22, v11, v10
	v_ashrrev_i32_e32 v23, 31, v22
	v_lshlrev_b64 v[24:25], 2, v[22:23]
	v_mov_b32_e32 v40, s49
	v_add_co_u32_e32 v24, vcc, s48, v24
	v_addc_co_u32_e32 v25, vcc, v40, v25, vcc
	global_load_dword v24, v[24:25], off
	s_or_b64 s[30:31], s[30:31], exec
	s_or_b64 s[62:63], s[62:63], exec
	s_waitcnt vmcnt(0)
	v_subrev_u32_e32 v24, s7, v24
	v_cmp_ne_u32_e32 vcc, v24, v12
	s_and_saveexec_b64 s[76:77], vcc
	s_cbranch_execz .LBB22_50
; %bb.52:                               ;   in Loop: Header=BB22_51 Depth=4
	v_add_u32_e32 v10, 1, v10
	v_cmp_ge_i32_e32 vcc, v10, v34
	s_andn2_b64 s[0:1], s[62:63], exec
	s_and_b64 s[62:63], vcc, exec
	s_andn2_b64 s[30:31], s[30:31], exec
	s_or_b64 s[62:63], s[0:1], s[62:63]
	s_branch .LBB22_50
.LBB22_53:                              ;   in Loop: Header=BB22_12 Depth=3
	s_or_b64 exec, exec, s[60:61]
	s_and_saveexec_b64 s[0:1], s[28:29]
	s_xor_b64 s[28:29], exec, s[0:1]
	s_cbranch_execz .LBB22_58
; %bb.54:                               ;   in Loop: Header=BB22_12 Depth=3
	v_lshlrev_b64 v[22:23], 3, v[22:23]
	v_mov_b32_e32 v10, s81
	v_add_co_u32_e32 v24, vcc, s80, v22
	v_addc_co_u32_e32 v25, vcc, v10, v23, vcc
	s_andn2_b64 vcc, exec, s[68:69]
	global_store_dwordx2 v[24:25], v[20:21], off
	s_cbranch_vccnz .LBB22_58
; %bb.55:                               ;   in Loop: Header=BB22_12 Depth=3
	v_mov_b32_e32 v10, s51
	v_add_co_u32_e32 v22, vcc, s50, v22
	v_addc_co_u32_e32 v23, vcc, v10, v23, vcc
	global_load_dwordx2 v[22:23], v[22:23], off
	s_waitcnt vmcnt(0)
	v_add_f64 v[20:21], v[22:23], -v[20:21]
	v_cmp_class_f64_e64 s[0:1], v[20:21], s8
	s_and_saveexec_b64 s[30:31], s[0:1]
	s_cbranch_execz .LBB22_57
; %bb.56:                               ;   in Loop: Header=BB22_12 Depth=3
	v_cmp_lt_f64_e64 vcc, v[1:2], |v[20:21]|
	v_and_b32_e32 v10, 0x7fffffff, v21
	v_cndmask_b32_e32 v2, v2, v10, vcc
	v_cndmask_b32_e32 v1, v1, v20, vcc
.LBB22_57:                              ;   in Loop: Header=BB22_12 Depth=3
	s_or_b64 exec, exec, s[30:31]
.LBB22_58:                              ;   in Loop: Header=BB22_12 Depth=3
	s_or_b64 exec, exec, s[28:29]
.LBB22_59:                              ;   in Loop: Header=BB22_12 Depth=3
	s_or_b64 exec, exec, s[84:85]
.LBB22_60:                              ;   in Loop: Header=BB22_12 Depth=3
	s_or_b64 exec, exec, s[26:27]
	s_or_b64 exec, exec, s[78:79]
	s_and_b64 s[0:1], s[34:35], s[74:75]
	s_and_saveexec_b64 s[26:27], s[0:1]
	s_cbranch_execz .LBB22_11
.LBB22_61:                              ;   in Loop: Header=BB22_12 Depth=3
	v_cmp_ge_i32_e32 vcc, v19, v39
	s_and_saveexec_b64 s[0:1], vcc
	s_xor_b64 s[60:61], exec, s[0:1]
	s_cbranch_execnz .LBB22_67
; %bb.62:                               ;   in Loop: Header=BB22_12 Depth=3
	s_andn2_saveexec_b64 s[60:61], s[60:61]
	s_cbranch_execnz .LBB22_76
.LBB22_63:                              ;   in Loop: Header=BB22_12 Depth=3
	s_or_b64 exec, exec, s[60:61]
	v_cmp_eq_u32_e32 vcc, v8, v12
	s_and_saveexec_b64 s[0:1], vcc
	s_cbranch_execz .LBB22_65
.LBB22_64:                              ;   in Loop: Header=BB22_12 Depth=3
	v_lshlrev_b64 v[12:13], 3, v[12:13]
	v_mov_b32_e32 v6, s65
	v_add_co_u32_e32 v12, vcc, s64, v12
	v_addc_co_u32_e32 v13, vcc, v6, v13, vcc
	global_load_dwordx2 v[12:13], v[12:13], off
	s_waitcnt vmcnt(0)
	v_add_f64 v[14:15], v[14:15], v[12:13]
.LBB22_65:                              ;   in Loop: Header=BB22_12 Depth=3
	s_or_b64 exec, exec, s[0:1]
	v_add_f64 v[12:13], v[16:17], -v[14:15]
	v_cmp_class_f64_e64 s[28:29], v[12:13], s8
	s_and_saveexec_b64 s[0:1], s[28:29]
	s_cbranch_execz .LBB22_10
; %bb.66:                               ;   in Loop: Header=BB22_12 Depth=3
	v_cmp_lt_f64_e64 vcc, v[4:5], |v[12:13]|
	v_and_b32_e32 v6, 0x7fffffff, v13
	v_cndmask_b32_e32 v5, v5, v6, vcc
	v_cndmask_b32_e32 v4, v4, v12, vcc
	s_branch .LBB22_10
.LBB22_67:                              ;   in Loop: Header=BB22_12 Depth=3
	v_cmp_lt_i32_e32 vcc, v6, v34
	s_and_saveexec_b64 s[62:63], vcc
	s_cbranch_execz .LBB22_75
; %bb.68:                               ;   in Loop: Header=BB22_12 Depth=3
	s_mov_b64 s[74:75], 0
                                        ; implicit-def: $sgpr28_sgpr29
                                        ; implicit-def: $sgpr76_sgpr77
                                        ; implicit-def: $sgpr30_sgpr31
	s_branch .LBB22_70
.LBB22_69:                              ;   in Loop: Header=BB22_70 Depth=4
	s_or_b64 exec, exec, s[0:1]
	s_and_b64 s[0:1], exec, s[76:77]
	s_or_b64 s[74:75], s[0:1], s[74:75]
	s_andn2_b64 s[0:1], s[28:29], exec
	s_and_b64 s[28:29], s[30:31], exec
	s_or_b64 s[28:29], s[0:1], s[28:29]
	s_andn2_b64 exec, exec, s[74:75]
	s_cbranch_execz .LBB22_72
.LBB22_70:                              ;   Parent Loop BB22_3 Depth=1
                                        ;     Parent Loop BB22_7 Depth=2
                                        ;       Parent Loop BB22_12 Depth=3
                                        ; =>      This Inner Loop Header: Depth=4
	v_add_u32_e32 v18, v11, v6
	v_ashrrev_i32_e32 v19, 31, v18
	v_lshlrev_b64 v[20:21], 2, v[18:19]
	v_mov_b32_e32 v10, s49
	v_add_co_u32_e32 v20, vcc, s48, v20
	v_addc_co_u32_e32 v21, vcc, v10, v21, vcc
	global_load_dword v10, v[20:21], off
	s_or_b64 s[30:31], s[30:31], exec
	s_or_b64 s[76:77], s[76:77], exec
	s_waitcnt vmcnt(0)
	v_subrev_u32_e32 v10, s7, v10
	v_cmp_ne_u32_e32 vcc, v10, v12
	s_and_saveexec_b64 s[0:1], vcc
	s_cbranch_execz .LBB22_69
; %bb.71:                               ;   in Loop: Header=BB22_70 Depth=4
	v_add_u32_e32 v6, 1, v6
	v_cmp_ge_i32_e32 vcc, v6, v34
	s_andn2_b64 s[76:77], s[76:77], exec
	s_and_b64 s[78:79], vcc, exec
	s_andn2_b64 s[30:31], s[30:31], exec
	s_or_b64 s[76:77], s[76:77], s[78:79]
	s_branch .LBB22_69
.LBB22_72:                              ;   in Loop: Header=BB22_12 Depth=3
	s_or_b64 exec, exec, s[74:75]
	s_and_saveexec_b64 s[0:1], s[28:29]
	s_xor_b64 s[28:29], exec, s[0:1]
	s_cbranch_execz .LBB22_74
; %bb.73:                               ;   in Loop: Header=BB22_12 Depth=3
	v_lshlrev_b64 v[18:19], 3, v[18:19]
	v_mov_b32_e32 v6, s51
	v_add_co_u32_e32 v18, vcc, s50, v18
	v_lshlrev_b64 v[20:21], 3, v[12:13]
	v_addc_co_u32_e32 v19, vcc, v6, v19, vcc
	v_mov_b32_e32 v6, s65
	v_add_co_u32_e32 v20, vcc, s64, v20
	v_addc_co_u32_e32 v21, vcc, v6, v21, vcc
	global_load_dwordx2 v[18:19], v[18:19], off
	s_nop 0
	global_load_dwordx2 v[20:21], v[20:21], off
	s_waitcnt vmcnt(0)
	v_fma_f64 v[14:15], v[18:19], v[20:21], v[14:15]
.LBB22_74:                              ;   in Loop: Header=BB22_12 Depth=3
	s_or_b64 exec, exec, s[28:29]
.LBB22_75:                              ;   in Loop: Header=BB22_12 Depth=3
	s_or_b64 exec, exec, s[62:63]
                                        ; implicit-def: $vgpr19
                                        ; implicit-def: $vgpr18
                                        ; implicit-def: $vgpr39
	s_andn2_saveexec_b64 s[60:61], s[60:61]
	s_cbranch_execz .LBB22_63
.LBB22_76:                              ;   in Loop: Header=BB22_12 Depth=3
	s_mov_b64 s[62:63], 0
                                        ; implicit-def: $sgpr28_sgpr29
                                        ; implicit-def: $sgpr74_sgpr75
                                        ; implicit-def: $sgpr30_sgpr31
	s_branch .LBB22_78
.LBB22_77:                              ;   in Loop: Header=BB22_78 Depth=4
	s_or_b64 exec, exec, s[0:1]
	s_and_b64 s[0:1], exec, s[74:75]
	s_or_b64 s[62:63], s[0:1], s[62:63]
	s_andn2_b64 s[0:1], s[28:29], exec
	s_and_b64 s[28:29], s[30:31], exec
	s_or_b64 s[28:29], s[0:1], s[28:29]
	s_andn2_b64 exec, exec, s[62:63]
	s_cbranch_execz .LBB22_80
.LBB22_78:                              ;   Parent Loop BB22_3 Depth=1
                                        ;     Parent Loop BB22_7 Depth=2
                                        ;       Parent Loop BB22_12 Depth=3
                                        ; =>      This Inner Loop Header: Depth=4
	v_add_u32_e32 v20, v18, v19
	v_ashrrev_i32_e32 v21, 31, v20
	v_lshlrev_b64 v[22:23], 2, v[20:21]
	v_mov_b32_e32 v6, s41
	v_add_co_u32_e32 v22, vcc, s40, v22
	v_addc_co_u32_e32 v23, vcc, v6, v23, vcc
	global_load_dword v6, v[22:23], off
	s_or_b64 s[30:31], s[30:31], exec
	s_or_b64 s[74:75], s[74:75], exec
	s_waitcnt vmcnt(0)
	v_subrev_u32_e32 v6, s4, v6
	v_cmp_ne_u32_e32 vcc, v6, v8
	s_and_saveexec_b64 s[0:1], vcc
	s_cbranch_execz .LBB22_77
; %bb.79:                               ;   in Loop: Header=BB22_78 Depth=4
	v_add_u32_e32 v19, 1, v19
	v_cmp_ge_i32_e32 vcc, v19, v39
	s_andn2_b64 s[74:75], s[74:75], exec
	s_and_b64 s[76:77], vcc, exec
	s_andn2_b64 s[30:31], s[30:31], exec
	s_or_b64 s[74:75], s[74:75], s[76:77]
	s_branch .LBB22_77
.LBB22_80:                              ;   in Loop: Header=BB22_12 Depth=3
	s_or_b64 exec, exec, s[62:63]
	s_and_saveexec_b64 s[0:1], s[28:29]
	s_xor_b64 s[0:1], exec, s[0:1]
	s_cbranch_execz .LBB22_82
; %bb.81:                               ;   in Loop: Header=BB22_12 Depth=3
	v_lshlrev_b64 v[18:19], 3, v[20:21]
	v_mov_b32_e32 v6, s43
	v_add_co_u32_e32 v18, vcc, s42, v18
	v_addc_co_u32_e32 v19, vcc, v6, v19, vcc
	global_load_dwordx2 v[18:19], v[18:19], off
	s_waitcnt vmcnt(0)
	v_add_f64 v[14:15], v[14:15], v[18:19]
.LBB22_82:                              ;   in Loop: Header=BB22_12 Depth=3
	s_or_b64 exec, exec, s[0:1]
	s_or_b64 exec, exec, s[60:61]
	v_cmp_eq_u32_e32 vcc, v8, v12
	s_and_saveexec_b64 s[0:1], vcc
	s_cbranch_execnz .LBB22_64
	s_branch .LBB22_65
.LBB22_83:                              ;   in Loop: Header=BB22_3 Depth=1
	s_and_b64 vcc, exec, s[68:69]
	s_cbranch_vccz .LBB22_105
; %bb.84:                               ;   in Loop: Header=BB22_3 Depth=1
	v_mov_b32_dpp v8, v1 row_shr:1 row_mask:0xf bank_mask:0xf
	v_mov_b32_dpp v3, v2 row_shr:1 row_mask:0xf bank_mask:0xf
	s_mov_b64 s[0:1], exec
	v_readlane_b32 s24, v46, 16
	v_readlane_b32 s25, v46, 17
	s_and_b64 s[24:25], s[0:1], s[24:25]
	s_mov_b64 exec, s[24:25]
	s_cbranch_execz .LBB22_86
; %bb.85:                               ;   in Loop: Header=BB22_3 Depth=1
	v_mov_b32_e32 v9, v3
	v_cmp_lt_f64_e32 vcc, v[1:2], v[8:9]
	v_cndmask_b32_e32 v2, v2, v3, vcc
	v_cndmask_b32_e32 v1, v1, v8, vcc
	ds_write_b64 v31, v[1:2]
.LBB22_86:                              ;   in Loop: Header=BB22_3 Depth=1
	s_or_b64 exec, exec, s[0:1]
	s_waitcnt vmcnt(0) lgkmcnt(0)
	s_barrier
	s_mov_b64 s[0:1], exec
	v_readlane_b32 s24, v46, 18
	v_readlane_b32 s25, v46, 19
	s_and_b64 s[24:25], s[0:1], s[24:25]
	s_mov_b64 exec, s[24:25]
	s_cbranch_execz .LBB22_88
; %bb.87:                               ;   in Loop: Header=BB22_3 Depth=1
	ds_read2st64_b64 v[8:11], v29 offset1:4
	s_waitcnt lgkmcnt(0)
	v_cmp_lt_f64_e32 vcc, v[8:9], v[10:11]
	v_cndmask_b32_e32 v2, v9, v11, vcc
	v_cndmask_b32_e32 v1, v8, v10, vcc
	ds_write_b64 v29, v[1:2]
.LBB22_88:                              ;   in Loop: Header=BB22_3 Depth=1
	s_or_b64 exec, exec, s[0:1]
	s_waitcnt lgkmcnt(0)
	s_barrier
	s_mov_b64 s[0:1], exec
	v_readlane_b32 s24, v46, 20
	v_readlane_b32 s25, v46, 21
	s_and_b64 s[24:25], s[0:1], s[24:25]
	s_mov_b64 exec, s[24:25]
	s_cbranch_execz .LBB22_90
; %bb.89:                               ;   in Loop: Header=BB22_3 Depth=1
	ds_read2st64_b64 v[8:11], v29 offset1:2
	s_waitcnt lgkmcnt(0)
	v_cmp_lt_f64_e32 vcc, v[8:9], v[10:11]
	v_cndmask_b32_e32 v2, v9, v11, vcc
	v_cndmask_b32_e32 v1, v8, v10, vcc
	ds_write_b64 v29, v[1:2]
.LBB22_90:                              ;   in Loop: Header=BB22_3 Depth=1
	s_or_b64 exec, exec, s[0:1]
	s_waitcnt lgkmcnt(0)
	s_barrier
	s_and_saveexec_b64 s[0:1], s[10:11]
	s_cbranch_execz .LBB22_92
; %bb.91:                               ;   in Loop: Header=BB22_3 Depth=1
	ds_read2st64_b64 v[8:11], v29 offset1:1
	s_waitcnt lgkmcnt(0)
	v_cmp_lt_f64_e32 vcc, v[8:9], v[10:11]
	v_cndmask_b32_e32 v2, v9, v11, vcc
	v_cndmask_b32_e32 v1, v8, v10, vcc
	ds_write_b64 v29, v[1:2]
.LBB22_92:                              ;   in Loop: Header=BB22_3 Depth=1
	s_or_b64 exec, exec, s[0:1]
	s_waitcnt lgkmcnt(0)
	s_barrier
	s_and_saveexec_b64 s[0:1], s[12:13]
	s_cbranch_execz .LBB22_94
; %bb.93:                               ;   in Loop: Header=BB22_3 Depth=1
	ds_read2_b64 v[8:11], v29 offset1:32
	s_waitcnt lgkmcnt(0)
	v_cmp_lt_f64_e32 vcc, v[8:9], v[10:11]
	v_cndmask_b32_e32 v2, v9, v11, vcc
	v_cndmask_b32_e32 v1, v8, v10, vcc
	ds_write_b64 v29, v[1:2]
.LBB22_94:                              ;   in Loop: Header=BB22_3 Depth=1
	s_or_b64 exec, exec, s[0:1]
	s_waitcnt lgkmcnt(0)
	s_barrier
	s_and_saveexec_b64 s[0:1], s[14:15]
	s_cbranch_execz .LBB22_96
; %bb.95:                               ;   in Loop: Header=BB22_3 Depth=1
	ds_read2_b64 v[8:11], v29 offset1:16
	s_waitcnt lgkmcnt(0)
	v_cmp_lt_f64_e32 vcc, v[8:9], v[10:11]
	v_cndmask_b32_e32 v2, v9, v11, vcc
	v_cndmask_b32_e32 v1, v8, v10, vcc
	ds_write_b64 v29, v[1:2]
.LBB22_96:                              ;   in Loop: Header=BB22_3 Depth=1
	;; [unrolled: 13-line block ×3, first 2 shown]
	s_or_b64 exec, exec, s[0:1]
	s_waitcnt lgkmcnt(0)
	s_barrier
	s_and_saveexec_b64 s[0:1], s[18:19]
	s_cbranch_execz .LBB22_100
; %bb.99:                               ;   in Loop: Header=BB22_3 Depth=1
	ds_read2_b64 v[8:11], v29 offset1:4
	s_waitcnt lgkmcnt(0)
	v_cmp_lt_f64_e32 vcc, v[8:9], v[10:11]
	v_cndmask_b32_e32 v2, v9, v11, vcc
	v_cndmask_b32_e32 v1, v8, v10, vcc
	ds_write_b64 v29, v[1:2]
.LBB22_100:                             ;   in Loop: Header=BB22_3 Depth=1
	s_or_b64 exec, exec, s[0:1]
	s_waitcnt lgkmcnt(0)
	s_barrier
	s_and_saveexec_b64 s[0:1], s[20:21]
	s_cbranch_execz .LBB22_102
; %bb.101:                              ;   in Loop: Header=BB22_3 Depth=1
	ds_read2_b64 v[8:11], v29 offset1:2
	s_waitcnt lgkmcnt(0)
	v_cmp_lt_f64_e32 vcc, v[8:9], v[10:11]
	v_cndmask_b32_e32 v2, v9, v11, vcc
	v_cndmask_b32_e32 v1, v8, v10, vcc
	ds_write_b64 v29, v[1:2]
.LBB22_102:                             ;   in Loop: Header=BB22_3 Depth=1
	s_or_b64 exec, exec, s[0:1]
	s_waitcnt lgkmcnt(0)
	s_barrier
	s_and_saveexec_b64 s[0:1], s[22:23]
	s_cbranch_execz .LBB22_104
; %bb.103:                              ;   in Loop: Header=BB22_3 Depth=1
	ds_read_b128 v[8:11], v7
	s_waitcnt lgkmcnt(0)
	v_cmp_lt_f64_e32 vcc, v[8:9], v[10:11]
	v_cndmask_b32_e32 v2, v9, v11, vcc
	v_cndmask_b32_e32 v1, v8, v10, vcc
	ds_write_b64 v7, v[1:2]
.LBB22_104:                             ;   in Loop: Header=BB22_3 Depth=1
	s_or_b64 exec, exec, s[0:1]
	v_readlane_b32 s0, v46, 10
	v_readlane_b32 s1, v46, 11
	s_waitcnt lgkmcnt(0)
	s_barrier
	ds_read_b64 v[1:2], v7
	s_load_dwordx2 s[0:1], s[0:1], 0x0
	s_waitcnt lgkmcnt(0)
	v_div_scale_f64 v[8:9], s[24:25], s[0:1], s[0:1], v[1:2]
	v_div_scale_f64 v[14:15], vcc, v[1:2], s[0:1], v[1:2]
	v_rcp_f64_e32 v[10:11], v[8:9]
	v_fma_f64 v[12:13], -v[8:9], v[10:11], 1.0
	v_fma_f64 v[10:11], v[10:11], v[12:13], v[10:11]
	v_fma_f64 v[12:13], -v[8:9], v[10:11], 1.0
	v_fma_f64 v[10:11], v[10:11], v[12:13], v[10:11]
	v_mul_f64 v[12:13], v[14:15], v[10:11]
	v_fma_f64 v[8:9], -v[8:9], v[12:13], v[14:15]
	v_div_fmas_f64 v[8:9], v[8:9], v[10:11], v[12:13]
	v_div_fixup_f64 v[1:2], v[8:9], s[0:1], v[1:2]
.LBB22_105:                             ;   in Loop: Header=BB22_3 Depth=1
	s_andn2_b64 vcc, exec, s[34:35]
	s_cbranch_vccnz .LBB22_127
; %bb.106:                              ;   in Loop: Header=BB22_3 Depth=1
	v_mov_b32_dpp v8, v4 row_shr:1 row_mask:0xf bank_mask:0xf
	v_mov_b32_dpp v3, v5 row_shr:1 row_mask:0xf bank_mask:0xf
	s_mov_b64 s[0:1], exec
	v_readlane_b32 s24, v46, 16
	v_readlane_b32 s25, v46, 17
	s_and_b64 s[24:25], s[0:1], s[24:25]
	s_mov_b64 exec, s[24:25]
	s_cbranch_execz .LBB22_108
; %bb.107:                              ;   in Loop: Header=BB22_3 Depth=1
	v_mov_b32_e32 v9, v3
	v_cmp_lt_f64_e32 vcc, v[4:5], v[8:9]
	v_cndmask_b32_e32 v5, v5, v3, vcc
	v_cndmask_b32_e32 v4, v4, v8, vcc
	ds_write_b64 v31, v[4:5]
.LBB22_108:                             ;   in Loop: Header=BB22_3 Depth=1
	s_or_b64 exec, exec, s[0:1]
	s_waitcnt vmcnt(0) lgkmcnt(0)
	s_barrier
	s_mov_b64 s[0:1], exec
	v_readlane_b32 s24, v46, 18
	v_readlane_b32 s25, v46, 19
	s_and_b64 s[24:25], s[0:1], s[24:25]
	s_mov_b64 exec, s[24:25]
	s_cbranch_execz .LBB22_110
; %bb.109:                              ;   in Loop: Header=BB22_3 Depth=1
	ds_read2st64_b64 v[3:6], v29 offset1:4
	s_waitcnt lgkmcnt(0)
	v_cmp_lt_f64_e32 vcc, v[3:4], v[5:6]
	v_cndmask_b32_e32 v4, v4, v6, vcc
	v_cndmask_b32_e32 v3, v3, v5, vcc
	ds_write_b64 v29, v[3:4]
.LBB22_110:                             ;   in Loop: Header=BB22_3 Depth=1
	s_or_b64 exec, exec, s[0:1]
	s_waitcnt lgkmcnt(0)
	s_barrier
	s_mov_b64 s[0:1], exec
	v_readlane_b32 s24, v46, 20
	v_readlane_b32 s25, v46, 21
	s_and_b64 s[24:25], s[0:1], s[24:25]
	s_mov_b64 exec, s[24:25]
	s_cbranch_execz .LBB22_112
; %bb.111:                              ;   in Loop: Header=BB22_3 Depth=1
	ds_read2st64_b64 v[3:6], v29 offset1:2
	s_waitcnt lgkmcnt(0)
	v_cmp_lt_f64_e32 vcc, v[3:4], v[5:6]
	v_cndmask_b32_e32 v4, v4, v6, vcc
	v_cndmask_b32_e32 v3, v3, v5, vcc
	ds_write_b64 v29, v[3:4]
.LBB22_112:                             ;   in Loop: Header=BB22_3 Depth=1
	s_or_b64 exec, exec, s[0:1]
	s_waitcnt lgkmcnt(0)
	s_barrier
	s_and_saveexec_b64 s[0:1], s[10:11]
	s_cbranch_execz .LBB22_114
; %bb.113:                              ;   in Loop: Header=BB22_3 Depth=1
	ds_read2st64_b64 v[3:6], v29 offset1:1
	s_waitcnt lgkmcnt(0)
	v_cmp_lt_f64_e32 vcc, v[3:4], v[5:6]
	v_cndmask_b32_e32 v4, v4, v6, vcc
	v_cndmask_b32_e32 v3, v3, v5, vcc
	ds_write_b64 v29, v[3:4]
.LBB22_114:                             ;   in Loop: Header=BB22_3 Depth=1
	s_or_b64 exec, exec, s[0:1]
	s_waitcnt lgkmcnt(0)
	s_barrier
	s_and_saveexec_b64 s[0:1], s[12:13]
	s_cbranch_execz .LBB22_116
; %bb.115:                              ;   in Loop: Header=BB22_3 Depth=1
	ds_read2_b64 v[3:6], v29 offset1:32
	s_waitcnt lgkmcnt(0)
	v_cmp_lt_f64_e32 vcc, v[3:4], v[5:6]
	v_cndmask_b32_e32 v4, v4, v6, vcc
	v_cndmask_b32_e32 v3, v3, v5, vcc
	ds_write_b64 v29, v[3:4]
.LBB22_116:                             ;   in Loop: Header=BB22_3 Depth=1
	s_or_b64 exec, exec, s[0:1]
	s_waitcnt lgkmcnt(0)
	s_barrier
	s_and_saveexec_b64 s[0:1], s[14:15]
	s_cbranch_execz .LBB22_118
; %bb.117:                              ;   in Loop: Header=BB22_3 Depth=1
	ds_read2_b64 v[3:6], v29 offset1:16
	s_waitcnt lgkmcnt(0)
	v_cmp_lt_f64_e32 vcc, v[3:4], v[5:6]
	v_cndmask_b32_e32 v4, v4, v6, vcc
	v_cndmask_b32_e32 v3, v3, v5, vcc
	ds_write_b64 v29, v[3:4]
.LBB22_118:                             ;   in Loop: Header=BB22_3 Depth=1
	;; [unrolled: 13-line block ×5, first 2 shown]
	s_or_b64 exec, exec, s[0:1]
	s_waitcnt lgkmcnt(0)
	s_barrier
	s_and_saveexec_b64 s[0:1], s[22:23]
	s_cbranch_execz .LBB22_126
; %bb.125:                              ;   in Loop: Header=BB22_3 Depth=1
	ds_read_b128 v[3:6], v7
	s_waitcnt lgkmcnt(0)
	v_cmp_lt_f64_e32 vcc, v[3:4], v[5:6]
	v_cndmask_b32_e32 v4, v4, v6, vcc
	v_cndmask_b32_e32 v3, v3, v5, vcc
	ds_write_b64 v7, v[3:4]
.LBB22_126:                             ;   in Loop: Header=BB22_3 Depth=1
	s_or_b64 exec, exec, s[0:1]
	v_readlane_b32 s0, v46, 10
	v_readlane_b32 s1, v46, 11
	s_waitcnt lgkmcnt(0)
	s_barrier
	ds_read_b64 v[3:4], v7
	s_load_dwordx2 s[0:1], s[0:1], 0x0
	s_waitcnt lgkmcnt(0)
	v_div_scale_f64 v[5:6], s[24:25], s[0:1], s[0:1], v[3:4]
	v_div_scale_f64 v[12:13], vcc, v[3:4], s[0:1], v[3:4]
	v_rcp_f64_e32 v[8:9], v[5:6]
	v_fma_f64 v[10:11], -v[5:6], v[8:9], 1.0
	v_fma_f64 v[8:9], v[8:9], v[10:11], v[8:9]
	v_fma_f64 v[10:11], -v[5:6], v[8:9], 1.0
	v_fma_f64 v[8:9], v[8:9], v[10:11], v[8:9]
	v_mul_f64 v[10:11], v[12:13], v[8:9]
	v_fma_f64 v[5:6], -v[5:6], v[10:11], v[12:13]
	v_div_fmas_f64 v[5:6], v[5:6], v[8:9], v[10:11]
	v_div_fixup_f64 v[4:5], v[5:6], s[0:1], v[3:4]
.LBB22_127:                             ;   in Loop: Header=BB22_3 Depth=1
	s_mov_b64 s[24:25], exec
	v_readlane_b32 s0, v46, 14
	v_readlane_b32 s1, v46, 15
	s_and_b64 s[0:1], s[24:25], s[0:1]
	s_mov_b64 exec, s[0:1]
	s_cbranch_execz .LBB22_139
; %bb.128:                              ;   in Loop: Header=BB22_3 Depth=1
	s_mov_b64 s[26:27], 0
	v_mov_b32_e32 v8, v28
	s_branch .LBB22_130
.LBB22_129:                             ;   in Loop: Header=BB22_130 Depth=2
	s_or_b64 exec, exec, s[74:75]
	v_add_u32_e32 v8, 0x200, v8
	v_cmp_le_u32_e32 vcc, s5, v8
	s_or_b64 s[26:27], vcc, s[26:27]
	s_andn2_b64 exec, exec, s[26:27]
	s_cbranch_execz .LBB22_139
.LBB22_130:                             ;   Parent Loop BB22_3 Depth=1
                                        ; =>  This Loop Header: Depth=2
                                        ;       Child Loop BB22_133 Depth 3
                                        ;       Child Loop BB22_136 Depth 3
	v_cmp_gt_i32_e32 vcc, s33, v8
	s_and_saveexec_b64 s[74:75], vcc
	s_cbranch_execz .LBB22_129
; %bb.131:                              ;   in Loop: Header=BB22_130 Depth=2
	v_ashrrev_i32_e32 v9, 31, v8
	v_lshlrev_b64 v[10:11], 2, v[8:9]
	v_mov_b32_e32 v3, s45
	v_add_co_u32_e32 v12, vcc, s44, v10
	v_addc_co_u32_e32 v13, vcc, v3, v11, vcc
	global_load_dword v3, v[12:13], off
	v_mov_b32_e32 v6, s47
	v_add_co_u32_e32 v12, vcc, s46, v10
	v_addc_co_u32_e32 v13, vcc, v6, v11, vcc
	global_load_dword v6, v[12:13], off
	s_waitcnt vmcnt(1)
	v_add_u32_e32 v12, v32, v3
	s_waitcnt vmcnt(0)
	v_subrev_u32_e32 v3, s7, v6
	v_cmp_lt_i32_e32 vcc, v12, v3
	s_and_saveexec_b64 s[28:29], vcc
	s_cbranch_execz .LBB22_134
; %bb.132:                              ;   in Loop: Header=BB22_130 Depth=2
	v_ashrrev_i32_e32 v13, 31, v12
	v_lshlrev_b64 v[15:16], 3, v[12:13]
	v_mov_b32_e32 v6, s81
	v_add_co_u32_e32 v13, vcc, s80, v15
	v_addc_co_u32_e32 v14, vcc, v6, v16, vcc
	v_mov_b32_e32 v6, s51
	v_add_co_u32_e32 v15, vcc, s50, v15
	v_addc_co_u32_e32 v16, vcc, v6, v16, vcc
	s_mov_b64 s[30:31], 0
.LBB22_133:                             ;   Parent Loop BB22_3 Depth=1
                                        ;     Parent Loop BB22_130 Depth=2
                                        ; =>    This Inner Loop Header: Depth=3
	global_load_dwordx2 v[17:18], v[13:14], off
	v_add_co_u32_e32 v13, vcc, 16, v13
	v_add_u32_e32 v12, 2, v12
	v_addc_co_u32_e32 v14, vcc, 0, v14, vcc
	v_cmp_ge_i32_e32 vcc, v12, v3
	s_or_b64 s[30:31], vcc, s[30:31]
	s_waitcnt vmcnt(0)
	global_store_dwordx2 v[15:16], v[17:18], off
	v_add_co_u32_e32 v15, vcc, 16, v15
	v_addc_co_u32_e32 v16, vcc, 0, v16, vcc
	s_andn2_b64 exec, exec, s[30:31]
	s_cbranch_execnz .LBB22_133
.LBB22_134:                             ;   in Loop: Header=BB22_130 Depth=2
	s_or_b64 exec, exec, s[28:29]
	v_mov_b32_e32 v3, s37
	v_add_co_u32_e32 v12, vcc, s36, v10
	v_addc_co_u32_e32 v13, vcc, v3, v11, vcc
	v_mov_b32_e32 v6, s39
	v_add_co_u32_e32 v10, vcc, s38, v10
	v_addc_co_u32_e32 v11, vcc, v6, v11, vcc
	global_load_dword v3, v[12:13], off
	global_load_dword v6, v[10:11], off
	s_waitcnt vmcnt(1)
	v_add_u32_e32 v10, v33, v3
	s_waitcnt vmcnt(0)
	v_subrev_u32_e32 v3, s4, v6
	v_cmp_lt_i32_e32 vcc, v10, v3
	s_and_saveexec_b64 s[28:29], vcc
	s_cbranch_execz .LBB22_137
; %bb.135:                              ;   in Loop: Header=BB22_130 Depth=2
	v_ashrrev_i32_e32 v11, 31, v10
	v_lshlrev_b64 v[13:14], 3, v[10:11]
	v_mov_b32_e32 v6, s83
	v_add_co_u32_e32 v11, vcc, s82, v13
	v_addc_co_u32_e32 v12, vcc, v6, v14, vcc
	v_mov_b32_e32 v6, s43
	v_add_co_u32_e32 v13, vcc, s42, v13
	v_addc_co_u32_e32 v14, vcc, v6, v14, vcc
	s_mov_b64 s[30:31], 0
.LBB22_136:                             ;   Parent Loop BB22_3 Depth=1
                                        ;     Parent Loop BB22_130 Depth=2
                                        ; =>    This Inner Loop Header: Depth=3
	global_load_dwordx2 v[15:16], v[11:12], off
	v_add_co_u32_e32 v11, vcc, 16, v11
	v_add_u32_e32 v10, 2, v10
	v_addc_co_u32_e32 v12, vcc, 0, v12, vcc
	v_cmp_ge_i32_e32 vcc, v10, v3
	s_or_b64 s[30:31], vcc, s[30:31]
	s_waitcnt vmcnt(0)
	global_store_dwordx2 v[13:14], v[15:16], off
	v_add_co_u32_e32 v13, vcc, 16, v13
	v_addc_co_u32_e32 v14, vcc, 0, v14, vcc
	s_andn2_b64 exec, exec, s[30:31]
	s_cbranch_execnz .LBB22_136
.LBB22_137:                             ;   in Loop: Header=BB22_130 Depth=2
	s_or_b64 exec, exec, s[28:29]
	s_and_b64 exec, exec, s[2:3]
	s_cbranch_execz .LBB22_129
; %bb.138:                              ;   in Loop: Header=BB22_130 Depth=2
	v_lshlrev_b64 v[9:10], 3, v[8:9]
	v_mov_b32_e32 v3, s67
	v_add_co_u32_e32 v11, vcc, s66, v9
	v_addc_co_u32_e32 v12, vcc, v3, v10, vcc
	global_load_dwordx2 v[11:12], v[11:12], off
	v_mov_b32_e32 v3, s65
	v_add_co_u32_e32 v9, vcc, s64, v9
	v_addc_co_u32_e32 v10, vcc, v3, v10, vcc
	s_waitcnt vmcnt(0)
	global_store_dwordx2 v[9:10], v[11:12], off
	s_branch .LBB22_129
.LBB22_139:                             ;   in Loop: Header=BB22_3 Depth=1
	s_or_b64 exec, exec, s[24:25]
	s_mov_b64 s[26:27], -1
	s_and_b64 vcc, exec, s[70:71]
	s_mov_b64 s[24:25], -1
	s_cbranch_vccz .LBB22_149
; %bb.140:                              ;   in Loop: Header=BB22_3 Depth=1
	v_readlane_b32 s24, v46, 22
	v_readlane_b32 s25, v46, 23
	s_mov_b64 s[0:1], -1
	s_and_b64 vcc, exec, s[24:25]
                                        ; implicit-def: $sgpr28_sgpr29
	s_cbranch_vccz .LBB22_146
; %bb.141:                              ;   in Loop: Header=BB22_3 Depth=1
	v_readlane_b32 s24, v46, 12
	v_readlane_b32 s25, v46, 13
	s_and_b64 vcc, exec, s[24:25]
                                        ; implicit-def: $sgpr28_sgpr29
	s_cbranch_vccz .LBB22_143
; %bb.142:                              ;   in Loop: Header=BB22_3 Depth=1
	v_readlane_b32 s28, v46, 0
	v_readlane_b32 s29, v46, 1
	;; [unrolled: 1-line block ×4, first 2 shown]
	v_cmp_ge_f64_e64 s[28:29], s[30:31], v[4:5]
	s_mov_b64 s[0:1], 0
.LBB22_143:                             ;   in Loop: Header=BB22_3 Depth=1
	s_andn2_b64 vcc, exec, s[0:1]
	s_cbranch_vccnz .LBB22_145
; %bb.144:                              ;   in Loop: Header=BB22_3 Depth=1
	v_readlane_b32 s60, v46, 0
	v_readlane_b32 s62, v46, 2
	;; [unrolled: 1-line block ×3, first 2 shown]
	v_cmp_ge_f64_e32 vcc, s[62:63], v[1:2]
	s_andn2_b64 s[0:1], s[28:29], exec
	v_readlane_b32 s61, v46, 1
	s_and_b64 s[24:25], vcc, exec
	s_or_b64 s[28:29], s[0:1], s[24:25]
.LBB22_145:                             ;   in Loop: Header=BB22_3 Depth=1
	s_mov_b64 s[0:1], 0
.LBB22_146:                             ;   in Loop: Header=BB22_3 Depth=1
	s_andn2_b64 vcc, exec, s[0:1]
	s_cbranch_vccnz .LBB22_148
; %bb.147:                              ;   in Loop: Header=BB22_3 Depth=1
	v_readlane_b32 s60, v46, 0
	v_readlane_b32 s62, v46, 2
	;; [unrolled: 1-line block ×3, first 2 shown]
	v_cmp_ge_f64_e32 vcc, s[62:63], v[1:2]
	v_cmp_ge_f64_e64 s[24:25], s[62:63], v[4:5]
	v_readlane_b32 s61, v46, 1
	s_and_b64 s[0:1], vcc, s[24:25]
	s_andn2_b64 s[24:25], s[28:29], exec
	s_and_b64 s[0:1], s[0:1], exec
	s_or_b64 s[28:29], s[24:25], s[0:1]
.LBB22_148:                             ;   in Loop: Header=BB22_3 Depth=1
	s_xor_b64 s[24:25], s[28:29], -1
.LBB22_149:                             ;   in Loop: Header=BB22_3 Depth=1
	v_mov_b32_e32 v3, s72
	s_and_saveexec_b64 s[0:1], s[24:25]
	s_cbranch_execz .LBB22_2
; %bb.150:                              ;   in Loop: Header=BB22_3 Depth=1
	s_add_i32 s72, s72, 1
	s_cmp_eq_u32 s72, s73
	s_cselect_b64 s[24:25], -1, 0
	v_mov_b32_e32 v3, s73
	s_orn2_b64 s[26:27], s[24:25], exec
	s_branch .LBB22_2
.LBB22_151:
	s_or_b64 exec, exec, s[86:87]
	v_readlane_b32 s8, v46, 6
	v_readlane_b32 s9, v46, 7
	;; [unrolled: 1-line block ×4, first 2 shown]
.LBB22_152:
	v_readlane_b32 s0, v46, 4
	v_readlane_b32 s1, v46, 5
	s_or_b64 exec, exec, s[0:1]
	s_andn2_b64 vcc, exec, s[70:71]
	s_cbranch_vccnz .LBB22_177
; %bb.153:
	v_mov_b32_dpp v6, v3 row_shr:1 row_mask:0xf bank_mask:0xf
	v_cmp_ne_u32_e32 vcc, 0, v27
	s_and_saveexec_b64 s[0:1], vcc
; %bb.154:
	v_lshlrev_b32_e32 v7, 2, v26
	v_max_i32_e32 v3, v3, v6
	ds_write_b32 v7, v3 offset:4096
; %bb.155:
	s_or_b64 exec, exec, s[0:1]
	s_movk_i32 s0, 0x100
	v_cmp_gt_u32_e32 vcc, s0, v0
	v_lshlrev_b32_e32 v3, 2, v0
	s_waitcnt vmcnt(0) lgkmcnt(0)
	s_barrier
	s_and_saveexec_b64 s[0:1], vcc
	s_cbranch_execz .LBB22_157
; %bb.156:
	ds_read2st64_b32 v[6:7], v3 offset0:16 offset1:20
	s_waitcnt lgkmcnt(0)
	v_max_i32_e32 v6, v6, v7
	ds_write_b32 v3, v6 offset:4096
.LBB22_157:
	s_or_b64 exec, exec, s[0:1]
	s_movk_i32 s0, 0x80
	v_cmp_gt_u32_e32 vcc, s0, v0
	s_waitcnt lgkmcnt(0)
	s_barrier
	s_and_saveexec_b64 s[0:1], vcc
	s_cbranch_execz .LBB22_159
; %bb.158:
	ds_read2st64_b32 v[6:7], v3 offset0:16 offset1:18
	s_waitcnt lgkmcnt(0)
	v_max_i32_e32 v6, v6, v7
	ds_write_b32 v3, v6 offset:4096
.LBB22_159:
	s_or_b64 exec, exec, s[0:1]
	v_cmp_gt_u32_e32 vcc, 64, v0
	s_waitcnt lgkmcnt(0)
	s_barrier
	s_and_saveexec_b64 s[0:1], vcc
	s_cbranch_execz .LBB22_161
; %bb.160:
	ds_read2st64_b32 v[6:7], v3 offset0:16 offset1:17
	s_waitcnt lgkmcnt(0)
	v_max_i32_e32 v6, v6, v7
	ds_write_b32 v3, v6 offset:4096
.LBB22_161:
	s_or_b64 exec, exec, s[0:1]
	v_cmp_gt_u32_e32 vcc, 32, v0
	s_waitcnt lgkmcnt(0)
	s_barrier
	s_and_saveexec_b64 s[0:1], vcc
	s_cbranch_execz .LBB22_163
; %bb.162:
	v_add_u32_e32 v6, 0x1000, v3
	ds_read2_b32 v[6:7], v6 offset1:32
	s_waitcnt lgkmcnt(0)
	v_max_i32_e32 v6, v6, v7
	ds_write_b32 v3, v6 offset:4096
.LBB22_163:
	s_or_b64 exec, exec, s[0:1]
	v_cmp_gt_u32_e32 vcc, 16, v0
	s_waitcnt lgkmcnt(0)
	s_barrier
	s_and_saveexec_b64 s[0:1], vcc
	s_cbranch_execz .LBB22_165
; %bb.164:
	v_add_u32_e32 v6, 0x1000, v3
	ds_read2_b32 v[6:7], v6 offset1:16
	s_waitcnt lgkmcnt(0)
	v_max_i32_e32 v6, v6, v7
	ds_write_b32 v3, v6 offset:4096
.LBB22_165:
	;; [unrolled: 13-line block ×5, first 2 shown]
	s_or_b64 exec, exec, s[0:1]
	v_cmp_eq_u32_e32 vcc, 0, v0
	s_waitcnt lgkmcnt(0)
	s_barrier
	s_and_saveexec_b64 s[0:1], vcc
	s_cbranch_execz .LBB22_173
; %bb.172:
	v_mov_b32_e32 v3, 0
	ds_read_b64 v[6:7], v3 offset:4096
	s_waitcnt lgkmcnt(0)
	v_max_i32_e32 v6, v6, v7
	ds_write_b32 v3, v6 offset:4096
.LBB22_173:
	s_or_b64 exec, exec, s[0:1]
	s_waitcnt lgkmcnt(0)
	s_barrier
	s_and_saveexec_b64 s[0:1], vcc
	s_cbranch_execz .LBB22_176
; %bb.174:
	v_mbcnt_lo_u32_b32 v3, exec_lo, 0
	v_mbcnt_hi_u32_b32 v3, exec_hi, v3
	v_cmp_eq_u32_e32 vcc, 0, v3
	s_and_b64 exec, exec, vcc
	s_cbranch_execz .LBB22_176
; %bb.175:
	v_mov_b32_e32 v3, 0
	ds_read_b32 v6, v3 offset:4096
	v_readlane_b32 s4, v46, 0
	v_readlane_b32 s5, v46, 1
	;; [unrolled: 1-line block ×4, first 2 shown]
	s_waitcnt lgkmcnt(0)
	v_add_u32_e32 v6, 1, v6
	s_nop 0
	global_atomic_smax v3, v6, s[4:5]
.LBB22_176:
	s_or_b64 exec, exec, s[0:1]
.LBB22_177:
	v_cmp_eq_u32_e32 vcc, 0, v0
	s_and_b64 s[0:1], vcc, s[68:69]
	s_and_saveexec_b64 s[2:3], s[0:1]
	s_cbranch_execz .LBB22_184
; %bb.178:
	v_mov_b32_e32 v6, 0
	s_mov_b64 s[0:1], exec
	v_mov_b32_e32 v7, 0x7ff80000
.LBB22_179:                             ; =>This Inner Loop Header: Depth=1
	s_ff1_i32_b64 s6, s[0:1]
	v_readlane_b32 s5, v2, s6
	v_readlane_b32 s4, v1, s6
	v_max_f64 v[6:7], v[6:7], v[6:7]
	v_max_f64 v[8:9], s[4:5], s[4:5]
	s_lshl_b64 s[4:5], 1, s6
	s_andn2_b64 s[0:1], s[0:1], s[4:5]
	s_cmp_lg_u64 s[0:1], 0
	v_max_f64 v[6:7], v[6:7], v[8:9]
	s_cbranch_scc1 .LBB22_179
; %bb.180:
	v_mbcnt_lo_u32_b32 v0, exec_lo, 0
	v_mbcnt_hi_u32_b32 v0, exec_hi, v0
	v_cmp_eq_u32_e64 s[0:1], 0, v0
	s_and_saveexec_b64 s[4:5], s[0:1]
	s_xor_b64 s[4:5], exec, s[4:5]
	s_cbranch_execz .LBB22_184
; %bb.181:
	v_mov_b32_e32 v8, 0
	global_load_dwordx2 v[2:3], v8, s[8:9]
	v_max_f64 v[6:7], v[6:7], v[6:7]
	s_mov_b64 s[4:5], 0
.LBB22_182:                             ; =>This Inner Loop Header: Depth=1
	s_waitcnt vmcnt(0)
	v_max_f64 v[0:1], v[2:3], v[2:3]
	v_max_f64 v[0:1], v[0:1], v[6:7]
	global_atomic_cmpswap_x2 v[0:1], v8, v[0:3], s[8:9] glc
	s_waitcnt vmcnt(0)
	v_cmp_eq_u64_e64 s[0:1], v[0:1], v[2:3]
	v_mov_b32_e32 v3, v1
	s_or_b64 s[4:5], s[0:1], s[4:5]
	v_mov_b32_e32 v2, v0
	s_andn2_b64 exec, exec, s[4:5]
	s_cbranch_execnz .LBB22_182
; %bb.183:
	s_or_b64 exec, exec, s[4:5]
.LBB22_184:
	s_or_b64 exec, exec, s[2:3]
	s_and_b64 s[0:1], vcc, s[34:35]
	s_and_saveexec_b64 s[2:3], s[0:1]
	s_cbranch_execz .LBB22_190
; %bb.185:
	v_mov_b32_e32 v0, 0
	s_mov_b64 s[0:1], exec
	v_mov_b32_e32 v1, 0x7ff80000
.LBB22_186:                             ; =>This Inner Loop Header: Depth=1
	s_ff1_i32_b64 s4, s[0:1]
	v_readlane_b32 s3, v5, s4
	v_readlane_b32 s2, v4, s4
	v_max_f64 v[0:1], v[0:1], v[0:1]
	v_max_f64 v[2:3], s[2:3], s[2:3]
	s_lshl_b64 s[2:3], 1, s4
	s_andn2_b64 s[0:1], s[0:1], s[2:3]
	s_cmp_lg_u64 s[0:1], 0
	v_max_f64 v[0:1], v[0:1], v[2:3]
	s_cbranch_scc1 .LBB22_186
; %bb.187:
	v_mbcnt_lo_u32_b32 v2, exec_lo, 0
	v_mbcnt_hi_u32_b32 v2, exec_hi, v2
	v_cmp_eq_u32_e32 vcc, 0, v2
	s_and_saveexec_b64 s[0:1], vcc
	s_xor_b64 s[0:1], exec, s[0:1]
	s_cbranch_execz .LBB22_190
; %bb.188:
	v_mov_b32_e32 v6, 0
	global_load_dwordx2 v[2:3], v6, s[10:11]
	v_max_f64 v[4:5], v[0:1], v[0:1]
	s_mov_b64 s[0:1], 0
.LBB22_189:                             ; =>This Inner Loop Header: Depth=1
	s_waitcnt vmcnt(0)
	v_max_f64 v[0:1], v[2:3], v[2:3]
	v_max_f64 v[0:1], v[0:1], v[4:5]
	global_atomic_cmpswap_x2 v[0:1], v6, v[0:3], s[10:11] glc
	s_waitcnt vmcnt(0)
	v_cmp_eq_u64_e32 vcc, v[0:1], v[2:3]
	v_mov_b32_e32 v3, v1
	s_or_b64 s[0:1], vcc, s[0:1]
	v_mov_b32_e32 v2, v0
	s_andn2_b64 exec, exec, s[0:1]
	s_cbranch_execnz .LBB22_189
.LBB22_190:
	s_endpgm
	.section	.rodata,"a",@progbits
	.p2align	6, 0x0
	.amdhsa_kernel _ZN9rocsparseL6kernelILi1024ELi2EdiiEEvbbbT3_PS1_NS_15floating_traitsIT1_E6data_tES1_T2_PKS7_S9_PKS1_PKS4_21rocsparse_index_base_S9_S9_SB_PS4_SF_SE_S9_S9_SB_SF_SF_SE_SF_SF_PS6_SG_PKS6_
		.amdhsa_group_segment_fixed_size 6144
		.amdhsa_private_segment_fixed_size 0
		.amdhsa_kernarg_size 208
		.amdhsa_user_sgpr_count 6
		.amdhsa_user_sgpr_private_segment_buffer 1
		.amdhsa_user_sgpr_dispatch_ptr 0
		.amdhsa_user_sgpr_queue_ptr 0
		.amdhsa_user_sgpr_kernarg_segment_ptr 1
		.amdhsa_user_sgpr_dispatch_id 0
		.amdhsa_user_sgpr_flat_scratch_init 0
		.amdhsa_user_sgpr_private_segment_size 0
		.amdhsa_uses_dynamic_stack 0
		.amdhsa_system_sgpr_private_segment_wavefront_offset 0
		.amdhsa_system_sgpr_workgroup_id_x 1
		.amdhsa_system_sgpr_workgroup_id_y 0
		.amdhsa_system_sgpr_workgroup_id_z 0
		.amdhsa_system_sgpr_workgroup_info 0
		.amdhsa_system_vgpr_workitem_id 0
		.amdhsa_next_free_vgpr 47
		.amdhsa_next_free_sgpr 96
		.amdhsa_reserve_vcc 1
		.amdhsa_reserve_flat_scratch 0
		.amdhsa_float_round_mode_32 0
		.amdhsa_float_round_mode_16_64 0
		.amdhsa_float_denorm_mode_32 3
		.amdhsa_float_denorm_mode_16_64 3
		.amdhsa_dx10_clamp 1
		.amdhsa_ieee_mode 1
		.amdhsa_fp16_overflow 0
		.amdhsa_exception_fp_ieee_invalid_op 0
		.amdhsa_exception_fp_denorm_src 0
		.amdhsa_exception_fp_ieee_div_zero 0
		.amdhsa_exception_fp_ieee_overflow 0
		.amdhsa_exception_fp_ieee_underflow 0
		.amdhsa_exception_fp_ieee_inexact 0
		.amdhsa_exception_int_div_zero 0
	.end_amdhsa_kernel
	.section	.text._ZN9rocsparseL6kernelILi1024ELi2EdiiEEvbbbT3_PS1_NS_15floating_traitsIT1_E6data_tES1_T2_PKS7_S9_PKS1_PKS4_21rocsparse_index_base_S9_S9_SB_PS4_SF_SE_S9_S9_SB_SF_SF_SE_SF_SF_PS6_SG_PKS6_,"axG",@progbits,_ZN9rocsparseL6kernelILi1024ELi2EdiiEEvbbbT3_PS1_NS_15floating_traitsIT1_E6data_tES1_T2_PKS7_S9_PKS1_PKS4_21rocsparse_index_base_S9_S9_SB_PS4_SF_SE_S9_S9_SB_SF_SF_SE_SF_SF_PS6_SG_PKS6_,comdat
.Lfunc_end22:
	.size	_ZN9rocsparseL6kernelILi1024ELi2EdiiEEvbbbT3_PS1_NS_15floating_traitsIT1_E6data_tES1_T2_PKS7_S9_PKS1_PKS4_21rocsparse_index_base_S9_S9_SB_PS4_SF_SE_S9_S9_SB_SF_SF_SE_SF_SF_PS6_SG_PKS6_, .Lfunc_end22-_ZN9rocsparseL6kernelILi1024ELi2EdiiEEvbbbT3_PS1_NS_15floating_traitsIT1_E6data_tES1_T2_PKS7_S9_PKS1_PKS4_21rocsparse_index_base_S9_S9_SB_PS4_SF_SE_S9_S9_SB_SF_SF_SE_SF_SF_PS6_SG_PKS6_
                                        ; -- End function
	.set _ZN9rocsparseL6kernelILi1024ELi2EdiiEEvbbbT3_PS1_NS_15floating_traitsIT1_E6data_tES1_T2_PKS7_S9_PKS1_PKS4_21rocsparse_index_base_S9_S9_SB_PS4_SF_SE_S9_S9_SB_SF_SF_SE_SF_SF_PS6_SG_PKS6_.num_vgpr, 47
	.set _ZN9rocsparseL6kernelILi1024ELi2EdiiEEvbbbT3_PS1_NS_15floating_traitsIT1_E6data_tES1_T2_PKS7_S9_PKS1_PKS4_21rocsparse_index_base_S9_S9_SB_PS4_SF_SE_S9_S9_SB_SF_SF_SE_SF_SF_PS6_SG_PKS6_.num_agpr, 0
	.set _ZN9rocsparseL6kernelILi1024ELi2EdiiEEvbbbT3_PS1_NS_15floating_traitsIT1_E6data_tES1_T2_PKS7_S9_PKS1_PKS4_21rocsparse_index_base_S9_S9_SB_PS4_SF_SE_S9_S9_SB_SF_SF_SE_SF_SF_PS6_SG_PKS6_.numbered_sgpr, 96
	.set _ZN9rocsparseL6kernelILi1024ELi2EdiiEEvbbbT3_PS1_NS_15floating_traitsIT1_E6data_tES1_T2_PKS7_S9_PKS1_PKS4_21rocsparse_index_base_S9_S9_SB_PS4_SF_SE_S9_S9_SB_SF_SF_SE_SF_SF_PS6_SG_PKS6_.num_named_barrier, 0
	.set _ZN9rocsparseL6kernelILi1024ELi2EdiiEEvbbbT3_PS1_NS_15floating_traitsIT1_E6data_tES1_T2_PKS7_S9_PKS1_PKS4_21rocsparse_index_base_S9_S9_SB_PS4_SF_SE_S9_S9_SB_SF_SF_SE_SF_SF_PS6_SG_PKS6_.private_seg_size, 0
	.set _ZN9rocsparseL6kernelILi1024ELi2EdiiEEvbbbT3_PS1_NS_15floating_traitsIT1_E6data_tES1_T2_PKS7_S9_PKS1_PKS4_21rocsparse_index_base_S9_S9_SB_PS4_SF_SE_S9_S9_SB_SF_SF_SE_SF_SF_PS6_SG_PKS6_.uses_vcc, 1
	.set _ZN9rocsparseL6kernelILi1024ELi2EdiiEEvbbbT3_PS1_NS_15floating_traitsIT1_E6data_tES1_T2_PKS7_S9_PKS1_PKS4_21rocsparse_index_base_S9_S9_SB_PS4_SF_SE_S9_S9_SB_SF_SF_SE_SF_SF_PS6_SG_PKS6_.uses_flat_scratch, 0
	.set _ZN9rocsparseL6kernelILi1024ELi2EdiiEEvbbbT3_PS1_NS_15floating_traitsIT1_E6data_tES1_T2_PKS7_S9_PKS1_PKS4_21rocsparse_index_base_S9_S9_SB_PS4_SF_SE_S9_S9_SB_SF_SF_SE_SF_SF_PS6_SG_PKS6_.has_dyn_sized_stack, 0
	.set _ZN9rocsparseL6kernelILi1024ELi2EdiiEEvbbbT3_PS1_NS_15floating_traitsIT1_E6data_tES1_T2_PKS7_S9_PKS1_PKS4_21rocsparse_index_base_S9_S9_SB_PS4_SF_SE_S9_S9_SB_SF_SF_SE_SF_SF_PS6_SG_PKS6_.has_recursion, 0
	.set _ZN9rocsparseL6kernelILi1024ELi2EdiiEEvbbbT3_PS1_NS_15floating_traitsIT1_E6data_tES1_T2_PKS7_S9_PKS1_PKS4_21rocsparse_index_base_S9_S9_SB_PS4_SF_SE_S9_S9_SB_SF_SF_SE_SF_SF_PS6_SG_PKS6_.has_indirect_call, 0
	.section	.AMDGPU.csdata,"",@progbits
; Kernel info:
; codeLenInByte = 6364
; TotalNumSgprs: 100
; NumVgprs: 47
; ScratchSize: 0
; MemoryBound: 1
; FloatMode: 240
; IeeeMode: 1
; LDSByteSize: 6144 bytes/workgroup (compile time only)
; SGPRBlocks: 12
; VGPRBlocks: 11
; NumSGPRsForWavesPerEU: 100
; NumVGPRsForWavesPerEU: 47
; Occupancy: 5
; WaveLimiterHint : 1
; COMPUTE_PGM_RSRC2:SCRATCH_EN: 0
; COMPUTE_PGM_RSRC2:USER_SGPR: 6
; COMPUTE_PGM_RSRC2:TRAP_HANDLER: 0
; COMPUTE_PGM_RSRC2:TGID_X_EN: 1
; COMPUTE_PGM_RSRC2:TGID_Y_EN: 0
; COMPUTE_PGM_RSRC2:TGID_Z_EN: 0
; COMPUTE_PGM_RSRC2:TIDIG_COMP_CNT: 0
	.section	.text._ZN9rocsparseL6kernelILi1024ELi4EdiiEEvbbbT3_PS1_NS_15floating_traitsIT1_E6data_tES1_T2_PKS7_S9_PKS1_PKS4_21rocsparse_index_base_S9_S9_SB_PS4_SF_SE_S9_S9_SB_SF_SF_SE_SF_SF_PS6_SG_PKS6_,"axG",@progbits,_ZN9rocsparseL6kernelILi1024ELi4EdiiEEvbbbT3_PS1_NS_15floating_traitsIT1_E6data_tES1_T2_PKS7_S9_PKS1_PKS4_21rocsparse_index_base_S9_S9_SB_PS4_SF_SE_S9_S9_SB_SF_SF_SE_SF_SF_PS6_SG_PKS6_,comdat
	.globl	_ZN9rocsparseL6kernelILi1024ELi4EdiiEEvbbbT3_PS1_NS_15floating_traitsIT1_E6data_tES1_T2_PKS7_S9_PKS1_PKS4_21rocsparse_index_base_S9_S9_SB_PS4_SF_SE_S9_S9_SB_SF_SF_SE_SF_SF_PS6_SG_PKS6_ ; -- Begin function _ZN9rocsparseL6kernelILi1024ELi4EdiiEEvbbbT3_PS1_NS_15floating_traitsIT1_E6data_tES1_T2_PKS7_S9_PKS1_PKS4_21rocsparse_index_base_S9_S9_SB_PS4_SF_SE_S9_S9_SB_SF_SF_SE_SF_SF_PS6_SG_PKS6_
	.p2align	8
	.type	_ZN9rocsparseL6kernelILi1024ELi4EdiiEEvbbbT3_PS1_NS_15floating_traitsIT1_E6data_tES1_T2_PKS7_S9_PKS1_PKS4_21rocsparse_index_base_S9_S9_SB_PS4_SF_SE_S9_S9_SB_SF_SF_SE_SF_SF_PS6_SG_PKS6_,@function
_ZN9rocsparseL6kernelILi1024ELi4EdiiEEvbbbT3_PS1_NS_15floating_traitsIT1_E6data_tES1_T2_PKS7_S9_PKS1_PKS4_21rocsparse_index_base_S9_S9_SB_PS4_SF_SE_S9_S9_SB_SF_SF_SE_SF_SF_PS6_SG_PKS6_: ; @_ZN9rocsparseL6kernelILi1024ELi4EdiiEEvbbbT3_PS1_NS_15floating_traitsIT1_E6data_tES1_T2_PKS7_S9_PKS1_PKS4_21rocsparse_index_base_S9_S9_SB_PS4_SF_SE_S9_S9_SB_SF_SF_SE_SF_SF_PS6_SG_PKS6_
; %bb.0:
	s_load_dword s0, s[4:5], 0x0
	s_load_dwordx2 s[70:71], s[4:5], 0x0
	s_load_dwordx4 s[8:11], s[4:5], 0xb8
	s_load_dwordx4 s[12:15], s[4:5], 0x8
	s_load_dword s33, s[4:5], 0x18
	s_waitcnt lgkmcnt(0)
	s_bitcmp1_b32 s0, 0
	s_cselect_b64 s[68:69], -1, 0
	s_bitcmp1_b32 s0, 8
                                        ; implicit-def: $vgpr46 : SGPR spill to VGPR lane
	s_cselect_b64 s[34:35], -1, 0
	s_bitcmp1_b32 s70, 16
	v_mov_b32_e32 v3, 0
	v_writelane_b32 v46, s12, 0
	s_cselect_b64 s[26:27], -1, 0
	v_lshrrev_b32_e32 v26, 2, v0
	s_lshl_b32 s1, s6, 10
	v_lshlrev_b32_e32 v29, 3, v0
	v_mov_b32_e32 v4, v3
	v_writelane_b32 v46, s13, 1
	v_or_b32_e32 v28, s1, v26
	ds_write_b64 v29, v[3:4]
	s_cmp_gt_i32 s71, 0
	v_mov_b32_e32 v4, 0
	v_mov_b32_e32 v1, 0
	v_writelane_b32 v46, s14, 2
	v_and_b32_e32 v27, 3, v0
	s_mov_b32 s70, 0
	v_cmp_gt_i32_e32 vcc, s33, v28
	s_cselect_b64 s[2:3], -1, 0
	v_mov_b32_e32 v5, 0
	v_mov_b32_e32 v2, 0
	v_writelane_b32 v46, s15, 3
	s_waitcnt lgkmcnt(0)
	s_barrier
	s_and_b64 s[2:3], s[2:3], vcc
	s_mov_b64 s[6:7], exec
	v_writelane_b32 v46, s6, 4
	s_and_b64 s[2:3], s[6:7], s[2:3]
	v_writelane_b32 v46, s7, 5
	s_mov_b64 exec, s[2:3]
	s_cbranch_execz .LBB23_148
; %bb.1:
	s_load_dwordx2 s[2:3], s[4:5], 0xc8
	v_writelane_b32 v46, s8, 6
	v_writelane_b32 v46, s9, 7
	;; [unrolled: 1-line block ×4, first 2 shown]
	s_waitcnt lgkmcnt(0)
	v_writelane_b32 v46, s2, 10
	v_writelane_b32 v46, s3, 11
	s_xor_b64 s[2:3], s[34:35], -1
	v_writelane_b32 v46, s2, 12
	s_addk_i32 s1, 0x400
	v_writelane_b32 v46, s3, 13
	v_cmp_gt_u32_e64 s[2:3], s1, v28
	v_writelane_b32 v46, s2, 14
	s_load_dwordx4 s[64:67], s[4:5], 0xa8
	s_load_dwordx8 s[36:43], s[4:5], 0x78
	s_load_dwordx8 s[44:51], s[4:5], 0x48
	;; [unrolled: 1-line block ×3, first 2 shown]
	v_writelane_b32 v46, s3, 15
	v_cmp_eq_u32_e64 s[2:3], 3, v27
	s_load_dword s74, s[4:5], 0x40
	s_load_dwordx2 s[78:79], s[4:5], 0x68
	s_load_dword s75, s[4:5], 0x70
	s_load_dwordx2 s[80:81], s[4:5], 0x98
	s_load_dword s0, s[4:5], 0xa0
	v_writelane_b32 v46, s2, 16
	v_writelane_b32 v46, s3, 17
	s_movk_i32 s2, 0x80
	v_cmp_gt_u32_e64 s[4:5], s2, v0
	s_and_b64 s[2:3], s[34:35], s[26:27]
	s_xor_b64 s[2:3], s[2:3], -1
	v_writelane_b32 v46, s2, 18
	v_mov_b32_e32 v1, 0
	v_mov_b32_e32 v4, 0
	s_waitcnt lgkmcnt(0)
	v_subrev_u32_e32 v30, s74, v27
	v_lshlrev_b32_e32 v31, 3, v26
	v_cmp_gt_u32_e64 s[6:7], 64, v0
	v_cmp_gt_u32_e64 s[8:9], 32, v0
	v_cmp_gt_u32_e64 s[10:11], 16, v0
	v_cmp_gt_u32_e64 s[12:13], 8, v0
	v_cmp_gt_u32_e64 s[14:15], 4, v0
	v_cmp_gt_u32_e64 s[16:17], 2, v0
	v_cmp_eq_u32_e64 s[18:19], 0, v0
	v_subrev_u32_e32 v32, s75, v27
	v_subrev_u32_e32 v33, s0, v27
	v_cmp_eq_u32_e64 s[20:21], 0, v27
	v_writelane_b32 v46, s3, 19
	v_mov_b32_e32 v2, 0
	s_mov_b64 s[84:85], 0
	v_mov_b32_e32 v7, 0
	v_mov_b32_e32 v5, 0
	s_movk_i32 s2, 0x1f8
	s_branch .LBB23_3
.LBB23_2:                               ;   in Loop: Header=BB23_3 Depth=1
	s_or_b64 exec, exec, s[22:23]
	s_and_b64 s[22:23], exec, s[24:25]
	s_or_b64 s[84:85], s[22:23], s[84:85]
	s_andn2_b64 exec, exec, s[84:85]
	s_cbranch_execz .LBB23_147
.LBB23_3:                               ; =>This Loop Header: Depth=1
                                        ;     Child Loop BB23_7 Depth 2
                                        ;       Child Loop BB23_12 Depth 3
                                        ;         Child Loop BB23_16 Depth 4
                                        ;         Child Loop BB23_37 Depth 4
	;; [unrolled: 1-line block ×5, first 2 shown]
                                        ;     Child Loop BB23_126 Depth 2
                                        ;       Child Loop BB23_129 Depth 3
                                        ;       Child Loop BB23_132 Depth 3
	s_mov_b32 s3, 0
	v_cndmask_b32_e64 v2, v2, 0, s[34:35]
	v_cndmask_b32_e64 v1, v1, 0, s[34:35]
	;; [unrolled: 1-line block ×4, first 2 shown]
	s_branch .LBB23_7
.LBB23_4:                               ;   in Loop: Header=BB23_7 Depth=2
	s_or_b64 exec, exec, s[90:91]
.LBB23_5:                               ;   in Loop: Header=BB23_7 Depth=2
	s_or_b64 exec, exec, s[88:89]
.LBB23_6:                               ;   in Loop: Header=BB23_7 Depth=2
	s_or_b64 exec, exec, s[86:87]
	s_add_i32 s3, s3, 1
	s_cmp_eq_u32 s3, 4
	s_cbranch_scc1 .LBB23_83
.LBB23_7:                               ;   Parent Loop BB23_3 Depth=1
                                        ; =>  This Loop Header: Depth=2
                                        ;       Child Loop BB23_12 Depth 3
                                        ;         Child Loop BB23_16 Depth 4
                                        ;         Child Loop BB23_37 Depth 4
	;; [unrolled: 1-line block ×5, first 2 shown]
	v_lshl_add_u32 v8, s3, 8, v28
	v_cmp_gt_i32_e32 vcc, s33, v8
	s_and_saveexec_b64 s[86:87], vcc
	s_cbranch_execz .LBB23_6
; %bb.8:                                ;   in Loop: Header=BB23_7 Depth=2
	v_ashrrev_i32_e32 v9, 31, v8
	v_lshlrev_b64 v[10:11], 2, v[8:9]
	v_mov_b32_e32 v3, s53
	v_add_co_u32_e32 v12, vcc, s52, v10
	v_addc_co_u32_e32 v13, vcc, v3, v11, vcc
	global_load_dword v3, v[12:13], off
	v_mov_b32_e32 v6, s55
	v_add_co_u32_e32 v12, vcc, s54, v10
	v_addc_co_u32_e32 v13, vcc, v6, v11, vcc
	global_load_dword v6, v[12:13], off
	s_waitcnt vmcnt(1)
	v_add_u32_e32 v9, v30, v3
	s_waitcnt vmcnt(0)
	v_subrev_u32_e32 v3, s74, v6
	v_cmp_lt_i32_e32 vcc, v9, v3
	s_and_saveexec_b64 s[88:89], vcc
	s_cbranch_execz .LBB23_5
; %bb.9:                                ;   in Loop: Header=BB23_7 Depth=2
	v_mov_b32_e32 v6, s47
	v_add_co_u32_e32 v12, vcc, s46, v10
	v_addc_co_u32_e32 v13, vcc, v6, v11, vcc
	v_mov_b32_e32 v6, s45
	v_add_co_u32_e32 v10, vcc, s44, v10
	v_addc_co_u32_e32 v11, vcc, v6, v11, vcc
	global_load_dword v6, v[10:11], off
	s_nop 0
	global_load_dword v10, v[12:13], off
	v_mov_b32_e32 v17, s49
	v_mov_b32_e32 v18, s51
	s_mov_b64 s[90:91], 0
	s_waitcnt vmcnt(1)
	v_subrev_u32_e32 v11, s75, v6
	v_ashrrev_i32_e32 v12, 31, v11
	v_lshlrev_b64 v[13:14], 2, v[11:12]
	v_lshlrev_b64 v[15:16], 3, v[11:12]
	v_add_co_u32_e32 v35, vcc, s48, v13
	v_addc_co_u32_e32 v36, vcc, v17, v14, vcc
	s_waitcnt vmcnt(0)
	v_sub_u32_e32 v34, v10, v6
	v_add_co_u32_e32 v37, vcc, s50, v15
	v_cmp_lt_i32_e64 s[22:23], 0, v34
	v_addc_co_u32_e32 v38, vcc, v18, v16, vcc
	s_branch .LBB23_12
.LBB23_10:                              ;   in Loop: Header=BB23_12 Depth=3
	s_or_b64 exec, exec, s[28:29]
.LBB23_11:                              ;   in Loop: Header=BB23_12 Depth=3
	s_or_b64 exec, exec, s[24:25]
	v_add_u32_e32 v9, 4, v9
	v_cmp_ge_i32_e32 vcc, v9, v3
	s_or_b64 s[90:91], vcc, s[90:91]
	s_andn2_b64 exec, exec, s[90:91]
	s_cbranch_execz .LBB23_4
.LBB23_12:                              ;   Parent Loop BB23_3 Depth=1
                                        ;     Parent Loop BB23_7 Depth=2
                                        ; =>    This Loop Header: Depth=3
                                        ;         Child Loop BB23_16 Depth 4
                                        ;         Child Loop BB23_37 Depth 4
	;; [unrolled: 1-line block ×5, first 2 shown]
	v_ashrrev_i32_e32 v10, 31, v9
	v_lshlrev_b64 v[12:13], 2, v[9:10]
	v_mov_b32_e32 v6, s57
	v_add_co_u32_e32 v12, vcc, s56, v12
	v_addc_co_u32_e32 v13, vcc, v6, v13, vcc
	global_load_dword v6, v[12:13], off
	v_mov_b32_e32 v17, s37
	v_mov_b32_e32 v18, s39
	;; [unrolled: 1-line block ×3, first 2 shown]
	s_waitcnt vmcnt(0)
	v_subrev_u32_e32 v12, s74, v6
	v_ashrrev_i32_e32 v13, 31, v12
	v_lshlrev_b64 v[14:15], 2, v[12:13]
	v_add_co_u32_e32 v16, vcc, s36, v14
	v_addc_co_u32_e32 v17, vcc, v17, v15, vcc
	v_add_co_u32_e32 v14, vcc, s38, v14
	v_addc_co_u32_e32 v15, vcc, v18, v15, vcc
	global_load_dword v6, v[16:17], off
	s_nop 0
	global_load_dword v16, v[14:15], off
	v_mov_b32_e32 v14, 0
	v_mov_b32_e32 v15, 0
	s_waitcnt vmcnt(1)
	v_subrev_u32_e32 v18, s0, v6
	s_waitcnt vmcnt(0)
	v_sub_u32_e32 v39, v16, v6
	v_mov_b32_e32 v6, v19
	s_and_saveexec_b64 s[24:25], s[22:23]
	s_cbranch_execz .LBB23_20
; %bb.13:                               ;   in Loop: Header=BB23_12 Depth=3
	v_ashrrev_i32_e32 v19, 31, v18
	v_lshlrev_b64 v[14:15], 2, v[18:19]
	v_mov_b32_e32 v6, s41
	v_add_co_u32_e32 v16, vcc, s40, v14
	v_addc_co_u32_e32 v17, vcc, v6, v15, vcc
	v_lshlrev_b64 v[14:15], 3, v[18:19]
	v_mov_b32_e32 v6, s43
	v_add_co_u32_e32 v21, vcc, s42, v14
	v_addc_co_u32_e32 v22, vcc, v6, v15, vcc
	v_mov_b32_e32 v14, 0
	v_mov_b32_e32 v6, 0
	;; [unrolled: 1-line block ×3, first 2 shown]
	s_mov_b64 s[72:73], 0
	v_mov_b32_e32 v19, v6
                                        ; implicit-def: $sgpr76_sgpr77
	s_branch .LBB23_16
.LBB23_14:                              ;   in Loop: Header=BB23_16 Depth=4
	s_or_b64 exec, exec, s[28:29]
	v_cmp_le_i32_e32 vcc, v23, v24
	v_addc_co_u32_e32 v6, vcc, 0, v6, vcc
	v_cmp_ge_i32_e32 vcc, v23, v24
	v_addc_co_u32_e32 v19, vcc, 0, v19, vcc
	v_cmp_ge_i32_e32 vcc, v6, v34
	s_andn2_b64 s[28:29], s[76:77], exec
	s_and_b64 s[30:31], vcc, exec
	s_or_b64 s[76:77], s[28:29], s[30:31]
.LBB23_15:                              ;   in Loop: Header=BB23_16 Depth=4
	s_or_b64 exec, exec, s[60:61]
	s_and_b64 s[28:29], exec, s[76:77]
	s_or_b64 s[72:73], s[28:29], s[72:73]
	s_andn2_b64 exec, exec, s[72:73]
	s_cbranch_execz .LBB23_19
.LBB23_16:                              ;   Parent Loop BB23_3 Depth=1
                                        ;     Parent Loop BB23_7 Depth=2
                                        ;       Parent Loop BB23_12 Depth=3
                                        ; =>      This Inner Loop Header: Depth=4
	v_cmp_lt_i32_e32 vcc, v19, v39
	s_or_b64 s[76:77], s[76:77], exec
	s_and_saveexec_b64 s[60:61], vcc
	s_cbranch_execz .LBB23_15
; %bb.17:                               ;   in Loop: Header=BB23_16 Depth=4
	v_lshlrev_b64 v[23:24], 2, v[6:7]
	v_mov_b32_e32 v20, v7
	v_add_co_u32_e32 v23, vcc, v35, v23
	v_addc_co_u32_e32 v24, vcc, v36, v24, vcc
	global_load_dword v25, v[23:24], off
	v_lshlrev_b64 v[23:24], 2, v[19:20]
	v_add_co_u32_e32 v23, vcc, v16, v23
	v_addc_co_u32_e32 v24, vcc, v17, v24, vcc
	global_load_dword v24, v[23:24], off
	s_waitcnt vmcnt(1)
	v_subrev_u32_e32 v23, s75, v25
	s_waitcnt vmcnt(0)
	v_subrev_u32_e32 v24, s0, v24
	v_cmp_eq_u32_e32 vcc, v23, v24
	s_and_saveexec_b64 s[28:29], vcc
	s_cbranch_execz .LBB23_14
; %bb.18:                               ;   in Loop: Header=BB23_16 Depth=4
	v_lshlrev_b64 v[40:41], 3, v[6:7]
	v_lshlrev_b64 v[42:43], 3, v[19:20]
	v_add_co_u32_e32 v40, vcc, v37, v40
	v_addc_co_u32_e32 v41, vcc, v38, v41, vcc
	v_add_co_u32_e32 v42, vcc, v21, v42
	v_addc_co_u32_e32 v43, vcc, v22, v43, vcc
	global_load_dwordx2 v[40:41], v[40:41], off
	s_nop 0
	global_load_dwordx2 v[42:43], v[42:43], off
	s_waitcnt vmcnt(0)
	v_fma_f64 v[14:15], v[40:41], v[42:43], v[14:15]
	s_branch .LBB23_14
.LBB23_19:                              ;   in Loop: Header=BB23_12 Depth=3
	s_or_b64 exec, exec, s[72:73]
.LBB23_20:                              ;   in Loop: Header=BB23_12 Depth=3
	s_or_b64 exec, exec, s[24:25]
	v_lshlrev_b64 v[16:17], 3, v[9:10]
	v_mov_b32_e32 v10, s59
	v_add_co_u32_e32 v16, vcc, s58, v16
	v_addc_co_u32_e32 v17, vcc, v10, v17, vcc
	global_load_dwordx2 v[16:17], v[16:17], off
	v_cmp_le_i32_e64 s[24:25], v8, v12
	v_cmp_gt_i32_e32 vcc, v8, v12
	s_waitcnt vmcnt(0)
	v_add_f64 v[20:21], v[16:17], -v[14:15]
	s_and_saveexec_b64 s[28:29], vcc
	s_cbranch_execnz .LBB23_23
; %bb.21:                               ;   in Loop: Header=BB23_12 Depth=3
	s_or_b64 exec, exec, s[28:29]
	v_cmp_class_f64_e64 s[92:93], v[20:21], s2
	s_and_saveexec_b64 s[94:95], s[92:93]
	s_cbranch_execnz .LBB23_26
.LBB23_22:                              ;   in Loop: Header=BB23_12 Depth=3
	s_or_b64 exec, exec, s[94:95]
	s_and_b64 s[28:29], s[26:27], s[92:93]
	s_and_saveexec_b64 s[24:25], s[28:29]
	s_cbranch_execz .LBB23_11
	s_branch .LBB23_61
.LBB23_23:                              ;   in Loop: Header=BB23_12 Depth=3
	v_lshlrev_b64 v[22:23], 3, v[12:13]
	v_mov_b32_e32 v10, s65
	v_add_co_u32_e32 v22, vcc, s64, v22
	v_addc_co_u32_e32 v23, vcc, v10, v23, vcc
	global_load_dwordx2 v[22:23], v[22:23], off
	v_mov_b32_e32 v24, 0
	v_mov_b32_e32 v25, 0
	s_waitcnt vmcnt(0)
	v_cmp_lg_f64_e32 vcc, 0, v[22:23]
	s_and_saveexec_b64 s[30:31], vcc
	s_cbranch_execz .LBB23_25
; %bb.24:                               ;   in Loop: Header=BB23_12 Depth=3
	v_div_scale_f64 v[24:25], s[60:61], v[22:23], v[22:23], v[20:21]
	v_div_scale_f64 v[44:45], vcc, v[20:21], v[22:23], v[20:21]
	v_rcp_f64_e32 v[40:41], v[24:25]
	v_fma_f64 v[42:43], -v[24:25], v[40:41], 1.0
	v_fma_f64 v[40:41], v[40:41], v[42:43], v[40:41]
	v_fma_f64 v[42:43], -v[24:25], v[40:41], 1.0
	v_fma_f64 v[40:41], v[40:41], v[42:43], v[40:41]
	v_mul_f64 v[42:43], v[44:45], v[40:41]
	v_fma_f64 v[24:25], -v[24:25], v[42:43], v[44:45]
	v_div_fmas_f64 v[24:25], v[24:25], v[40:41], v[42:43]
	v_div_fixup_f64 v[24:25], v[24:25], v[22:23], v[20:21]
.LBB23_25:                              ;   in Loop: Header=BB23_12 Depth=3
	s_or_b64 exec, exec, s[30:31]
	v_mov_b32_e32 v20, v24
	v_mov_b32_e32 v21, v25
	s_or_b64 exec, exec, s[28:29]
	v_cmp_class_f64_e64 s[92:93], v[20:21], s2
	s_and_saveexec_b64 s[94:95], s[92:93]
	s_cbranch_execz .LBB23_22
.LBB23_26:                              ;   in Loop: Header=BB23_12 Depth=3
	s_and_saveexec_b64 s[28:29], s[24:25]
	s_xor_b64 s[24:25], exec, s[28:29]
	s_cbranch_execz .LBB23_47
; %bb.27:                               ;   in Loop: Header=BB23_12 Depth=3
	v_cmp_ge_i32_e32 vcc, v8, v12
	s_and_saveexec_b64 s[28:29], vcc
	s_xor_b64 s[28:29], exec, s[28:29]
	s_cbranch_execz .LBB23_33
; %bb.28:                               ;   in Loop: Header=BB23_12 Depth=3
	v_lshlrev_b64 v[22:23], 3, v[12:13]
	v_mov_b32_e32 v10, s67
	v_add_co_u32_e32 v24, vcc, s66, v22
	v_addc_co_u32_e32 v25, vcc, v10, v23, vcc
	s_andn2_b64 vcc, exec, s[34:35]
	global_store_dwordx2 v[24:25], v[20:21], off
	s_cbranch_vccnz .LBB23_32
; %bb.29:                               ;   in Loop: Header=BB23_12 Depth=3
	v_mov_b32_e32 v10, s65
	v_add_co_u32_e32 v22, vcc, s64, v22
	v_addc_co_u32_e32 v23, vcc, v10, v23, vcc
	global_load_dwordx2 v[22:23], v[22:23], off
	s_waitcnt vmcnt(0)
	v_add_f64 v[20:21], v[22:23], -v[20:21]
	v_cmp_class_f64_e64 s[60:61], v[20:21], s2
	s_and_saveexec_b64 s[30:31], s[60:61]
	s_cbranch_execz .LBB23_31
; %bb.30:                               ;   in Loop: Header=BB23_12 Depth=3
	v_cmp_lt_f64_e64 vcc, v[1:2], |v[20:21]|
	v_and_b32_e32 v10, 0x7fffffff, v21
	v_cndmask_b32_e32 v2, v2, v10, vcc
	v_cndmask_b32_e32 v1, v1, v20, vcc
.LBB23_31:                              ;   in Loop: Header=BB23_12 Depth=3
	s_or_b64 exec, exec, s[30:31]
.LBB23_32:                              ;   in Loop: Header=BB23_12 Depth=3
                                        ; implicit-def: $vgpr20_vgpr21
.LBB23_33:                              ;   in Loop: Header=BB23_12 Depth=3
	s_andn2_saveexec_b64 s[72:73], s[28:29]
	s_cbranch_execz .LBB23_46
; %bb.34:                               ;   in Loop: Header=BB23_12 Depth=3
	v_cmp_lt_i32_e32 vcc, v19, v39
	s_and_saveexec_b64 s[76:77], vcc
	s_cbranch_execz .LBB23_45
; %bb.35:                               ;   in Loop: Header=BB23_12 Depth=3
	s_mov_b64 s[82:83], 0
	v_mov_b32_e32 v10, v19
                                        ; implicit-def: $sgpr60_sgpr61
                                        ; implicit-def: $sgpr28_sgpr29
                                        ; implicit-def: $sgpr62_sgpr63
	s_branch .LBB23_37
.LBB23_36:                              ;   in Loop: Header=BB23_37 Depth=4
	s_or_b64 exec, exec, s[30:31]
	s_and_b64 s[30:31], exec, s[28:29]
	s_or_b64 s[82:83], s[30:31], s[82:83]
	s_andn2_b64 s[30:31], s[60:61], exec
	s_and_b64 s[60:61], s[62:63], exec
	s_or_b64 s[60:61], s[30:31], s[60:61]
	s_andn2_b64 exec, exec, s[82:83]
	s_cbranch_execz .LBB23_39
.LBB23_37:                              ;   Parent Loop BB23_3 Depth=1
                                        ;     Parent Loop BB23_7 Depth=2
                                        ;       Parent Loop BB23_12 Depth=3
                                        ; =>      This Inner Loop Header: Depth=4
	v_add_u32_e32 v22, v18, v10
	v_ashrrev_i32_e32 v23, 31, v22
	v_lshlrev_b64 v[24:25], 2, v[22:23]
	v_mov_b32_e32 v40, s41
	v_add_co_u32_e32 v24, vcc, s40, v24
	v_addc_co_u32_e32 v25, vcc, v40, v25, vcc
	global_load_dword v24, v[24:25], off
	s_or_b64 s[62:63], s[62:63], exec
	s_or_b64 s[28:29], s[28:29], exec
	s_waitcnt vmcnt(0)
	v_subrev_u32_e32 v24, s0, v24
	v_cmp_ne_u32_e32 vcc, v24, v8
	s_and_saveexec_b64 s[30:31], vcc
	s_cbranch_execz .LBB23_36
; %bb.38:                               ;   in Loop: Header=BB23_37 Depth=4
	v_add_u32_e32 v10, 1, v10
	v_cmp_ge_i32_e32 vcc, v10, v39
	s_andn2_b64 s[28:29], s[28:29], exec
	s_and_b64 vcc, vcc, exec
	s_andn2_b64 s[62:63], s[62:63], exec
	s_or_b64 s[28:29], s[28:29], vcc
	s_branch .LBB23_36
.LBB23_39:                              ;   in Loop: Header=BB23_12 Depth=3
	s_or_b64 exec, exec, s[82:83]
	s_and_saveexec_b64 s[28:29], s[60:61]
	s_xor_b64 s[28:29], exec, s[28:29]
	s_cbranch_execz .LBB23_44
; %bb.40:                               ;   in Loop: Header=BB23_12 Depth=3
	v_lshlrev_b64 v[22:23], 3, v[22:23]
	v_mov_b32_e32 v10, s81
	v_add_co_u32_e32 v24, vcc, s80, v22
	v_addc_co_u32_e32 v25, vcc, v10, v23, vcc
	s_andn2_b64 vcc, exec, s[34:35]
	global_store_dwordx2 v[24:25], v[20:21], off
	s_cbranch_vccnz .LBB23_44
; %bb.41:                               ;   in Loop: Header=BB23_12 Depth=3
	v_mov_b32_e32 v10, s43
	v_add_co_u32_e32 v22, vcc, s42, v22
	v_addc_co_u32_e32 v23, vcc, v10, v23, vcc
	global_load_dwordx2 v[22:23], v[22:23], off
	s_waitcnt vmcnt(0)
	v_add_f64 v[20:21], v[22:23], -v[20:21]
	v_cmp_class_f64_e64 s[60:61], v[20:21], s2
	s_and_saveexec_b64 s[30:31], s[60:61]
	s_cbranch_execz .LBB23_43
; %bb.42:                               ;   in Loop: Header=BB23_12 Depth=3
	v_cmp_lt_f64_e64 vcc, v[1:2], |v[20:21]|
	v_and_b32_e32 v10, 0x7fffffff, v21
	v_cndmask_b32_e32 v2, v2, v10, vcc
	v_cndmask_b32_e32 v1, v1, v20, vcc
.LBB23_43:                              ;   in Loop: Header=BB23_12 Depth=3
	s_or_b64 exec, exec, s[30:31]
.LBB23_44:                              ;   in Loop: Header=BB23_12 Depth=3
	s_or_b64 exec, exec, s[28:29]
.LBB23_45:                              ;   in Loop: Header=BB23_12 Depth=3
	s_or_b64 exec, exec, s[76:77]
.LBB23_46:                              ;   in Loop: Header=BB23_12 Depth=3
	s_or_b64 exec, exec, s[72:73]
                                        ; implicit-def: $vgpr20_vgpr21
.LBB23_47:                              ;   in Loop: Header=BB23_12 Depth=3
	s_andn2_saveexec_b64 s[24:25], s[24:25]
	s_cbranch_execz .LBB23_60
; %bb.48:                               ;   in Loop: Header=BB23_12 Depth=3
	v_cmp_lt_i32_e32 vcc, v6, v34
	s_and_saveexec_b64 s[72:73], vcc
	s_cbranch_execz .LBB23_59
; %bb.49:                               ;   in Loop: Header=BB23_12 Depth=3
	s_mov_b64 s[76:77], 0
	v_mov_b32_e32 v10, v6
                                        ; implicit-def: $sgpr60_sgpr61
                                        ; implicit-def: $sgpr28_sgpr29
                                        ; implicit-def: $sgpr62_sgpr63
	s_branch .LBB23_51
.LBB23_50:                              ;   in Loop: Header=BB23_51 Depth=4
	s_or_b64 exec, exec, s[30:31]
	s_and_b64 s[30:31], exec, s[28:29]
	s_or_b64 s[76:77], s[30:31], s[76:77]
	s_andn2_b64 s[30:31], s[60:61], exec
	s_and_b64 s[60:61], s[62:63], exec
	s_or_b64 s[60:61], s[30:31], s[60:61]
	s_andn2_b64 exec, exec, s[76:77]
	s_cbranch_execz .LBB23_53
.LBB23_51:                              ;   Parent Loop BB23_3 Depth=1
                                        ;     Parent Loop BB23_7 Depth=2
                                        ;       Parent Loop BB23_12 Depth=3
                                        ; =>      This Inner Loop Header: Depth=4
	v_add_u32_e32 v22, v11, v10
	v_ashrrev_i32_e32 v23, 31, v22
	v_lshlrev_b64 v[24:25], 2, v[22:23]
	v_mov_b32_e32 v40, s49
	v_add_co_u32_e32 v24, vcc, s48, v24
	v_addc_co_u32_e32 v25, vcc, v40, v25, vcc
	global_load_dword v24, v[24:25], off
	s_or_b64 s[62:63], s[62:63], exec
	s_or_b64 s[28:29], s[28:29], exec
	s_waitcnt vmcnt(0)
	v_subrev_u32_e32 v24, s75, v24
	v_cmp_ne_u32_e32 vcc, v24, v12
	s_and_saveexec_b64 s[30:31], vcc
	s_cbranch_execz .LBB23_50
; %bb.52:                               ;   in Loop: Header=BB23_51 Depth=4
	v_add_u32_e32 v10, 1, v10
	v_cmp_ge_i32_e32 vcc, v10, v34
	s_andn2_b64 s[28:29], s[28:29], exec
	s_and_b64 s[82:83], vcc, exec
	s_andn2_b64 s[62:63], s[62:63], exec
	s_or_b64 s[28:29], s[28:29], s[82:83]
	s_branch .LBB23_50
.LBB23_53:                              ;   in Loop: Header=BB23_12 Depth=3
	s_or_b64 exec, exec, s[76:77]
	s_and_saveexec_b64 s[28:29], s[60:61]
	s_xor_b64 s[28:29], exec, s[28:29]
	s_cbranch_execz .LBB23_58
; %bb.54:                               ;   in Loop: Header=BB23_12 Depth=3
	v_lshlrev_b64 v[22:23], 3, v[22:23]
	v_mov_b32_e32 v10, s79
	v_add_co_u32_e32 v24, vcc, s78, v22
	v_addc_co_u32_e32 v25, vcc, v10, v23, vcc
	s_andn2_b64 vcc, exec, s[34:35]
	global_store_dwordx2 v[24:25], v[20:21], off
	s_cbranch_vccnz .LBB23_58
; %bb.55:                               ;   in Loop: Header=BB23_12 Depth=3
	v_mov_b32_e32 v10, s51
	v_add_co_u32_e32 v22, vcc, s50, v22
	v_addc_co_u32_e32 v23, vcc, v10, v23, vcc
	global_load_dwordx2 v[22:23], v[22:23], off
	s_waitcnt vmcnt(0)
	v_add_f64 v[20:21], v[22:23], -v[20:21]
	v_cmp_class_f64_e64 s[60:61], v[20:21], s2
	s_and_saveexec_b64 s[30:31], s[60:61]
	s_cbranch_execz .LBB23_57
; %bb.56:                               ;   in Loop: Header=BB23_12 Depth=3
	v_cmp_lt_f64_e64 vcc, v[1:2], |v[20:21]|
	v_and_b32_e32 v10, 0x7fffffff, v21
	v_cndmask_b32_e32 v2, v2, v10, vcc
	v_cndmask_b32_e32 v1, v1, v20, vcc
.LBB23_57:                              ;   in Loop: Header=BB23_12 Depth=3
	s_or_b64 exec, exec, s[30:31]
.LBB23_58:                              ;   in Loop: Header=BB23_12 Depth=3
	s_or_b64 exec, exec, s[28:29]
.LBB23_59:                              ;   in Loop: Header=BB23_12 Depth=3
	s_or_b64 exec, exec, s[72:73]
.LBB23_60:                              ;   in Loop: Header=BB23_12 Depth=3
	s_or_b64 exec, exec, s[24:25]
	s_or_b64 exec, exec, s[94:95]
	s_and_b64 s[28:29], s[26:27], s[92:93]
	s_and_saveexec_b64 s[24:25], s[28:29]
	s_cbranch_execz .LBB23_11
.LBB23_61:                              ;   in Loop: Header=BB23_12 Depth=3
	v_cmp_ge_i32_e32 vcc, v19, v39
	s_and_saveexec_b64 s[28:29], vcc
	s_xor_b64 s[72:73], exec, s[28:29]
	s_cbranch_execnz .LBB23_67
; %bb.62:                               ;   in Loop: Header=BB23_12 Depth=3
	s_andn2_saveexec_b64 s[72:73], s[72:73]
	s_cbranch_execnz .LBB23_76
.LBB23_63:                              ;   in Loop: Header=BB23_12 Depth=3
	s_or_b64 exec, exec, s[72:73]
	v_cmp_eq_u32_e32 vcc, v8, v12
	s_and_saveexec_b64 s[28:29], vcc
	s_cbranch_execz .LBB23_65
.LBB23_64:                              ;   in Loop: Header=BB23_12 Depth=3
	v_lshlrev_b64 v[12:13], 3, v[12:13]
	v_mov_b32_e32 v6, s65
	v_add_co_u32_e32 v12, vcc, s64, v12
	v_addc_co_u32_e32 v13, vcc, v6, v13, vcc
	global_load_dwordx2 v[12:13], v[12:13], off
	s_waitcnt vmcnt(0)
	v_add_f64 v[14:15], v[14:15], v[12:13]
.LBB23_65:                              ;   in Loop: Header=BB23_12 Depth=3
	s_or_b64 exec, exec, s[28:29]
	v_add_f64 v[12:13], v[16:17], -v[14:15]
	v_cmp_class_f64_e64 s[30:31], v[12:13], s2
	s_and_saveexec_b64 s[28:29], s[30:31]
	s_cbranch_execz .LBB23_10
; %bb.66:                               ;   in Loop: Header=BB23_12 Depth=3
	v_cmp_lt_f64_e64 vcc, v[4:5], |v[12:13]|
	v_and_b32_e32 v6, 0x7fffffff, v13
	v_cndmask_b32_e32 v5, v5, v6, vcc
	v_cndmask_b32_e32 v4, v4, v12, vcc
	s_branch .LBB23_10
.LBB23_67:                              ;   in Loop: Header=BB23_12 Depth=3
	v_cmp_lt_i32_e32 vcc, v6, v34
	s_and_saveexec_b64 s[76:77], vcc
	s_cbranch_execz .LBB23_75
; %bb.68:                               ;   in Loop: Header=BB23_12 Depth=3
	s_mov_b64 s[82:83], 0
                                        ; implicit-def: $sgpr60_sgpr61
                                        ; implicit-def: $sgpr28_sgpr29
                                        ; implicit-def: $sgpr62_sgpr63
	s_branch .LBB23_70
.LBB23_69:                              ;   in Loop: Header=BB23_70 Depth=4
	s_or_b64 exec, exec, s[30:31]
	s_and_b64 s[30:31], exec, s[28:29]
	s_or_b64 s[82:83], s[30:31], s[82:83]
	s_andn2_b64 s[30:31], s[60:61], exec
	s_and_b64 s[60:61], s[62:63], exec
	s_or_b64 s[60:61], s[30:31], s[60:61]
	s_andn2_b64 exec, exec, s[82:83]
	s_cbranch_execz .LBB23_72
.LBB23_70:                              ;   Parent Loop BB23_3 Depth=1
                                        ;     Parent Loop BB23_7 Depth=2
                                        ;       Parent Loop BB23_12 Depth=3
                                        ; =>      This Inner Loop Header: Depth=4
	v_add_u32_e32 v18, v11, v6
	v_ashrrev_i32_e32 v19, 31, v18
	v_lshlrev_b64 v[20:21], 2, v[18:19]
	v_mov_b32_e32 v10, s49
	v_add_co_u32_e32 v20, vcc, s48, v20
	v_addc_co_u32_e32 v21, vcc, v10, v21, vcc
	global_load_dword v10, v[20:21], off
	s_or_b64 s[62:63], s[62:63], exec
	s_or_b64 s[28:29], s[28:29], exec
	s_waitcnt vmcnt(0)
	v_subrev_u32_e32 v10, s75, v10
	v_cmp_ne_u32_e32 vcc, v10, v12
	s_and_saveexec_b64 s[30:31], vcc
	s_cbranch_execz .LBB23_69
; %bb.71:                               ;   in Loop: Header=BB23_70 Depth=4
	v_add_u32_e32 v6, 1, v6
	v_cmp_ge_i32_e32 vcc, v6, v34
	s_andn2_b64 s[28:29], s[28:29], exec
	s_and_b64 s[92:93], vcc, exec
	s_andn2_b64 s[62:63], s[62:63], exec
	s_or_b64 s[28:29], s[28:29], s[92:93]
	s_branch .LBB23_69
.LBB23_72:                              ;   in Loop: Header=BB23_12 Depth=3
	s_or_b64 exec, exec, s[82:83]
	s_and_saveexec_b64 s[28:29], s[60:61]
	s_xor_b64 s[28:29], exec, s[28:29]
	s_cbranch_execz .LBB23_74
; %bb.73:                               ;   in Loop: Header=BB23_12 Depth=3
	v_lshlrev_b64 v[18:19], 3, v[18:19]
	v_mov_b32_e32 v6, s51
	v_add_co_u32_e32 v18, vcc, s50, v18
	v_lshlrev_b64 v[20:21], 3, v[12:13]
	v_addc_co_u32_e32 v19, vcc, v6, v19, vcc
	v_mov_b32_e32 v6, s65
	v_add_co_u32_e32 v20, vcc, s64, v20
	v_addc_co_u32_e32 v21, vcc, v6, v21, vcc
	global_load_dwordx2 v[18:19], v[18:19], off
	s_nop 0
	global_load_dwordx2 v[20:21], v[20:21], off
	s_waitcnt vmcnt(0)
	v_fma_f64 v[14:15], v[18:19], v[20:21], v[14:15]
.LBB23_74:                              ;   in Loop: Header=BB23_12 Depth=3
	s_or_b64 exec, exec, s[28:29]
.LBB23_75:                              ;   in Loop: Header=BB23_12 Depth=3
	s_or_b64 exec, exec, s[76:77]
                                        ; implicit-def: $vgpr19
                                        ; implicit-def: $vgpr18
                                        ; implicit-def: $vgpr39
	s_andn2_saveexec_b64 s[72:73], s[72:73]
	s_cbranch_execz .LBB23_63
.LBB23_76:                              ;   in Loop: Header=BB23_12 Depth=3
	s_mov_b64 s[76:77], 0
                                        ; implicit-def: $sgpr60_sgpr61
                                        ; implicit-def: $sgpr28_sgpr29
                                        ; implicit-def: $sgpr62_sgpr63
	s_branch .LBB23_78
.LBB23_77:                              ;   in Loop: Header=BB23_78 Depth=4
	s_or_b64 exec, exec, s[30:31]
	s_and_b64 s[30:31], exec, s[28:29]
	s_or_b64 s[76:77], s[30:31], s[76:77]
	s_andn2_b64 s[30:31], s[60:61], exec
	s_and_b64 s[60:61], s[62:63], exec
	s_or_b64 s[60:61], s[30:31], s[60:61]
	s_andn2_b64 exec, exec, s[76:77]
	s_cbranch_execz .LBB23_80
.LBB23_78:                              ;   Parent Loop BB23_3 Depth=1
                                        ;     Parent Loop BB23_7 Depth=2
                                        ;       Parent Loop BB23_12 Depth=3
                                        ; =>      This Inner Loop Header: Depth=4
	v_add_u32_e32 v20, v18, v19
	v_ashrrev_i32_e32 v21, 31, v20
	v_lshlrev_b64 v[22:23], 2, v[20:21]
	v_mov_b32_e32 v6, s41
	v_add_co_u32_e32 v22, vcc, s40, v22
	v_addc_co_u32_e32 v23, vcc, v6, v23, vcc
	global_load_dword v6, v[22:23], off
	s_or_b64 s[62:63], s[62:63], exec
	s_or_b64 s[28:29], s[28:29], exec
	s_waitcnt vmcnt(0)
	v_subrev_u32_e32 v6, s0, v6
	v_cmp_ne_u32_e32 vcc, v6, v8
	s_and_saveexec_b64 s[30:31], vcc
	s_cbranch_execz .LBB23_77
; %bb.79:                               ;   in Loop: Header=BB23_78 Depth=4
	v_add_u32_e32 v19, 1, v19
	v_cmp_ge_i32_e32 vcc, v19, v39
	s_andn2_b64 s[28:29], s[28:29], exec
	s_and_b64 s[82:83], vcc, exec
	s_andn2_b64 s[62:63], s[62:63], exec
	s_or_b64 s[28:29], s[28:29], s[82:83]
	s_branch .LBB23_77
.LBB23_80:                              ;   in Loop: Header=BB23_12 Depth=3
	s_or_b64 exec, exec, s[76:77]
	s_and_saveexec_b64 s[28:29], s[60:61]
	s_xor_b64 s[28:29], exec, s[28:29]
	s_cbranch_execz .LBB23_82
; %bb.81:                               ;   in Loop: Header=BB23_12 Depth=3
	v_lshlrev_b64 v[18:19], 3, v[20:21]
	v_mov_b32_e32 v6, s43
	v_add_co_u32_e32 v18, vcc, s42, v18
	v_addc_co_u32_e32 v19, vcc, v6, v19, vcc
	global_load_dwordx2 v[18:19], v[18:19], off
	s_waitcnt vmcnt(0)
	v_add_f64 v[14:15], v[14:15], v[18:19]
.LBB23_82:                              ;   in Loop: Header=BB23_12 Depth=3
	s_or_b64 exec, exec, s[28:29]
	s_or_b64 exec, exec, s[72:73]
	v_cmp_eq_u32_e32 vcc, v8, v12
	s_and_saveexec_b64 s[28:29], vcc
	s_cbranch_execnz .LBB23_64
	s_branch .LBB23_65
.LBB23_83:                              ;   in Loop: Header=BB23_3 Depth=1
	s_and_b64 vcc, exec, s[34:35]
	s_cbranch_vccz .LBB23_103
; %bb.84:                               ;   in Loop: Header=BB23_3 Depth=1
	v_mov_b32_dpp v8, v1 row_shr:1 row_mask:0xf bank_mask:0xf
	v_mov_b32_dpp v9, v2 row_shr:1 row_mask:0xf bank_mask:0xf
	v_cmp_lt_f64_e32 vcc, v[1:2], v[8:9]
	v_cndmask_b32_e32 v2, v2, v9, vcc
	v_cndmask_b32_e32 v1, v1, v8, vcc
	s_nop 0
	v_mov_b32_dpp v3, v2 row_shr:2 row_mask:0xf bank_mask:0xf
	v_mov_b32_dpp v8, v1 row_shr:2 row_mask:0xf bank_mask:0xf
	s_mov_b64 s[22:23], exec
	v_readlane_b32 s24, v46, 16
	v_readlane_b32 s25, v46, 17
	s_and_b64 s[24:25], s[22:23], s[24:25]
	s_mov_b64 exec, s[24:25]
	s_cbranch_execz .LBB23_86
; %bb.85:                               ;   in Loop: Header=BB23_3 Depth=1
	v_mov_b32_e32 v9, v3
	v_cmp_lt_f64_e32 vcc, v[1:2], v[8:9]
	v_cndmask_b32_e32 v2, v2, v3, vcc
	v_cndmask_b32_e32 v1, v1, v8, vcc
	ds_write_b64 v31, v[1:2]
.LBB23_86:                              ;   in Loop: Header=BB23_3 Depth=1
	s_or_b64 exec, exec, s[22:23]
	s_waitcnt vmcnt(0) lgkmcnt(0)
	s_barrier
	s_and_saveexec_b64 s[22:23], s[4:5]
	s_cbranch_execz .LBB23_88
; %bb.87:                               ;   in Loop: Header=BB23_3 Depth=1
	ds_read2st64_b64 v[8:11], v29 offset1:2
	s_waitcnt lgkmcnt(0)
	v_cmp_lt_f64_e32 vcc, v[8:9], v[10:11]
	v_cndmask_b32_e32 v2, v9, v11, vcc
	v_cndmask_b32_e32 v1, v8, v10, vcc
	ds_write_b64 v29, v[1:2]
.LBB23_88:                              ;   in Loop: Header=BB23_3 Depth=1
	s_or_b64 exec, exec, s[22:23]
	s_waitcnt lgkmcnt(0)
	s_barrier
	s_and_saveexec_b64 s[22:23], s[6:7]
	s_cbranch_execz .LBB23_90
; %bb.89:                               ;   in Loop: Header=BB23_3 Depth=1
	ds_read2st64_b64 v[8:11], v29 offset1:1
	s_waitcnt lgkmcnt(0)
	v_cmp_lt_f64_e32 vcc, v[8:9], v[10:11]
	v_cndmask_b32_e32 v2, v9, v11, vcc
	v_cndmask_b32_e32 v1, v8, v10, vcc
	ds_write_b64 v29, v[1:2]
.LBB23_90:                              ;   in Loop: Header=BB23_3 Depth=1
	s_or_b64 exec, exec, s[22:23]
	s_waitcnt lgkmcnt(0)
	s_barrier
	s_and_saveexec_b64 s[22:23], s[8:9]
	s_cbranch_execz .LBB23_92
; %bb.91:                               ;   in Loop: Header=BB23_3 Depth=1
	ds_read2_b64 v[8:11], v29 offset1:32
	s_waitcnt lgkmcnt(0)
	v_cmp_lt_f64_e32 vcc, v[8:9], v[10:11]
	v_cndmask_b32_e32 v2, v9, v11, vcc
	v_cndmask_b32_e32 v1, v8, v10, vcc
	ds_write_b64 v29, v[1:2]
.LBB23_92:                              ;   in Loop: Header=BB23_3 Depth=1
	s_or_b64 exec, exec, s[22:23]
	s_waitcnt lgkmcnt(0)
	s_barrier
	s_and_saveexec_b64 s[22:23], s[10:11]
	s_cbranch_execz .LBB23_94
; %bb.93:                               ;   in Loop: Header=BB23_3 Depth=1
	ds_read2_b64 v[8:11], v29 offset1:16
	s_waitcnt lgkmcnt(0)
	v_cmp_lt_f64_e32 vcc, v[8:9], v[10:11]
	v_cndmask_b32_e32 v2, v9, v11, vcc
	v_cndmask_b32_e32 v1, v8, v10, vcc
	ds_write_b64 v29, v[1:2]
.LBB23_94:                              ;   in Loop: Header=BB23_3 Depth=1
	;; [unrolled: 13-line block ×4, first 2 shown]
	s_or_b64 exec, exec, s[22:23]
	s_waitcnt lgkmcnt(0)
	s_barrier
	s_and_saveexec_b64 s[22:23], s[16:17]
	s_cbranch_execz .LBB23_100
; %bb.99:                               ;   in Loop: Header=BB23_3 Depth=1
	ds_read2_b64 v[8:11], v29 offset1:2
	s_waitcnt lgkmcnt(0)
	v_cmp_lt_f64_e32 vcc, v[8:9], v[10:11]
	v_cndmask_b32_e32 v2, v9, v11, vcc
	v_cndmask_b32_e32 v1, v8, v10, vcc
	ds_write_b64 v29, v[1:2]
.LBB23_100:                             ;   in Loop: Header=BB23_3 Depth=1
	s_or_b64 exec, exec, s[22:23]
	s_waitcnt lgkmcnt(0)
	s_barrier
	s_and_saveexec_b64 s[22:23], s[18:19]
	s_cbranch_execz .LBB23_102
; %bb.101:                              ;   in Loop: Header=BB23_3 Depth=1
	ds_read_b128 v[8:11], v7
	s_waitcnt lgkmcnt(0)
	v_cmp_lt_f64_e32 vcc, v[8:9], v[10:11]
	v_cndmask_b32_e32 v2, v9, v11, vcc
	v_cndmask_b32_e32 v1, v8, v10, vcc
	ds_write_b64 v7, v[1:2]
.LBB23_102:                             ;   in Loop: Header=BB23_3 Depth=1
	s_or_b64 exec, exec, s[22:23]
	v_readlane_b32 s22, v46, 10
	v_readlane_b32 s23, v46, 11
	s_waitcnt lgkmcnt(0)
	s_barrier
	ds_read_b64 v[1:2], v7
	s_load_dwordx2 s[22:23], s[22:23], 0x0
	s_waitcnt lgkmcnt(0)
	v_div_scale_f64 v[8:9], s[24:25], s[22:23], s[22:23], v[1:2]
	v_div_scale_f64 v[14:15], vcc, v[1:2], s[22:23], v[1:2]
	v_rcp_f64_e32 v[10:11], v[8:9]
	v_fma_f64 v[12:13], -v[8:9], v[10:11], 1.0
	v_fma_f64 v[10:11], v[10:11], v[12:13], v[10:11]
	v_fma_f64 v[12:13], -v[8:9], v[10:11], 1.0
	v_fma_f64 v[10:11], v[10:11], v[12:13], v[10:11]
	v_mul_f64 v[12:13], v[14:15], v[10:11]
	v_fma_f64 v[8:9], -v[8:9], v[12:13], v[14:15]
	v_div_fmas_f64 v[8:9], v[8:9], v[10:11], v[12:13]
	v_div_fixup_f64 v[1:2], v[8:9], s[22:23], v[1:2]
.LBB23_103:                             ;   in Loop: Header=BB23_3 Depth=1
	s_andn2_b64 vcc, exec, s[26:27]
	s_cbranch_vccnz .LBB23_123
; %bb.104:                              ;   in Loop: Header=BB23_3 Depth=1
	v_mov_b32_dpp v8, v4 row_shr:1 row_mask:0xf bank_mask:0xf
	v_mov_b32_dpp v9, v5 row_shr:1 row_mask:0xf bank_mask:0xf
	v_cmp_lt_f64_e32 vcc, v[4:5], v[8:9]
	v_cndmask_b32_e32 v5, v5, v9, vcc
	v_cndmask_b32_e32 v4, v4, v8, vcc
	s_nop 0
	v_mov_b32_dpp v3, v5 row_shr:2 row_mask:0xf bank_mask:0xf
	v_mov_b32_dpp v8, v4 row_shr:2 row_mask:0xf bank_mask:0xf
	s_mov_b64 s[22:23], exec
	v_readlane_b32 s24, v46, 16
	v_readlane_b32 s25, v46, 17
	s_and_b64 s[24:25], s[22:23], s[24:25]
	s_mov_b64 exec, s[24:25]
	s_cbranch_execz .LBB23_106
; %bb.105:                              ;   in Loop: Header=BB23_3 Depth=1
	v_mov_b32_e32 v9, v3
	v_cmp_lt_f64_e32 vcc, v[4:5], v[8:9]
	v_cndmask_b32_e32 v5, v5, v3, vcc
	v_cndmask_b32_e32 v4, v4, v8, vcc
	ds_write_b64 v31, v[4:5]
.LBB23_106:                             ;   in Loop: Header=BB23_3 Depth=1
	s_or_b64 exec, exec, s[22:23]
	s_waitcnt vmcnt(0) lgkmcnt(0)
	s_barrier
	s_and_saveexec_b64 s[22:23], s[4:5]
	s_cbranch_execz .LBB23_108
; %bb.107:                              ;   in Loop: Header=BB23_3 Depth=1
	ds_read2st64_b64 v[3:6], v29 offset1:2
	s_waitcnt lgkmcnt(0)
	v_cmp_lt_f64_e32 vcc, v[3:4], v[5:6]
	v_cndmask_b32_e32 v4, v4, v6, vcc
	v_cndmask_b32_e32 v3, v3, v5, vcc
	ds_write_b64 v29, v[3:4]
.LBB23_108:                             ;   in Loop: Header=BB23_3 Depth=1
	s_or_b64 exec, exec, s[22:23]
	s_waitcnt lgkmcnt(0)
	s_barrier
	s_and_saveexec_b64 s[22:23], s[6:7]
	s_cbranch_execz .LBB23_110
; %bb.109:                              ;   in Loop: Header=BB23_3 Depth=1
	ds_read2st64_b64 v[3:6], v29 offset1:1
	s_waitcnt lgkmcnt(0)
	v_cmp_lt_f64_e32 vcc, v[3:4], v[5:6]
	v_cndmask_b32_e32 v4, v4, v6, vcc
	v_cndmask_b32_e32 v3, v3, v5, vcc
	ds_write_b64 v29, v[3:4]
.LBB23_110:                             ;   in Loop: Header=BB23_3 Depth=1
	s_or_b64 exec, exec, s[22:23]
	s_waitcnt lgkmcnt(0)
	s_barrier
	s_and_saveexec_b64 s[22:23], s[8:9]
	s_cbranch_execz .LBB23_112
; %bb.111:                              ;   in Loop: Header=BB23_3 Depth=1
	ds_read2_b64 v[3:6], v29 offset1:32
	s_waitcnt lgkmcnt(0)
	v_cmp_lt_f64_e32 vcc, v[3:4], v[5:6]
	v_cndmask_b32_e32 v4, v4, v6, vcc
	v_cndmask_b32_e32 v3, v3, v5, vcc
	ds_write_b64 v29, v[3:4]
.LBB23_112:                             ;   in Loop: Header=BB23_3 Depth=1
	s_or_b64 exec, exec, s[22:23]
	s_waitcnt lgkmcnt(0)
	s_barrier
	s_and_saveexec_b64 s[22:23], s[10:11]
	s_cbranch_execz .LBB23_114
; %bb.113:                              ;   in Loop: Header=BB23_3 Depth=1
	ds_read2_b64 v[3:6], v29 offset1:16
	s_waitcnt lgkmcnt(0)
	v_cmp_lt_f64_e32 vcc, v[3:4], v[5:6]
	v_cndmask_b32_e32 v4, v4, v6, vcc
	v_cndmask_b32_e32 v3, v3, v5, vcc
	ds_write_b64 v29, v[3:4]
.LBB23_114:                             ;   in Loop: Header=BB23_3 Depth=1
	;; [unrolled: 13-line block ×5, first 2 shown]
	s_or_b64 exec, exec, s[22:23]
	s_waitcnt lgkmcnt(0)
	s_barrier
	s_and_saveexec_b64 s[22:23], s[18:19]
	s_cbranch_execz .LBB23_122
; %bb.121:                              ;   in Loop: Header=BB23_3 Depth=1
	ds_read_b128 v[3:6], v7
	s_waitcnt lgkmcnt(0)
	v_cmp_lt_f64_e32 vcc, v[3:4], v[5:6]
	v_cndmask_b32_e32 v4, v4, v6, vcc
	v_cndmask_b32_e32 v3, v3, v5, vcc
	ds_write_b64 v7, v[3:4]
.LBB23_122:                             ;   in Loop: Header=BB23_3 Depth=1
	s_or_b64 exec, exec, s[22:23]
	v_readlane_b32 s22, v46, 10
	v_readlane_b32 s23, v46, 11
	s_waitcnt lgkmcnt(0)
	s_barrier
	ds_read_b64 v[3:4], v7
	s_load_dwordx2 s[22:23], s[22:23], 0x0
	s_waitcnt lgkmcnt(0)
	v_div_scale_f64 v[5:6], s[24:25], s[22:23], s[22:23], v[3:4]
	v_div_scale_f64 v[12:13], vcc, v[3:4], s[22:23], v[3:4]
	v_rcp_f64_e32 v[8:9], v[5:6]
	v_fma_f64 v[10:11], -v[5:6], v[8:9], 1.0
	v_fma_f64 v[8:9], v[8:9], v[10:11], v[8:9]
	v_fma_f64 v[10:11], -v[5:6], v[8:9], 1.0
	v_fma_f64 v[8:9], v[8:9], v[10:11], v[8:9]
	v_mul_f64 v[10:11], v[12:13], v[8:9]
	v_fma_f64 v[5:6], -v[5:6], v[10:11], v[12:13]
	v_div_fmas_f64 v[5:6], v[5:6], v[8:9], v[10:11]
	v_div_fixup_f64 v[4:5], v[5:6], s[22:23], v[3:4]
.LBB23_123:                             ;   in Loop: Header=BB23_3 Depth=1
	s_mov_b64 s[22:23], exec
	v_readlane_b32 s24, v46, 14
	v_readlane_b32 s25, v46, 15
	s_and_b64 s[24:25], s[22:23], s[24:25]
	s_mov_b64 exec, s[24:25]
	s_cbranch_execz .LBB23_135
; %bb.124:                              ;   in Loop: Header=BB23_3 Depth=1
	s_mov_b64 s[24:25], 0
	v_mov_b32_e32 v8, v28
	s_branch .LBB23_126
.LBB23_125:                             ;   in Loop: Header=BB23_126 Depth=2
	s_or_b64 exec, exec, s[86:87]
	v_add_u32_e32 v8, 0x100, v8
	v_cmp_le_u32_e32 vcc, s1, v8
	s_or_b64 s[24:25], vcc, s[24:25]
	s_andn2_b64 exec, exec, s[24:25]
	s_cbranch_execz .LBB23_135
.LBB23_126:                             ;   Parent Loop BB23_3 Depth=1
                                        ; =>  This Loop Header: Depth=2
                                        ;       Child Loop BB23_129 Depth 3
                                        ;       Child Loop BB23_132 Depth 3
	v_cmp_gt_i32_e32 vcc, s33, v8
	s_and_saveexec_b64 s[86:87], vcc
	s_cbranch_execz .LBB23_125
; %bb.127:                              ;   in Loop: Header=BB23_126 Depth=2
	v_ashrrev_i32_e32 v9, 31, v8
	v_lshlrev_b64 v[10:11], 2, v[8:9]
	v_mov_b32_e32 v3, s45
	v_add_co_u32_e32 v12, vcc, s44, v10
	v_addc_co_u32_e32 v13, vcc, v3, v11, vcc
	global_load_dword v3, v[12:13], off
	v_mov_b32_e32 v6, s47
	v_add_co_u32_e32 v12, vcc, s46, v10
	v_addc_co_u32_e32 v13, vcc, v6, v11, vcc
	global_load_dword v6, v[12:13], off
	s_waitcnt vmcnt(1)
	v_add_u32_e32 v12, v32, v3
	s_waitcnt vmcnt(0)
	v_subrev_u32_e32 v3, s75, v6
	v_cmp_lt_i32_e32 vcc, v12, v3
	s_and_saveexec_b64 s[28:29], vcc
	s_cbranch_execz .LBB23_130
; %bb.128:                              ;   in Loop: Header=BB23_126 Depth=2
	v_ashrrev_i32_e32 v13, 31, v12
	v_lshlrev_b64 v[15:16], 3, v[12:13]
	v_mov_b32_e32 v6, s79
	v_add_co_u32_e32 v13, vcc, s78, v15
	v_addc_co_u32_e32 v14, vcc, v6, v16, vcc
	v_mov_b32_e32 v6, s51
	v_add_co_u32_e32 v15, vcc, s50, v15
	v_addc_co_u32_e32 v16, vcc, v6, v16, vcc
	s_mov_b64 s[30:31], 0
.LBB23_129:                             ;   Parent Loop BB23_3 Depth=1
                                        ;     Parent Loop BB23_126 Depth=2
                                        ; =>    This Inner Loop Header: Depth=3
	global_load_dwordx2 v[17:18], v[13:14], off
	v_add_co_u32_e32 v13, vcc, 32, v13
	v_add_u32_e32 v12, 4, v12
	v_addc_co_u32_e32 v14, vcc, 0, v14, vcc
	v_cmp_ge_i32_e32 vcc, v12, v3
	s_or_b64 s[30:31], vcc, s[30:31]
	s_waitcnt vmcnt(0)
	global_store_dwordx2 v[15:16], v[17:18], off
	v_add_co_u32_e32 v15, vcc, 32, v15
	v_addc_co_u32_e32 v16, vcc, 0, v16, vcc
	s_andn2_b64 exec, exec, s[30:31]
	s_cbranch_execnz .LBB23_129
.LBB23_130:                             ;   in Loop: Header=BB23_126 Depth=2
	s_or_b64 exec, exec, s[28:29]
	v_mov_b32_e32 v3, s37
	v_add_co_u32_e32 v12, vcc, s36, v10
	v_addc_co_u32_e32 v13, vcc, v3, v11, vcc
	v_mov_b32_e32 v6, s39
	v_add_co_u32_e32 v10, vcc, s38, v10
	v_addc_co_u32_e32 v11, vcc, v6, v11, vcc
	global_load_dword v3, v[12:13], off
	global_load_dword v6, v[10:11], off
	s_waitcnt vmcnt(1)
	v_add_u32_e32 v10, v33, v3
	s_waitcnt vmcnt(0)
	v_subrev_u32_e32 v3, s0, v6
	v_cmp_lt_i32_e32 vcc, v10, v3
	s_and_saveexec_b64 s[28:29], vcc
	s_cbranch_execz .LBB23_133
; %bb.131:                              ;   in Loop: Header=BB23_126 Depth=2
	v_ashrrev_i32_e32 v11, 31, v10
	v_lshlrev_b64 v[13:14], 3, v[10:11]
	v_mov_b32_e32 v6, s81
	v_add_co_u32_e32 v11, vcc, s80, v13
	v_addc_co_u32_e32 v12, vcc, v6, v14, vcc
	v_mov_b32_e32 v6, s43
	v_add_co_u32_e32 v13, vcc, s42, v13
	v_addc_co_u32_e32 v14, vcc, v6, v14, vcc
	s_mov_b64 s[30:31], 0
.LBB23_132:                             ;   Parent Loop BB23_3 Depth=1
                                        ;     Parent Loop BB23_126 Depth=2
                                        ; =>    This Inner Loop Header: Depth=3
	global_load_dwordx2 v[15:16], v[11:12], off
	v_add_co_u32_e32 v11, vcc, 32, v11
	v_add_u32_e32 v10, 4, v10
	v_addc_co_u32_e32 v12, vcc, 0, v12, vcc
	v_cmp_ge_i32_e32 vcc, v10, v3
	s_or_b64 s[30:31], vcc, s[30:31]
	s_waitcnt vmcnt(0)
	global_store_dwordx2 v[13:14], v[15:16], off
	v_add_co_u32_e32 v13, vcc, 32, v13
	v_addc_co_u32_e32 v14, vcc, 0, v14, vcc
	s_andn2_b64 exec, exec, s[30:31]
	s_cbranch_execnz .LBB23_132
.LBB23_133:                             ;   in Loop: Header=BB23_126 Depth=2
	s_or_b64 exec, exec, s[28:29]
	s_and_b64 exec, exec, s[20:21]
	s_cbranch_execz .LBB23_125
; %bb.134:                              ;   in Loop: Header=BB23_126 Depth=2
	v_lshlrev_b64 v[9:10], 3, v[8:9]
	v_mov_b32_e32 v3, s67
	v_add_co_u32_e32 v11, vcc, s66, v9
	v_addc_co_u32_e32 v12, vcc, v3, v10, vcc
	global_load_dwordx2 v[11:12], v[11:12], off
	v_mov_b32_e32 v3, s65
	v_add_co_u32_e32 v9, vcc, s64, v9
	v_addc_co_u32_e32 v10, vcc, v3, v10, vcc
	s_waitcnt vmcnt(0)
	global_store_dwordx2 v[9:10], v[11:12], off
	s_branch .LBB23_125
.LBB23_135:                             ;   in Loop: Header=BB23_3 Depth=1
	s_or_b64 exec, exec, s[22:23]
	s_mov_b64 s[24:25], -1
	s_and_b64 vcc, exec, s[68:69]
	s_mov_b64 s[28:29], -1
	s_cbranch_vccz .LBB23_145
; %bb.136:                              ;   in Loop: Header=BB23_3 Depth=1
	v_readlane_b32 s28, v46, 18
	v_readlane_b32 s29, v46, 19
	s_mov_b64 s[22:23], -1
	s_and_b64 vcc, exec, s[28:29]
                                        ; implicit-def: $sgpr28_sgpr29
	s_cbranch_vccz .LBB23_142
; %bb.137:                              ;   in Loop: Header=BB23_3 Depth=1
	v_readlane_b32 s28, v46, 12
	v_readlane_b32 s29, v46, 13
	s_and_b64 vcc, exec, s[28:29]
                                        ; implicit-def: $sgpr28_sgpr29
	s_cbranch_vccz .LBB23_139
; %bb.138:                              ;   in Loop: Header=BB23_3 Depth=1
	v_readlane_b32 s28, v46, 0
	v_readlane_b32 s29, v46, 1
	v_readlane_b32 s30, v46, 2
	v_readlane_b32 s31, v46, 3
	v_cmp_ge_f64_e64 s[28:29], s[30:31], v[4:5]
	s_mov_b64 s[22:23], 0
.LBB23_139:                             ;   in Loop: Header=BB23_3 Depth=1
	s_andn2_b64 vcc, exec, s[22:23]
	s_cbranch_vccnz .LBB23_141
; %bb.140:                              ;   in Loop: Header=BB23_3 Depth=1
	v_readlane_b32 s60, v46, 0
	v_readlane_b32 s62, v46, 2
	v_readlane_b32 s63, v46, 3
	v_cmp_ge_f64_e32 vcc, s[62:63], v[1:2]
	s_andn2_b64 s[22:23], s[28:29], exec
	v_readlane_b32 s61, v46, 1
	s_and_b64 s[28:29], vcc, exec
	s_or_b64 s[28:29], s[22:23], s[28:29]
.LBB23_141:                             ;   in Loop: Header=BB23_3 Depth=1
	s_mov_b64 s[22:23], 0
.LBB23_142:                             ;   in Loop: Header=BB23_3 Depth=1
	s_andn2_b64 vcc, exec, s[22:23]
	s_cbranch_vccnz .LBB23_144
; %bb.143:                              ;   in Loop: Header=BB23_3 Depth=1
	v_readlane_b32 s60, v46, 0
	v_readlane_b32 s62, v46, 2
	;; [unrolled: 1-line block ×3, first 2 shown]
	v_cmp_ge_f64_e32 vcc, s[62:63], v[1:2]
	v_cmp_ge_f64_e64 s[22:23], s[62:63], v[4:5]
	s_andn2_b64 s[28:29], s[28:29], exec
	v_readlane_b32 s61, v46, 1
	s_and_b64 s[22:23], vcc, s[22:23]
	s_and_b64 s[22:23], s[22:23], exec
	s_or_b64 s[28:29], s[28:29], s[22:23]
.LBB23_144:                             ;   in Loop: Header=BB23_3 Depth=1
	s_xor_b64 s[28:29], s[28:29], -1
.LBB23_145:                             ;   in Loop: Header=BB23_3 Depth=1
	v_mov_b32_e32 v3, s70
	s_and_saveexec_b64 s[22:23], s[28:29]
	s_cbranch_execz .LBB23_2
; %bb.146:                              ;   in Loop: Header=BB23_3 Depth=1
	s_add_i32 s70, s70, 1
	s_cmp_eq_u32 s70, s71
	s_cselect_b64 s[24:25], -1, 0
	v_mov_b32_e32 v3, s71
	s_orn2_b64 s[24:25], s[24:25], exec
	s_branch .LBB23_2
.LBB23_147:
	s_or_b64 exec, exec, s[84:85]
	v_readlane_b32 s8, v46, 6
	v_readlane_b32 s9, v46, 7
	;; [unrolled: 1-line block ×4, first 2 shown]
.LBB23_148:
	v_readlane_b32 s0, v46, 4
	v_readlane_b32 s1, v46, 5
	s_or_b64 exec, exec, s[0:1]
	s_andn2_b64 vcc, exec, s[68:69]
	s_cbranch_vccnz .LBB23_171
; %bb.149:
	v_mov_b32_dpp v6, v3 row_shr:1 row_mask:0xf bank_mask:0xf
	v_max_i32_e32 v3, v3, v6
	v_cmp_eq_u32_e32 vcc, 3, v27
	s_nop 0
	v_mov_b32_dpp v6, v3 row_shr:2 row_mask:0xf bank_mask:0xf
	s_and_saveexec_b64 s[0:1], vcc
; %bb.150:
	v_lshlrev_b32_e32 v7, 2, v26
	v_max_i32_e32 v3, v3, v6
	ds_write_b32 v7, v3 offset:2048
; %bb.151:
	s_or_b64 exec, exec, s[0:1]
	s_movk_i32 s0, 0x80
	v_cmp_gt_u32_e32 vcc, s0, v0
	v_lshlrev_b32_e32 v3, 2, v0
	s_waitcnt vmcnt(0) lgkmcnt(0)
	s_barrier
	s_and_saveexec_b64 s[0:1], vcc
	s_cbranch_execz .LBB23_153
; %bb.152:
	ds_read2st64_b32 v[6:7], v3 offset0:8 offset1:10
	s_waitcnt lgkmcnt(0)
	v_max_i32_e32 v6, v6, v7
	ds_write_b32 v3, v6 offset:2048
.LBB23_153:
	s_or_b64 exec, exec, s[0:1]
	v_cmp_gt_u32_e32 vcc, 64, v0
	s_waitcnt lgkmcnt(0)
	s_barrier
	s_and_saveexec_b64 s[0:1], vcc
	s_cbranch_execz .LBB23_155
; %bb.154:
	ds_read2st64_b32 v[6:7], v3 offset0:8 offset1:9
	s_waitcnt lgkmcnt(0)
	v_max_i32_e32 v6, v6, v7
	ds_write_b32 v3, v6 offset:2048
.LBB23_155:
	s_or_b64 exec, exec, s[0:1]
	v_cmp_gt_u32_e32 vcc, 32, v0
	s_waitcnt lgkmcnt(0)
	s_barrier
	s_and_saveexec_b64 s[0:1], vcc
	s_cbranch_execz .LBB23_157
; %bb.156:
	v_add_u32_e32 v6, 0x800, v3
	ds_read2_b32 v[6:7], v6 offset1:32
	s_waitcnt lgkmcnt(0)
	v_max_i32_e32 v6, v6, v7
	ds_write_b32 v3, v6 offset:2048
.LBB23_157:
	s_or_b64 exec, exec, s[0:1]
	v_cmp_gt_u32_e32 vcc, 16, v0
	s_waitcnt lgkmcnt(0)
	s_barrier
	s_and_saveexec_b64 s[0:1], vcc
	s_cbranch_execz .LBB23_159
; %bb.158:
	v_add_u32_e32 v6, 0x800, v3
	ds_read2_b32 v[6:7], v6 offset1:16
	s_waitcnt lgkmcnt(0)
	v_max_i32_e32 v6, v6, v7
	ds_write_b32 v3, v6 offset:2048
.LBB23_159:
	;; [unrolled: 13-line block ×5, first 2 shown]
	s_or_b64 exec, exec, s[0:1]
	v_cmp_eq_u32_e32 vcc, 0, v0
	s_waitcnt lgkmcnt(0)
	s_barrier
	s_and_saveexec_b64 s[0:1], vcc
	s_cbranch_execz .LBB23_167
; %bb.166:
	v_mov_b32_e32 v3, 0
	ds_read_b64 v[6:7], v3 offset:2048
	s_waitcnt lgkmcnt(0)
	v_max_i32_e32 v6, v6, v7
	ds_write_b32 v3, v6 offset:2048
.LBB23_167:
	s_or_b64 exec, exec, s[0:1]
	s_waitcnt lgkmcnt(0)
	s_barrier
	s_and_saveexec_b64 s[0:1], vcc
	s_cbranch_execz .LBB23_170
; %bb.168:
	v_mbcnt_lo_u32_b32 v3, exec_lo, 0
	v_mbcnt_hi_u32_b32 v3, exec_hi, v3
	v_cmp_eq_u32_e32 vcc, 0, v3
	s_and_b64 exec, exec, vcc
	s_cbranch_execz .LBB23_170
; %bb.169:
	v_mov_b32_e32 v3, 0
	ds_read_b32 v6, v3 offset:2048
	v_readlane_b32 s4, v46, 0
	v_readlane_b32 s5, v46, 1
	;; [unrolled: 1-line block ×4, first 2 shown]
	s_waitcnt lgkmcnt(0)
	v_add_u32_e32 v6, 1, v6
	s_nop 0
	global_atomic_smax v3, v6, s[4:5]
.LBB23_170:
	s_or_b64 exec, exec, s[0:1]
.LBB23_171:
	v_cmp_eq_u32_e32 vcc, 0, v0
	s_and_b64 s[0:1], vcc, s[34:35]
	s_and_saveexec_b64 s[2:3], s[0:1]
	s_cbranch_execz .LBB23_178
; %bb.172:
	v_mov_b32_e32 v6, 0
	s_mov_b64 s[0:1], exec
	v_mov_b32_e32 v7, 0x7ff80000
.LBB23_173:                             ; =>This Inner Loop Header: Depth=1
	s_ff1_i32_b64 s6, s[0:1]
	v_readlane_b32 s5, v2, s6
	v_readlane_b32 s4, v1, s6
	v_max_f64 v[6:7], v[6:7], v[6:7]
	v_max_f64 v[8:9], s[4:5], s[4:5]
	s_lshl_b64 s[4:5], 1, s6
	s_andn2_b64 s[0:1], s[0:1], s[4:5]
	s_cmp_lg_u64 s[0:1], 0
	v_max_f64 v[6:7], v[6:7], v[8:9]
	s_cbranch_scc1 .LBB23_173
; %bb.174:
	v_mbcnt_lo_u32_b32 v0, exec_lo, 0
	v_mbcnt_hi_u32_b32 v0, exec_hi, v0
	v_cmp_eq_u32_e64 s[0:1], 0, v0
	s_and_saveexec_b64 s[4:5], s[0:1]
	s_xor_b64 s[4:5], exec, s[4:5]
	s_cbranch_execz .LBB23_178
; %bb.175:
	v_mov_b32_e32 v8, 0
	global_load_dwordx2 v[2:3], v8, s[8:9]
	v_max_f64 v[6:7], v[6:7], v[6:7]
	s_mov_b64 s[4:5], 0
.LBB23_176:                             ; =>This Inner Loop Header: Depth=1
	s_waitcnt vmcnt(0)
	v_max_f64 v[0:1], v[2:3], v[2:3]
	v_max_f64 v[0:1], v[0:1], v[6:7]
	global_atomic_cmpswap_x2 v[0:1], v8, v[0:3], s[8:9] glc
	s_waitcnt vmcnt(0)
	v_cmp_eq_u64_e64 s[0:1], v[0:1], v[2:3]
	v_mov_b32_e32 v3, v1
	s_or_b64 s[4:5], s[0:1], s[4:5]
	v_mov_b32_e32 v2, v0
	s_andn2_b64 exec, exec, s[4:5]
	s_cbranch_execnz .LBB23_176
; %bb.177:
	s_or_b64 exec, exec, s[4:5]
.LBB23_178:
	s_or_b64 exec, exec, s[2:3]
	s_and_b64 s[0:1], vcc, s[26:27]
	s_and_saveexec_b64 s[2:3], s[0:1]
	s_cbranch_execz .LBB23_184
; %bb.179:
	v_mov_b32_e32 v0, 0
	s_mov_b64 s[0:1], exec
	v_mov_b32_e32 v1, 0x7ff80000
.LBB23_180:                             ; =>This Inner Loop Header: Depth=1
	s_ff1_i32_b64 s4, s[0:1]
	v_readlane_b32 s3, v5, s4
	v_readlane_b32 s2, v4, s4
	v_max_f64 v[0:1], v[0:1], v[0:1]
	v_max_f64 v[2:3], s[2:3], s[2:3]
	s_lshl_b64 s[2:3], 1, s4
	s_andn2_b64 s[0:1], s[0:1], s[2:3]
	s_cmp_lg_u64 s[0:1], 0
	v_max_f64 v[0:1], v[0:1], v[2:3]
	s_cbranch_scc1 .LBB23_180
; %bb.181:
	v_mbcnt_lo_u32_b32 v2, exec_lo, 0
	v_mbcnt_hi_u32_b32 v2, exec_hi, v2
	v_cmp_eq_u32_e32 vcc, 0, v2
	s_and_saveexec_b64 s[0:1], vcc
	s_xor_b64 s[0:1], exec, s[0:1]
	s_cbranch_execz .LBB23_184
; %bb.182:
	v_mov_b32_e32 v6, 0
	global_load_dwordx2 v[2:3], v6, s[10:11]
	v_max_f64 v[4:5], v[0:1], v[0:1]
	s_mov_b64 s[0:1], 0
.LBB23_183:                             ; =>This Inner Loop Header: Depth=1
	s_waitcnt vmcnt(0)
	v_max_f64 v[0:1], v[2:3], v[2:3]
	v_max_f64 v[0:1], v[0:1], v[4:5]
	global_atomic_cmpswap_x2 v[0:1], v6, v[0:3], s[10:11] glc
	s_waitcnt vmcnt(0)
	v_cmp_eq_u64_e32 vcc, v[0:1], v[2:3]
	v_mov_b32_e32 v3, v1
	s_or_b64 s[0:1], vcc, s[0:1]
	v_mov_b32_e32 v2, v0
	s_andn2_b64 exec, exec, s[0:1]
	s_cbranch_execnz .LBB23_183
.LBB23_184:
	s_endpgm
	.section	.rodata,"a",@progbits
	.p2align	6, 0x0
	.amdhsa_kernel _ZN9rocsparseL6kernelILi1024ELi4EdiiEEvbbbT3_PS1_NS_15floating_traitsIT1_E6data_tES1_T2_PKS7_S9_PKS1_PKS4_21rocsparse_index_base_S9_S9_SB_PS4_SF_SE_S9_S9_SB_SF_SF_SE_SF_SF_PS6_SG_PKS6_
		.amdhsa_group_segment_fixed_size 3072
		.amdhsa_private_segment_fixed_size 0
		.amdhsa_kernarg_size 208
		.amdhsa_user_sgpr_count 6
		.amdhsa_user_sgpr_private_segment_buffer 1
		.amdhsa_user_sgpr_dispatch_ptr 0
		.amdhsa_user_sgpr_queue_ptr 0
		.amdhsa_user_sgpr_kernarg_segment_ptr 1
		.amdhsa_user_sgpr_dispatch_id 0
		.amdhsa_user_sgpr_flat_scratch_init 0
		.amdhsa_user_sgpr_private_segment_size 0
		.amdhsa_uses_dynamic_stack 0
		.amdhsa_system_sgpr_private_segment_wavefront_offset 0
		.amdhsa_system_sgpr_workgroup_id_x 1
		.amdhsa_system_sgpr_workgroup_id_y 0
		.amdhsa_system_sgpr_workgroup_id_z 0
		.amdhsa_system_sgpr_workgroup_info 0
		.amdhsa_system_vgpr_workitem_id 0
		.amdhsa_next_free_vgpr 47
		.amdhsa_next_free_sgpr 96
		.amdhsa_reserve_vcc 1
		.amdhsa_reserve_flat_scratch 0
		.amdhsa_float_round_mode_32 0
		.amdhsa_float_round_mode_16_64 0
		.amdhsa_float_denorm_mode_32 3
		.amdhsa_float_denorm_mode_16_64 3
		.amdhsa_dx10_clamp 1
		.amdhsa_ieee_mode 1
		.amdhsa_fp16_overflow 0
		.amdhsa_exception_fp_ieee_invalid_op 0
		.amdhsa_exception_fp_denorm_src 0
		.amdhsa_exception_fp_ieee_div_zero 0
		.amdhsa_exception_fp_ieee_overflow 0
		.amdhsa_exception_fp_ieee_underflow 0
		.amdhsa_exception_fp_ieee_inexact 0
		.amdhsa_exception_int_div_zero 0
	.end_amdhsa_kernel
	.section	.text._ZN9rocsparseL6kernelILi1024ELi4EdiiEEvbbbT3_PS1_NS_15floating_traitsIT1_E6data_tES1_T2_PKS7_S9_PKS1_PKS4_21rocsparse_index_base_S9_S9_SB_PS4_SF_SE_S9_S9_SB_SF_SF_SE_SF_SF_PS6_SG_PKS6_,"axG",@progbits,_ZN9rocsparseL6kernelILi1024ELi4EdiiEEvbbbT3_PS1_NS_15floating_traitsIT1_E6data_tES1_T2_PKS7_S9_PKS1_PKS4_21rocsparse_index_base_S9_S9_SB_PS4_SF_SE_S9_S9_SB_SF_SF_SE_SF_SF_PS6_SG_PKS6_,comdat
.Lfunc_end23:
	.size	_ZN9rocsparseL6kernelILi1024ELi4EdiiEEvbbbT3_PS1_NS_15floating_traitsIT1_E6data_tES1_T2_PKS7_S9_PKS1_PKS4_21rocsparse_index_base_S9_S9_SB_PS4_SF_SE_S9_S9_SB_SF_SF_SE_SF_SF_PS6_SG_PKS6_, .Lfunc_end23-_ZN9rocsparseL6kernelILi1024ELi4EdiiEEvbbbT3_PS1_NS_15floating_traitsIT1_E6data_tES1_T2_PKS7_S9_PKS1_PKS4_21rocsparse_index_base_S9_S9_SB_PS4_SF_SE_S9_S9_SB_SF_SF_SE_SF_SF_PS6_SG_PKS6_
                                        ; -- End function
	.set _ZN9rocsparseL6kernelILi1024ELi4EdiiEEvbbbT3_PS1_NS_15floating_traitsIT1_E6data_tES1_T2_PKS7_S9_PKS1_PKS4_21rocsparse_index_base_S9_S9_SB_PS4_SF_SE_S9_S9_SB_SF_SF_SE_SF_SF_PS6_SG_PKS6_.num_vgpr, 47
	.set _ZN9rocsparseL6kernelILi1024ELi4EdiiEEvbbbT3_PS1_NS_15floating_traitsIT1_E6data_tES1_T2_PKS7_S9_PKS1_PKS4_21rocsparse_index_base_S9_S9_SB_PS4_SF_SE_S9_S9_SB_SF_SF_SE_SF_SF_PS6_SG_PKS6_.num_agpr, 0
	.set _ZN9rocsparseL6kernelILi1024ELi4EdiiEEvbbbT3_PS1_NS_15floating_traitsIT1_E6data_tES1_T2_PKS7_S9_PKS1_PKS4_21rocsparse_index_base_S9_S9_SB_PS4_SF_SE_S9_S9_SB_SF_SF_SE_SF_SF_PS6_SG_PKS6_.numbered_sgpr, 96
	.set _ZN9rocsparseL6kernelILi1024ELi4EdiiEEvbbbT3_PS1_NS_15floating_traitsIT1_E6data_tES1_T2_PKS7_S9_PKS1_PKS4_21rocsparse_index_base_S9_S9_SB_PS4_SF_SE_S9_S9_SB_SF_SF_SE_SF_SF_PS6_SG_PKS6_.num_named_barrier, 0
	.set _ZN9rocsparseL6kernelILi1024ELi4EdiiEEvbbbT3_PS1_NS_15floating_traitsIT1_E6data_tES1_T2_PKS7_S9_PKS1_PKS4_21rocsparse_index_base_S9_S9_SB_PS4_SF_SE_S9_S9_SB_SF_SF_SE_SF_SF_PS6_SG_PKS6_.private_seg_size, 0
	.set _ZN9rocsparseL6kernelILi1024ELi4EdiiEEvbbbT3_PS1_NS_15floating_traitsIT1_E6data_tES1_T2_PKS7_S9_PKS1_PKS4_21rocsparse_index_base_S9_S9_SB_PS4_SF_SE_S9_S9_SB_SF_SF_SE_SF_SF_PS6_SG_PKS6_.uses_vcc, 1
	.set _ZN9rocsparseL6kernelILi1024ELi4EdiiEEvbbbT3_PS1_NS_15floating_traitsIT1_E6data_tES1_T2_PKS7_S9_PKS1_PKS4_21rocsparse_index_base_S9_S9_SB_PS4_SF_SE_S9_S9_SB_SF_SF_SE_SF_SF_PS6_SG_PKS6_.uses_flat_scratch, 0
	.set _ZN9rocsparseL6kernelILi1024ELi4EdiiEEvbbbT3_PS1_NS_15floating_traitsIT1_E6data_tES1_T2_PKS7_S9_PKS1_PKS4_21rocsparse_index_base_S9_S9_SB_PS4_SF_SE_S9_S9_SB_SF_SF_SE_SF_SF_PS6_SG_PKS6_.has_dyn_sized_stack, 0
	.set _ZN9rocsparseL6kernelILi1024ELi4EdiiEEvbbbT3_PS1_NS_15floating_traitsIT1_E6data_tES1_T2_PKS7_S9_PKS1_PKS4_21rocsparse_index_base_S9_S9_SB_PS4_SF_SE_S9_S9_SB_SF_SF_SE_SF_SF_PS6_SG_PKS6_.has_recursion, 0
	.set _ZN9rocsparseL6kernelILi1024ELi4EdiiEEvbbbT3_PS1_NS_15floating_traitsIT1_E6data_tES1_T2_PKS7_S9_PKS1_PKS4_21rocsparse_index_base_S9_S9_SB_PS4_SF_SE_S9_S9_SB_SF_SF_SE_SF_SF_PS6_SG_PKS6_.has_indirect_call, 0
	.section	.AMDGPU.csdata,"",@progbits
; Kernel info:
; codeLenInByte = 6132
; TotalNumSgprs: 100
; NumVgprs: 47
; ScratchSize: 0
; MemoryBound: 1
; FloatMode: 240
; IeeeMode: 1
; LDSByteSize: 3072 bytes/workgroup (compile time only)
; SGPRBlocks: 12
; VGPRBlocks: 11
; NumSGPRsForWavesPerEU: 100
; NumVGPRsForWavesPerEU: 47
; Occupancy: 5
; WaveLimiterHint : 1
; COMPUTE_PGM_RSRC2:SCRATCH_EN: 0
; COMPUTE_PGM_RSRC2:USER_SGPR: 6
; COMPUTE_PGM_RSRC2:TRAP_HANDLER: 0
; COMPUTE_PGM_RSRC2:TGID_X_EN: 1
; COMPUTE_PGM_RSRC2:TGID_Y_EN: 0
; COMPUTE_PGM_RSRC2:TGID_Z_EN: 0
; COMPUTE_PGM_RSRC2:TIDIG_COMP_CNT: 0
	.section	.text._ZN9rocsparseL6kernelILi1024ELi8EdiiEEvbbbT3_PS1_NS_15floating_traitsIT1_E6data_tES1_T2_PKS7_S9_PKS1_PKS4_21rocsparse_index_base_S9_S9_SB_PS4_SF_SE_S9_S9_SB_SF_SF_SE_SF_SF_PS6_SG_PKS6_,"axG",@progbits,_ZN9rocsparseL6kernelILi1024ELi8EdiiEEvbbbT3_PS1_NS_15floating_traitsIT1_E6data_tES1_T2_PKS7_S9_PKS1_PKS4_21rocsparse_index_base_S9_S9_SB_PS4_SF_SE_S9_S9_SB_SF_SF_SE_SF_SF_PS6_SG_PKS6_,comdat
	.globl	_ZN9rocsparseL6kernelILi1024ELi8EdiiEEvbbbT3_PS1_NS_15floating_traitsIT1_E6data_tES1_T2_PKS7_S9_PKS1_PKS4_21rocsparse_index_base_S9_S9_SB_PS4_SF_SE_S9_S9_SB_SF_SF_SE_SF_SF_PS6_SG_PKS6_ ; -- Begin function _ZN9rocsparseL6kernelILi1024ELi8EdiiEEvbbbT3_PS1_NS_15floating_traitsIT1_E6data_tES1_T2_PKS7_S9_PKS1_PKS4_21rocsparse_index_base_S9_S9_SB_PS4_SF_SE_S9_S9_SB_SF_SF_SE_SF_SF_PS6_SG_PKS6_
	.p2align	8
	.type	_ZN9rocsparseL6kernelILi1024ELi8EdiiEEvbbbT3_PS1_NS_15floating_traitsIT1_E6data_tES1_T2_PKS7_S9_PKS1_PKS4_21rocsparse_index_base_S9_S9_SB_PS4_SF_SE_S9_S9_SB_SF_SF_SE_SF_SF_PS6_SG_PKS6_,@function
_ZN9rocsparseL6kernelILi1024ELi8EdiiEEvbbbT3_PS1_NS_15floating_traitsIT1_E6data_tES1_T2_PKS7_S9_PKS1_PKS4_21rocsparse_index_base_S9_S9_SB_PS4_SF_SE_S9_S9_SB_SF_SF_SE_SF_SF_PS6_SG_PKS6_: ; @_ZN9rocsparseL6kernelILi1024ELi8EdiiEEvbbbT3_PS1_NS_15floating_traitsIT1_E6data_tES1_T2_PKS7_S9_PKS1_PKS4_21rocsparse_index_base_S9_S9_SB_PS4_SF_SE_S9_S9_SB_SF_SF_SE_SF_SF_PS6_SG_PKS6_
; %bb.0:
	s_load_dword s0, s[4:5], 0x0
	s_load_dwordx2 s[68:69], s[4:5], 0x0
	s_load_dwordx4 s[8:11], s[4:5], 0xb8
	s_load_dwordx4 s[12:15], s[4:5], 0x8
	s_load_dword s33, s[4:5], 0x18
	s_waitcnt lgkmcnt(0)
	s_bitcmp1_b32 s0, 0
	s_cselect_b64 s[66:67], -1, 0
	s_bitcmp1_b32 s0, 8
                                        ; implicit-def: $vgpr46 : SGPR spill to VGPR lane
	s_cselect_b64 s[64:65], -1, 0
	s_bitcmp1_b32 s68, 16
	v_mov_b32_e32 v3, 0
	v_writelane_b32 v46, s12, 0
	s_cselect_b64 s[34:35], -1, 0
	v_lshrrev_b32_e32 v26, 3, v0
	s_lshl_b32 s73, s6, 10
	v_lshlrev_b32_e32 v29, 3, v0
	v_mov_b32_e32 v4, v3
	v_writelane_b32 v46, s13, 1
	v_or_b32_e32 v28, s73, v26
	ds_write_b64 v29, v[3:4]
	s_cmp_gt_i32 s69, 0
	v_mov_b32_e32 v4, 0
	v_mov_b32_e32 v1, 0
	v_writelane_b32 v46, s14, 2
	v_and_b32_e32 v27, 7, v0
	s_mov_b32 s54, 0
	v_cmp_gt_i32_e32 vcc, s33, v28
	s_cselect_b64 s[0:1], -1, 0
	v_mov_b32_e32 v5, 0
	v_mov_b32_e32 v2, 0
	v_writelane_b32 v46, s15, 3
	s_waitcnt lgkmcnt(0)
	s_barrier
	s_and_b64 s[0:1], s[0:1], vcc
	s_mov_b64 s[2:3], exec
	v_writelane_b32 v46, s2, 4
	s_and_b64 s[0:1], s[2:3], s[0:1]
	v_writelane_b32 v46, s3, 5
	s_mov_b64 exec, s[0:1]
	s_cbranch_execz .LBB24_144
; %bb.1:
	s_load_dwordx2 s[0:1], s[4:5], 0xc8
	v_writelane_b32 v46, s8, 6
	v_writelane_b32 v46, s9, 7
	;; [unrolled: 1-line block ×4, first 2 shown]
	s_waitcnt lgkmcnt(0)
	v_writelane_b32 v46, s0, 10
	v_writelane_b32 v46, s1, 11
	s_xor_b64 s[0:1], s[64:65], -1
	v_writelane_b32 v46, s0, 12
	s_addk_i32 s73, 0x400
	s_load_dwordx4 s[60:63], s[4:5], 0xa8
	s_load_dwordx8 s[24:31], s[4:5], 0x78
	v_writelane_b32 v46, s1, 13
	s_load_dword s55, s[4:5], 0x40
	s_load_dwordx2 s[76:77], s[4:5], 0x68
	s_load_dword s68, s[4:5], 0x70
	s_load_dwordx2 s[78:79], s[4:5], 0x98
	s_load_dword s72, s[4:5], 0xa0
	v_cmp_gt_u32_e64 s[0:1], s73, v28
	v_writelane_b32 v46, s0, 14
	s_load_dwordx8 s[36:43], s[4:5], 0x48
	s_load_dwordx8 s[44:51], s[4:5], 0x20
	v_writelane_b32 v46, s1, 15
	s_and_b64 s[0:1], s[64:65], s[34:35]
	s_xor_b64 s[0:1], s[0:1], -1
	v_writelane_b32 v46, s0, 16
	v_mov_b32_e32 v1, 0
	v_mov_b32_e32 v4, 0
	s_waitcnt lgkmcnt(0)
	v_subrev_u32_e32 v30, s55, v27
	v_cmp_eq_u32_e64 s[2:3], 7, v27
	v_lshlrev_b32_e32 v31, 3, v26
	v_cmp_gt_u32_e64 s[22:23], 64, v0
	v_cmp_gt_u32_e64 s[6:7], 32, v0
	;; [unrolled: 1-line block ×6, first 2 shown]
	v_cmp_eq_u32_e64 s[16:17], 0, v0
	v_subrev_u32_e32 v32, s68, v27
	v_subrev_u32_e32 v33, s72, v27
	v_cmp_eq_u32_e64 s[18:19], 0, v27
	v_writelane_b32 v46, s1, 17
	v_mov_b32_e32 v2, 0
	s_mov_b64 s[82:83], 0
	v_mov_b32_e32 v7, 0
	v_mov_b32_e32 v5, 0
	s_movk_i32 s0, 0x1f8
	s_branch .LBB24_3
.LBB24_2:                               ;   in Loop: Header=BB24_3 Depth=1
	s_or_b64 exec, exec, s[4:5]
	s_and_b64 s[4:5], exec, s[20:21]
	s_or_b64 s[82:83], s[4:5], s[82:83]
	s_andn2_b64 exec, exec, s[82:83]
	s_cbranch_execz .LBB24_143
.LBB24_3:                               ; =>This Loop Header: Depth=1
                                        ;     Child Loop BB24_7 Depth 2
                                        ;       Child Loop BB24_12 Depth 3
                                        ;         Child Loop BB24_16 Depth 4
                                        ;         Child Loop BB24_37 Depth 4
	;; [unrolled: 1-line block ×5, first 2 shown]
                                        ;     Child Loop BB24_122 Depth 2
                                        ;       Child Loop BB24_125 Depth 3
                                        ;       Child Loop BB24_128 Depth 3
	s_mov_b32 s1, 0
	v_cndmask_b32_e64 v2, v2, 0, s[64:65]
	v_cndmask_b32_e64 v1, v1, 0, s[64:65]
	v_cndmask_b32_e64 v5, v5, 0, s[34:35]
	v_cndmask_b32_e64 v4, v4, 0, s[34:35]
	s_branch .LBB24_7
.LBB24_4:                               ;   in Loop: Header=BB24_7 Depth=2
	s_or_b64 exec, exec, s[88:89]
.LBB24_5:                               ;   in Loop: Header=BB24_7 Depth=2
	s_or_b64 exec, exec, s[86:87]
.LBB24_6:                               ;   in Loop: Header=BB24_7 Depth=2
	s_or_b64 exec, exec, s[84:85]
	s_add_i32 s1, s1, 1
	s_cmp_eq_u32 s1, 8
	s_cbranch_scc1 .LBB24_83
.LBB24_7:                               ;   Parent Loop BB24_3 Depth=1
                                        ; =>  This Loop Header: Depth=2
                                        ;       Child Loop BB24_12 Depth 3
                                        ;         Child Loop BB24_16 Depth 4
                                        ;         Child Loop BB24_37 Depth 4
	;; [unrolled: 1-line block ×5, first 2 shown]
	v_lshl_add_u32 v8, s1, 7, v28
	v_cmp_gt_i32_e32 vcc, s33, v8
	s_and_saveexec_b64 s[84:85], vcc
	s_cbranch_execz .LBB24_6
; %bb.8:                                ;   in Loop: Header=BB24_7 Depth=2
	v_ashrrev_i32_e32 v9, 31, v8
	v_lshlrev_b64 v[10:11], 2, v[8:9]
	v_mov_b32_e32 v3, s45
	v_add_co_u32_e32 v12, vcc, s44, v10
	v_addc_co_u32_e32 v13, vcc, v3, v11, vcc
	global_load_dword v3, v[12:13], off
	v_mov_b32_e32 v6, s47
	v_add_co_u32_e32 v12, vcc, s46, v10
	v_addc_co_u32_e32 v13, vcc, v6, v11, vcc
	global_load_dword v6, v[12:13], off
	s_waitcnt vmcnt(1)
	v_add_u32_e32 v9, v30, v3
	s_waitcnt vmcnt(0)
	v_subrev_u32_e32 v3, s55, v6
	v_cmp_lt_i32_e32 vcc, v9, v3
	s_and_saveexec_b64 s[86:87], vcc
	s_cbranch_execz .LBB24_5
; %bb.9:                                ;   in Loop: Header=BB24_7 Depth=2
	v_mov_b32_e32 v6, s39
	v_add_co_u32_e32 v12, vcc, s38, v10
	v_addc_co_u32_e32 v13, vcc, v6, v11, vcc
	v_mov_b32_e32 v6, s37
	v_add_co_u32_e32 v10, vcc, s36, v10
	v_addc_co_u32_e32 v11, vcc, v6, v11, vcc
	global_load_dword v6, v[10:11], off
	s_nop 0
	global_load_dword v10, v[12:13], off
	v_mov_b32_e32 v17, s41
	v_mov_b32_e32 v18, s43
	s_mov_b64 s[88:89], 0
	s_waitcnt vmcnt(1)
	v_subrev_u32_e32 v11, s68, v6
	v_ashrrev_i32_e32 v12, 31, v11
	v_lshlrev_b64 v[13:14], 2, v[11:12]
	v_lshlrev_b64 v[15:16], 3, v[11:12]
	v_add_co_u32_e32 v35, vcc, s40, v13
	v_addc_co_u32_e32 v36, vcc, v17, v14, vcc
	s_waitcnt vmcnt(0)
	v_sub_u32_e32 v34, v10, v6
	v_add_co_u32_e32 v37, vcc, s42, v15
	v_cmp_lt_i32_e64 s[20:21], 0, v34
	v_addc_co_u32_e32 v38, vcc, v18, v16, vcc
	s_branch .LBB24_12
.LBB24_10:                              ;   in Loop: Header=BB24_12 Depth=3
	s_or_b64 exec, exec, s[52:53]
.LBB24_11:                              ;   in Loop: Header=BB24_12 Depth=3
	s_or_b64 exec, exec, s[4:5]
	v_add_u32_e32 v9, 8, v9
	v_cmp_ge_i32_e32 vcc, v9, v3
	s_or_b64 s[88:89], vcc, s[88:89]
	s_andn2_b64 exec, exec, s[88:89]
	s_cbranch_execz .LBB24_4
.LBB24_12:                              ;   Parent Loop BB24_3 Depth=1
                                        ;     Parent Loop BB24_7 Depth=2
                                        ; =>    This Loop Header: Depth=3
                                        ;         Child Loop BB24_16 Depth 4
                                        ;         Child Loop BB24_37 Depth 4
	;; [unrolled: 1-line block ×5, first 2 shown]
	v_ashrrev_i32_e32 v10, 31, v9
	v_lshlrev_b64 v[12:13], 2, v[9:10]
	v_mov_b32_e32 v6, s49
	v_add_co_u32_e32 v12, vcc, s48, v12
	v_addc_co_u32_e32 v13, vcc, v6, v13, vcc
	global_load_dword v6, v[12:13], off
	v_mov_b32_e32 v17, s25
	v_mov_b32_e32 v18, s27
	;; [unrolled: 1-line block ×3, first 2 shown]
	s_waitcnt vmcnt(0)
	v_subrev_u32_e32 v12, s55, v6
	v_ashrrev_i32_e32 v13, 31, v12
	v_lshlrev_b64 v[14:15], 2, v[12:13]
	v_add_co_u32_e32 v16, vcc, s24, v14
	v_addc_co_u32_e32 v17, vcc, v17, v15, vcc
	v_add_co_u32_e32 v14, vcc, s26, v14
	v_addc_co_u32_e32 v15, vcc, v18, v15, vcc
	global_load_dword v6, v[16:17], off
	s_nop 0
	global_load_dword v16, v[14:15], off
	v_mov_b32_e32 v14, 0
	v_mov_b32_e32 v15, 0
	s_waitcnt vmcnt(1)
	v_subrev_u32_e32 v18, s72, v6
	s_waitcnt vmcnt(0)
	v_sub_u32_e32 v39, v16, v6
	v_mov_b32_e32 v6, v19
	s_and_saveexec_b64 s[4:5], s[20:21]
	s_cbranch_execz .LBB24_20
; %bb.13:                               ;   in Loop: Header=BB24_12 Depth=3
	v_ashrrev_i32_e32 v19, 31, v18
	v_lshlrev_b64 v[14:15], 2, v[18:19]
	v_mov_b32_e32 v6, s29
	v_add_co_u32_e32 v16, vcc, s28, v14
	v_addc_co_u32_e32 v17, vcc, v6, v15, vcc
	v_lshlrev_b64 v[14:15], 3, v[18:19]
	v_mov_b32_e32 v6, s31
	v_add_co_u32_e32 v21, vcc, s30, v14
	v_addc_co_u32_e32 v22, vcc, v6, v15, vcc
	v_mov_b32_e32 v14, 0
	v_mov_b32_e32 v6, 0
	v_mov_b32_e32 v15, 0
	s_mov_b64 s[70:71], 0
	v_mov_b32_e32 v19, v6
                                        ; implicit-def: $sgpr90_sgpr91
	s_branch .LBB24_16
.LBB24_14:                              ;   in Loop: Header=BB24_16 Depth=4
	s_or_b64 exec, exec, s[58:59]
	v_cmp_le_i32_e32 vcc, v23, v24
	v_addc_co_u32_e32 v6, vcc, 0, v6, vcc
	v_cmp_ge_i32_e32 vcc, v23, v24
	v_addc_co_u32_e32 v19, vcc, 0, v19, vcc
	v_cmp_ge_i32_e32 vcc, v6, v34
	s_andn2_b64 s[52:53], s[90:91], exec
	s_and_b64 s[58:59], vcc, exec
	s_or_b64 s[90:91], s[52:53], s[58:59]
.LBB24_15:                              ;   in Loop: Header=BB24_16 Depth=4
	s_or_b64 exec, exec, s[56:57]
	s_and_b64 s[52:53], exec, s[90:91]
	s_or_b64 s[70:71], s[52:53], s[70:71]
	s_andn2_b64 exec, exec, s[70:71]
	s_cbranch_execz .LBB24_19
.LBB24_16:                              ;   Parent Loop BB24_3 Depth=1
                                        ;     Parent Loop BB24_7 Depth=2
                                        ;       Parent Loop BB24_12 Depth=3
                                        ; =>      This Inner Loop Header: Depth=4
	v_cmp_lt_i32_e32 vcc, v19, v39
	s_or_b64 s[90:91], s[90:91], exec
	s_and_saveexec_b64 s[56:57], vcc
	s_cbranch_execz .LBB24_15
; %bb.17:                               ;   in Loop: Header=BB24_16 Depth=4
	v_lshlrev_b64 v[23:24], 2, v[6:7]
	v_mov_b32_e32 v20, v7
	v_add_co_u32_e32 v23, vcc, v35, v23
	v_addc_co_u32_e32 v24, vcc, v36, v24, vcc
	global_load_dword v25, v[23:24], off
	v_lshlrev_b64 v[23:24], 2, v[19:20]
	v_add_co_u32_e32 v23, vcc, v16, v23
	v_addc_co_u32_e32 v24, vcc, v17, v24, vcc
	global_load_dword v24, v[23:24], off
	s_waitcnt vmcnt(1)
	v_subrev_u32_e32 v23, s68, v25
	s_waitcnt vmcnt(0)
	v_subrev_u32_e32 v24, s72, v24
	v_cmp_eq_u32_e32 vcc, v23, v24
	s_and_saveexec_b64 s[58:59], vcc
	s_cbranch_execz .LBB24_14
; %bb.18:                               ;   in Loop: Header=BB24_16 Depth=4
	v_lshlrev_b64 v[40:41], 3, v[6:7]
	v_lshlrev_b64 v[42:43], 3, v[19:20]
	v_add_co_u32_e32 v40, vcc, v37, v40
	v_addc_co_u32_e32 v41, vcc, v38, v41, vcc
	v_add_co_u32_e32 v42, vcc, v21, v42
	v_addc_co_u32_e32 v43, vcc, v22, v43, vcc
	global_load_dwordx2 v[40:41], v[40:41], off
	s_nop 0
	global_load_dwordx2 v[42:43], v[42:43], off
	s_waitcnt vmcnt(0)
	v_fma_f64 v[14:15], v[40:41], v[42:43], v[14:15]
	s_branch .LBB24_14
.LBB24_19:                              ;   in Loop: Header=BB24_12 Depth=3
	s_or_b64 exec, exec, s[70:71]
.LBB24_20:                              ;   in Loop: Header=BB24_12 Depth=3
	s_or_b64 exec, exec, s[4:5]
	v_lshlrev_b64 v[16:17], 3, v[9:10]
	v_mov_b32_e32 v10, s51
	v_add_co_u32_e32 v16, vcc, s50, v16
	v_addc_co_u32_e32 v17, vcc, v10, v17, vcc
	global_load_dwordx2 v[16:17], v[16:17], off
	v_cmp_le_i32_e64 s[4:5], v8, v12
	v_cmp_gt_i32_e32 vcc, v8, v12
	s_waitcnt vmcnt(0)
	v_add_f64 v[20:21], v[16:17], -v[14:15]
	s_and_saveexec_b64 s[56:57], vcc
	s_cbranch_execnz .LBB24_23
; %bb.21:                               ;   in Loop: Header=BB24_12 Depth=3
	s_or_b64 exec, exec, s[56:57]
	v_cmp_class_f64_e64 s[90:91], v[20:21], s0
	s_and_saveexec_b64 s[92:93], s[90:91]
	s_cbranch_execnz .LBB24_26
.LBB24_22:                              ;   in Loop: Header=BB24_12 Depth=3
	s_or_b64 exec, exec, s[92:93]
	s_and_b64 s[52:53], s[34:35], s[90:91]
	s_and_saveexec_b64 s[4:5], s[52:53]
	s_cbranch_execz .LBB24_11
	s_branch .LBB24_61
.LBB24_23:                              ;   in Loop: Header=BB24_12 Depth=3
	v_lshlrev_b64 v[22:23], 3, v[12:13]
	v_mov_b32_e32 v10, s61
	v_add_co_u32_e32 v22, vcc, s60, v22
	v_addc_co_u32_e32 v23, vcc, v10, v23, vcc
	global_load_dwordx2 v[22:23], v[22:23], off
	v_mov_b32_e32 v24, 0
	v_mov_b32_e32 v25, 0
	s_waitcnt vmcnt(0)
	v_cmp_lg_f64_e32 vcc, 0, v[22:23]
	s_and_saveexec_b64 s[58:59], vcc
	s_cbranch_execz .LBB24_25
; %bb.24:                               ;   in Loop: Header=BB24_12 Depth=3
	v_div_scale_f64 v[24:25], s[52:53], v[22:23], v[22:23], v[20:21]
	v_div_scale_f64 v[44:45], vcc, v[20:21], v[22:23], v[20:21]
	v_rcp_f64_e32 v[40:41], v[24:25]
	v_fma_f64 v[42:43], -v[24:25], v[40:41], 1.0
	v_fma_f64 v[40:41], v[40:41], v[42:43], v[40:41]
	v_fma_f64 v[42:43], -v[24:25], v[40:41], 1.0
	v_fma_f64 v[40:41], v[40:41], v[42:43], v[40:41]
	v_mul_f64 v[42:43], v[44:45], v[40:41]
	v_fma_f64 v[24:25], -v[24:25], v[42:43], v[44:45]
	v_div_fmas_f64 v[24:25], v[24:25], v[40:41], v[42:43]
	v_div_fixup_f64 v[24:25], v[24:25], v[22:23], v[20:21]
.LBB24_25:                              ;   in Loop: Header=BB24_12 Depth=3
	s_or_b64 exec, exec, s[58:59]
	v_mov_b32_e32 v20, v24
	v_mov_b32_e32 v21, v25
	s_or_b64 exec, exec, s[56:57]
	v_cmp_class_f64_e64 s[90:91], v[20:21], s0
	s_and_saveexec_b64 s[92:93], s[90:91]
	s_cbranch_execz .LBB24_22
.LBB24_26:                              ;   in Loop: Header=BB24_12 Depth=3
	s_and_saveexec_b64 s[52:53], s[4:5]
	s_xor_b64 s[4:5], exec, s[52:53]
	s_cbranch_execz .LBB24_47
; %bb.27:                               ;   in Loop: Header=BB24_12 Depth=3
	v_cmp_ge_i32_e32 vcc, v8, v12
	s_and_saveexec_b64 s[52:53], vcc
	s_xor_b64 s[56:57], exec, s[52:53]
	s_cbranch_execz .LBB24_33
; %bb.28:                               ;   in Loop: Header=BB24_12 Depth=3
	v_lshlrev_b64 v[22:23], 3, v[12:13]
	v_mov_b32_e32 v10, s63
	v_add_co_u32_e32 v24, vcc, s62, v22
	v_addc_co_u32_e32 v25, vcc, v10, v23, vcc
	s_andn2_b64 vcc, exec, s[64:65]
	global_store_dwordx2 v[24:25], v[20:21], off
	s_cbranch_vccnz .LBB24_32
; %bb.29:                               ;   in Loop: Header=BB24_12 Depth=3
	v_mov_b32_e32 v10, s61
	v_add_co_u32_e32 v22, vcc, s60, v22
	v_addc_co_u32_e32 v23, vcc, v10, v23, vcc
	global_load_dwordx2 v[22:23], v[22:23], off
	s_waitcnt vmcnt(0)
	v_add_f64 v[20:21], v[22:23], -v[20:21]
	v_cmp_class_f64_e64 s[58:59], v[20:21], s0
	s_and_saveexec_b64 s[52:53], s[58:59]
	s_cbranch_execz .LBB24_31
; %bb.30:                               ;   in Loop: Header=BB24_12 Depth=3
	v_cmp_lt_f64_e64 vcc, v[1:2], |v[20:21]|
	v_and_b32_e32 v10, 0x7fffffff, v21
	v_cndmask_b32_e32 v2, v2, v10, vcc
	v_cndmask_b32_e32 v1, v1, v20, vcc
.LBB24_31:                              ;   in Loop: Header=BB24_12 Depth=3
	s_or_b64 exec, exec, s[52:53]
.LBB24_32:                              ;   in Loop: Header=BB24_12 Depth=3
                                        ; implicit-def: $vgpr20_vgpr21
.LBB24_33:                              ;   in Loop: Header=BB24_12 Depth=3
	s_andn2_saveexec_b64 s[94:95], s[56:57]
	s_cbranch_execz .LBB24_46
; %bb.34:                               ;   in Loop: Header=BB24_12 Depth=3
	v_cmp_lt_i32_e32 vcc, v19, v39
	s_and_saveexec_b64 s[70:71], vcc
	s_cbranch_execz .LBB24_45
; %bb.35:                               ;   in Loop: Header=BB24_12 Depth=3
	s_mov_b64 s[74:75], 0
	v_mov_b32_e32 v10, v19
                                        ; implicit-def: $sgpr80_sgpr81
                                        ; implicit-def: $sgpr58_sgpr59
                                        ; implicit-def: $sgpr56_sgpr57
	s_branch .LBB24_37
.LBB24_36:                              ;   in Loop: Header=BB24_37 Depth=4
	s_or_b64 exec, exec, s[52:53]
	s_and_b64 s[52:53], exec, s[58:59]
	s_or_b64 s[74:75], s[52:53], s[74:75]
	s_andn2_b64 s[52:53], s[80:81], exec
	s_and_b64 s[80:81], s[56:57], exec
	s_or_b64 s[80:81], s[52:53], s[80:81]
	s_andn2_b64 exec, exec, s[74:75]
	s_cbranch_execz .LBB24_39
.LBB24_37:                              ;   Parent Loop BB24_3 Depth=1
                                        ;     Parent Loop BB24_7 Depth=2
                                        ;       Parent Loop BB24_12 Depth=3
                                        ; =>      This Inner Loop Header: Depth=4
	v_add_u32_e32 v22, v18, v10
	v_ashrrev_i32_e32 v23, 31, v22
	v_lshlrev_b64 v[24:25], 2, v[22:23]
	v_mov_b32_e32 v40, s29
	v_add_co_u32_e32 v24, vcc, s28, v24
	v_addc_co_u32_e32 v25, vcc, v40, v25, vcc
	global_load_dword v24, v[24:25], off
	s_or_b64 s[56:57], s[56:57], exec
	s_or_b64 s[58:59], s[58:59], exec
	s_waitcnt vmcnt(0)
	v_subrev_u32_e32 v24, s72, v24
	v_cmp_ne_u32_e32 vcc, v24, v8
	s_and_saveexec_b64 s[52:53], vcc
	s_cbranch_execz .LBB24_36
; %bb.38:                               ;   in Loop: Header=BB24_37 Depth=4
	v_add_u32_e32 v10, 1, v10
	v_cmp_ge_i32_e32 vcc, v10, v39
	s_andn2_b64 s[58:59], s[58:59], exec
	s_and_b64 vcc, vcc, exec
	s_andn2_b64 s[56:57], s[56:57], exec
	s_or_b64 s[58:59], s[58:59], vcc
	s_branch .LBB24_36
.LBB24_39:                              ;   in Loop: Header=BB24_12 Depth=3
	s_or_b64 exec, exec, s[74:75]
	s_and_saveexec_b64 s[52:53], s[80:81]
	s_xor_b64 s[56:57], exec, s[52:53]
	s_cbranch_execz .LBB24_44
; %bb.40:                               ;   in Loop: Header=BB24_12 Depth=3
	v_lshlrev_b64 v[22:23], 3, v[22:23]
	v_mov_b32_e32 v10, s79
	v_add_co_u32_e32 v24, vcc, s78, v22
	v_addc_co_u32_e32 v25, vcc, v10, v23, vcc
	s_andn2_b64 vcc, exec, s[64:65]
	global_store_dwordx2 v[24:25], v[20:21], off
	s_cbranch_vccnz .LBB24_44
; %bb.41:                               ;   in Loop: Header=BB24_12 Depth=3
	v_mov_b32_e32 v10, s31
	v_add_co_u32_e32 v22, vcc, s30, v22
	v_addc_co_u32_e32 v23, vcc, v10, v23, vcc
	global_load_dwordx2 v[22:23], v[22:23], off
	s_waitcnt vmcnt(0)
	v_add_f64 v[20:21], v[22:23], -v[20:21]
	v_cmp_class_f64_e64 s[58:59], v[20:21], s0
	s_and_saveexec_b64 s[52:53], s[58:59]
	s_cbranch_execz .LBB24_43
; %bb.42:                               ;   in Loop: Header=BB24_12 Depth=3
	v_cmp_lt_f64_e64 vcc, v[1:2], |v[20:21]|
	v_and_b32_e32 v10, 0x7fffffff, v21
	v_cndmask_b32_e32 v2, v2, v10, vcc
	v_cndmask_b32_e32 v1, v1, v20, vcc
.LBB24_43:                              ;   in Loop: Header=BB24_12 Depth=3
	s_or_b64 exec, exec, s[52:53]
.LBB24_44:                              ;   in Loop: Header=BB24_12 Depth=3
	s_or_b64 exec, exec, s[56:57]
.LBB24_45:                              ;   in Loop: Header=BB24_12 Depth=3
	s_or_b64 exec, exec, s[70:71]
.LBB24_46:                              ;   in Loop: Header=BB24_12 Depth=3
	s_or_b64 exec, exec, s[94:95]
                                        ; implicit-def: $vgpr20_vgpr21
.LBB24_47:                              ;   in Loop: Header=BB24_12 Depth=3
	s_andn2_saveexec_b64 s[4:5], s[4:5]
	s_cbranch_execz .LBB24_60
; %bb.48:                               ;   in Loop: Header=BB24_12 Depth=3
	v_cmp_lt_i32_e32 vcc, v6, v34
	s_and_saveexec_b64 s[94:95], vcc
	s_cbranch_execz .LBB24_59
; %bb.49:                               ;   in Loop: Header=BB24_12 Depth=3
	s_mov_b64 s[70:71], 0
	v_mov_b32_e32 v10, v6
                                        ; implicit-def: $sgpr74_sgpr75
                                        ; implicit-def: $sgpr58_sgpr59
                                        ; implicit-def: $sgpr56_sgpr57
	s_branch .LBB24_51
.LBB24_50:                              ;   in Loop: Header=BB24_51 Depth=4
	s_or_b64 exec, exec, s[80:81]
	s_and_b64 s[52:53], exec, s[58:59]
	s_or_b64 s[70:71], s[52:53], s[70:71]
	s_andn2_b64 s[52:53], s[74:75], exec
	s_and_b64 s[74:75], s[56:57], exec
	s_or_b64 s[74:75], s[52:53], s[74:75]
	s_andn2_b64 exec, exec, s[70:71]
	s_cbranch_execz .LBB24_53
.LBB24_51:                              ;   Parent Loop BB24_3 Depth=1
                                        ;     Parent Loop BB24_7 Depth=2
                                        ;       Parent Loop BB24_12 Depth=3
                                        ; =>      This Inner Loop Header: Depth=4
	v_add_u32_e32 v22, v11, v10
	v_ashrrev_i32_e32 v23, 31, v22
	v_lshlrev_b64 v[24:25], 2, v[22:23]
	v_mov_b32_e32 v40, s41
	v_add_co_u32_e32 v24, vcc, s40, v24
	v_addc_co_u32_e32 v25, vcc, v40, v25, vcc
	global_load_dword v24, v[24:25], off
	s_or_b64 s[56:57], s[56:57], exec
	s_or_b64 s[58:59], s[58:59], exec
	s_waitcnt vmcnt(0)
	v_subrev_u32_e32 v24, s68, v24
	v_cmp_ne_u32_e32 vcc, v24, v12
	s_and_saveexec_b64 s[80:81], vcc
	s_cbranch_execz .LBB24_50
; %bb.52:                               ;   in Loop: Header=BB24_51 Depth=4
	v_add_u32_e32 v10, 1, v10
	v_cmp_ge_i32_e32 vcc, v10, v34
	s_andn2_b64 s[52:53], s[58:59], exec
	s_and_b64 s[58:59], vcc, exec
	s_andn2_b64 s[56:57], s[56:57], exec
	s_or_b64 s[58:59], s[52:53], s[58:59]
	s_branch .LBB24_50
.LBB24_53:                              ;   in Loop: Header=BB24_12 Depth=3
	s_or_b64 exec, exec, s[70:71]
	s_and_saveexec_b64 s[52:53], s[74:75]
	s_xor_b64 s[56:57], exec, s[52:53]
	s_cbranch_execz .LBB24_58
; %bb.54:                               ;   in Loop: Header=BB24_12 Depth=3
	v_lshlrev_b64 v[22:23], 3, v[22:23]
	v_mov_b32_e32 v10, s77
	v_add_co_u32_e32 v24, vcc, s76, v22
	v_addc_co_u32_e32 v25, vcc, v10, v23, vcc
	s_andn2_b64 vcc, exec, s[64:65]
	global_store_dwordx2 v[24:25], v[20:21], off
	s_cbranch_vccnz .LBB24_58
; %bb.55:                               ;   in Loop: Header=BB24_12 Depth=3
	v_mov_b32_e32 v10, s43
	v_add_co_u32_e32 v22, vcc, s42, v22
	v_addc_co_u32_e32 v23, vcc, v10, v23, vcc
	global_load_dwordx2 v[22:23], v[22:23], off
	s_waitcnt vmcnt(0)
	v_add_f64 v[20:21], v[22:23], -v[20:21]
	v_cmp_class_f64_e64 s[52:53], v[20:21], s0
	s_and_saveexec_b64 s[58:59], s[52:53]
	s_cbranch_execz .LBB24_57
; %bb.56:                               ;   in Loop: Header=BB24_12 Depth=3
	v_cmp_lt_f64_e64 vcc, v[1:2], |v[20:21]|
	v_and_b32_e32 v10, 0x7fffffff, v21
	v_cndmask_b32_e32 v2, v2, v10, vcc
	v_cndmask_b32_e32 v1, v1, v20, vcc
.LBB24_57:                              ;   in Loop: Header=BB24_12 Depth=3
	s_or_b64 exec, exec, s[58:59]
.LBB24_58:                              ;   in Loop: Header=BB24_12 Depth=3
	s_or_b64 exec, exec, s[56:57]
.LBB24_59:                              ;   in Loop: Header=BB24_12 Depth=3
	s_or_b64 exec, exec, s[94:95]
.LBB24_60:                              ;   in Loop: Header=BB24_12 Depth=3
	s_or_b64 exec, exec, s[4:5]
	s_or_b64 exec, exec, s[92:93]
	s_and_b64 s[52:53], s[34:35], s[90:91]
	s_and_saveexec_b64 s[4:5], s[52:53]
	s_cbranch_execz .LBB24_11
.LBB24_61:                              ;   in Loop: Header=BB24_12 Depth=3
	v_cmp_ge_i32_e32 vcc, v19, v39
	s_and_saveexec_b64 s[52:53], vcc
	s_xor_b64 s[70:71], exec, s[52:53]
	s_cbranch_execnz .LBB24_67
; %bb.62:                               ;   in Loop: Header=BB24_12 Depth=3
	s_andn2_saveexec_b64 s[70:71], s[70:71]
	s_cbranch_execnz .LBB24_76
.LBB24_63:                              ;   in Loop: Header=BB24_12 Depth=3
	s_or_b64 exec, exec, s[70:71]
	v_cmp_eq_u32_e32 vcc, v8, v12
	s_and_saveexec_b64 s[52:53], vcc
	s_cbranch_execz .LBB24_65
.LBB24_64:                              ;   in Loop: Header=BB24_12 Depth=3
	v_lshlrev_b64 v[12:13], 3, v[12:13]
	v_mov_b32_e32 v6, s61
	v_add_co_u32_e32 v12, vcc, s60, v12
	v_addc_co_u32_e32 v13, vcc, v6, v13, vcc
	global_load_dwordx2 v[12:13], v[12:13], off
	s_waitcnt vmcnt(0)
	v_add_f64 v[14:15], v[14:15], v[12:13]
.LBB24_65:                              ;   in Loop: Header=BB24_12 Depth=3
	s_or_b64 exec, exec, s[52:53]
	v_add_f64 v[12:13], v[16:17], -v[14:15]
	v_cmp_class_f64_e64 s[56:57], v[12:13], s0
	s_and_saveexec_b64 s[52:53], s[56:57]
	s_cbranch_execz .LBB24_10
; %bb.66:                               ;   in Loop: Header=BB24_12 Depth=3
	v_cmp_lt_f64_e64 vcc, v[4:5], |v[12:13]|
	v_and_b32_e32 v6, 0x7fffffff, v13
	v_cndmask_b32_e32 v5, v5, v6, vcc
	v_cndmask_b32_e32 v4, v4, v12, vcc
	s_branch .LBB24_10
.LBB24_67:                              ;   in Loop: Header=BB24_12 Depth=3
	v_cmp_lt_i32_e32 vcc, v6, v34
	s_and_saveexec_b64 s[90:91], vcc
	s_cbranch_execz .LBB24_75
; %bb.68:                               ;   in Loop: Header=BB24_12 Depth=3
	s_mov_b64 s[74:75], 0
                                        ; implicit-def: $sgpr80_sgpr81
                                        ; implicit-def: $sgpr58_sgpr59
                                        ; implicit-def: $sgpr56_sgpr57
	s_branch .LBB24_70
.LBB24_69:                              ;   in Loop: Header=BB24_70 Depth=4
	s_or_b64 exec, exec, s[52:53]
	s_and_b64 s[52:53], exec, s[58:59]
	s_or_b64 s[74:75], s[52:53], s[74:75]
	s_andn2_b64 s[52:53], s[80:81], exec
	s_and_b64 s[80:81], s[56:57], exec
	s_or_b64 s[80:81], s[52:53], s[80:81]
	s_andn2_b64 exec, exec, s[74:75]
	s_cbranch_execz .LBB24_72
.LBB24_70:                              ;   Parent Loop BB24_3 Depth=1
                                        ;     Parent Loop BB24_7 Depth=2
                                        ;       Parent Loop BB24_12 Depth=3
                                        ; =>      This Inner Loop Header: Depth=4
	v_add_u32_e32 v18, v11, v6
	v_ashrrev_i32_e32 v19, 31, v18
	v_lshlrev_b64 v[20:21], 2, v[18:19]
	v_mov_b32_e32 v10, s41
	v_add_co_u32_e32 v20, vcc, s40, v20
	v_addc_co_u32_e32 v21, vcc, v10, v21, vcc
	global_load_dword v10, v[20:21], off
	s_or_b64 s[56:57], s[56:57], exec
	s_or_b64 s[58:59], s[58:59], exec
	s_waitcnt vmcnt(0)
	v_subrev_u32_e32 v10, s68, v10
	v_cmp_ne_u32_e32 vcc, v10, v12
	s_and_saveexec_b64 s[52:53], vcc
	s_cbranch_execz .LBB24_69
; %bb.71:                               ;   in Loop: Header=BB24_70 Depth=4
	v_add_u32_e32 v6, 1, v6
	v_cmp_ge_i32_e32 vcc, v6, v34
	s_andn2_b64 s[58:59], s[58:59], exec
	s_and_b64 s[92:93], vcc, exec
	s_andn2_b64 s[56:57], s[56:57], exec
	s_or_b64 s[58:59], s[58:59], s[92:93]
	s_branch .LBB24_69
.LBB24_72:                              ;   in Loop: Header=BB24_12 Depth=3
	s_or_b64 exec, exec, s[74:75]
	s_and_saveexec_b64 s[52:53], s[80:81]
	s_xor_b64 s[56:57], exec, s[52:53]
	s_cbranch_execz .LBB24_74
; %bb.73:                               ;   in Loop: Header=BB24_12 Depth=3
	v_lshlrev_b64 v[18:19], 3, v[18:19]
	v_mov_b32_e32 v6, s43
	v_add_co_u32_e32 v18, vcc, s42, v18
	v_lshlrev_b64 v[20:21], 3, v[12:13]
	v_addc_co_u32_e32 v19, vcc, v6, v19, vcc
	v_mov_b32_e32 v6, s61
	v_add_co_u32_e32 v20, vcc, s60, v20
	v_addc_co_u32_e32 v21, vcc, v6, v21, vcc
	global_load_dwordx2 v[18:19], v[18:19], off
	s_nop 0
	global_load_dwordx2 v[20:21], v[20:21], off
	s_waitcnt vmcnt(0)
	v_fma_f64 v[14:15], v[18:19], v[20:21], v[14:15]
.LBB24_74:                              ;   in Loop: Header=BB24_12 Depth=3
	s_or_b64 exec, exec, s[56:57]
.LBB24_75:                              ;   in Loop: Header=BB24_12 Depth=3
	s_or_b64 exec, exec, s[90:91]
                                        ; implicit-def: $vgpr19
                                        ; implicit-def: $vgpr18
                                        ; implicit-def: $vgpr39
	s_andn2_saveexec_b64 s[70:71], s[70:71]
	s_cbranch_execz .LBB24_63
.LBB24_76:                              ;   in Loop: Header=BB24_12 Depth=3
	s_mov_b64 s[74:75], 0
                                        ; implicit-def: $sgpr80_sgpr81
                                        ; implicit-def: $sgpr58_sgpr59
                                        ; implicit-def: $sgpr56_sgpr57
	s_branch .LBB24_78
.LBB24_77:                              ;   in Loop: Header=BB24_78 Depth=4
	s_or_b64 exec, exec, s[52:53]
	s_and_b64 s[52:53], exec, s[58:59]
	s_or_b64 s[74:75], s[52:53], s[74:75]
	s_andn2_b64 s[52:53], s[80:81], exec
	s_and_b64 s[80:81], s[56:57], exec
	s_or_b64 s[80:81], s[52:53], s[80:81]
	s_andn2_b64 exec, exec, s[74:75]
	s_cbranch_execz .LBB24_80
.LBB24_78:                              ;   Parent Loop BB24_3 Depth=1
                                        ;     Parent Loop BB24_7 Depth=2
                                        ;       Parent Loop BB24_12 Depth=3
                                        ; =>      This Inner Loop Header: Depth=4
	v_add_u32_e32 v20, v18, v19
	v_ashrrev_i32_e32 v21, 31, v20
	v_lshlrev_b64 v[22:23], 2, v[20:21]
	v_mov_b32_e32 v6, s29
	v_add_co_u32_e32 v22, vcc, s28, v22
	v_addc_co_u32_e32 v23, vcc, v6, v23, vcc
	global_load_dword v6, v[22:23], off
	s_or_b64 s[56:57], s[56:57], exec
	s_or_b64 s[58:59], s[58:59], exec
	s_waitcnt vmcnt(0)
	v_subrev_u32_e32 v6, s72, v6
	v_cmp_ne_u32_e32 vcc, v6, v8
	s_and_saveexec_b64 s[52:53], vcc
	s_cbranch_execz .LBB24_77
; %bb.79:                               ;   in Loop: Header=BB24_78 Depth=4
	v_add_u32_e32 v19, 1, v19
	v_cmp_ge_i32_e32 vcc, v19, v39
	s_andn2_b64 s[58:59], s[58:59], exec
	s_and_b64 s[90:91], vcc, exec
	s_andn2_b64 s[56:57], s[56:57], exec
	s_or_b64 s[58:59], s[58:59], s[90:91]
	s_branch .LBB24_77
.LBB24_80:                              ;   in Loop: Header=BB24_12 Depth=3
	s_or_b64 exec, exec, s[74:75]
	s_and_saveexec_b64 s[52:53], s[80:81]
	s_xor_b64 s[52:53], exec, s[52:53]
	s_cbranch_execz .LBB24_82
; %bb.81:                               ;   in Loop: Header=BB24_12 Depth=3
	v_lshlrev_b64 v[18:19], 3, v[20:21]
	v_mov_b32_e32 v6, s31
	v_add_co_u32_e32 v18, vcc, s30, v18
	v_addc_co_u32_e32 v19, vcc, v6, v19, vcc
	global_load_dwordx2 v[18:19], v[18:19], off
	s_waitcnt vmcnt(0)
	v_add_f64 v[14:15], v[14:15], v[18:19]
.LBB24_82:                              ;   in Loop: Header=BB24_12 Depth=3
	s_or_b64 exec, exec, s[52:53]
	s_or_b64 exec, exec, s[70:71]
	v_cmp_eq_u32_e32 vcc, v8, v12
	s_and_saveexec_b64 s[52:53], vcc
	s_cbranch_execnz .LBB24_64
	s_branch .LBB24_65
.LBB24_83:                              ;   in Loop: Header=BB24_3 Depth=1
	s_and_b64 vcc, exec, s[64:65]
	s_cbranch_vccz .LBB24_101
; %bb.84:                               ;   in Loop: Header=BB24_3 Depth=1
	v_mov_b32_dpp v8, v1 row_shr:1 row_mask:0xf bank_mask:0xf
	v_mov_b32_dpp v9, v2 row_shr:1 row_mask:0xf bank_mask:0xf
	v_cmp_lt_f64_e32 vcc, v[1:2], v[8:9]
	v_cndmask_b32_e32 v2, v2, v9, vcc
	v_cndmask_b32_e32 v1, v1, v8, vcc
	s_nop 0
	v_mov_b32_dpp v9, v2 row_shr:2 row_mask:0xf bank_mask:0xf
	v_mov_b32_dpp v8, v1 row_shr:2 row_mask:0xf bank_mask:0xf
	v_cmp_lt_f64_e32 vcc, v[1:2], v[8:9]
	v_cndmask_b32_e32 v2, v2, v9, vcc
	v_cndmask_b32_e32 v1, v1, v8, vcc
	s_nop 0
	v_mov_b32_dpp v3, v2 row_shr:4 row_mask:0xf bank_mask:0xe
	v_mov_b32_dpp v8, v1 row_shr:4 row_mask:0xf bank_mask:0xe
	s_and_saveexec_b64 s[4:5], s[2:3]
	s_cbranch_execz .LBB24_86
; %bb.85:                               ;   in Loop: Header=BB24_3 Depth=1
	v_mov_b32_e32 v9, v3
	v_cmp_lt_f64_e32 vcc, v[1:2], v[8:9]
	v_cndmask_b32_e32 v2, v2, v3, vcc
	v_cndmask_b32_e32 v1, v1, v8, vcc
	ds_write_b64 v31, v[1:2]
.LBB24_86:                              ;   in Loop: Header=BB24_3 Depth=1
	s_or_b64 exec, exec, s[4:5]
	s_waitcnt vmcnt(0) lgkmcnt(0)
	s_barrier
	s_and_saveexec_b64 s[4:5], s[22:23]
	s_cbranch_execz .LBB24_88
; %bb.87:                               ;   in Loop: Header=BB24_3 Depth=1
	ds_read2st64_b64 v[8:11], v29 offset1:1
	s_waitcnt lgkmcnt(0)
	v_cmp_lt_f64_e32 vcc, v[8:9], v[10:11]
	v_cndmask_b32_e32 v2, v9, v11, vcc
	v_cndmask_b32_e32 v1, v8, v10, vcc
	ds_write_b64 v29, v[1:2]
.LBB24_88:                              ;   in Loop: Header=BB24_3 Depth=1
	s_or_b64 exec, exec, s[4:5]
	s_waitcnt lgkmcnt(0)
	s_barrier
	s_and_saveexec_b64 s[4:5], s[6:7]
	s_cbranch_execz .LBB24_90
; %bb.89:                               ;   in Loop: Header=BB24_3 Depth=1
	ds_read2_b64 v[8:11], v29 offset1:32
	s_waitcnt lgkmcnt(0)
	v_cmp_lt_f64_e32 vcc, v[8:9], v[10:11]
	v_cndmask_b32_e32 v2, v9, v11, vcc
	v_cndmask_b32_e32 v1, v8, v10, vcc
	ds_write_b64 v29, v[1:2]
.LBB24_90:                              ;   in Loop: Header=BB24_3 Depth=1
	s_or_b64 exec, exec, s[4:5]
	s_waitcnt lgkmcnt(0)
	s_barrier
	s_and_saveexec_b64 s[4:5], s[8:9]
	s_cbranch_execz .LBB24_92
; %bb.91:                               ;   in Loop: Header=BB24_3 Depth=1
	ds_read2_b64 v[8:11], v29 offset1:16
	s_waitcnt lgkmcnt(0)
	v_cmp_lt_f64_e32 vcc, v[8:9], v[10:11]
	v_cndmask_b32_e32 v2, v9, v11, vcc
	v_cndmask_b32_e32 v1, v8, v10, vcc
	ds_write_b64 v29, v[1:2]
.LBB24_92:                              ;   in Loop: Header=BB24_3 Depth=1
	;; [unrolled: 13-line block ×5, first 2 shown]
	s_or_b64 exec, exec, s[4:5]
	s_waitcnt lgkmcnt(0)
	s_barrier
	s_and_saveexec_b64 s[4:5], s[16:17]
	s_cbranch_execz .LBB24_100
; %bb.99:                               ;   in Loop: Header=BB24_3 Depth=1
	ds_read_b128 v[8:11], v7
	s_waitcnt lgkmcnt(0)
	v_cmp_lt_f64_e32 vcc, v[8:9], v[10:11]
	v_cndmask_b32_e32 v2, v9, v11, vcc
	v_cndmask_b32_e32 v1, v8, v10, vcc
	ds_write_b64 v7, v[1:2]
.LBB24_100:                             ;   in Loop: Header=BB24_3 Depth=1
	s_or_b64 exec, exec, s[4:5]
	v_readlane_b32 s4, v46, 10
	v_readlane_b32 s5, v46, 11
	s_waitcnt lgkmcnt(0)
	s_barrier
	ds_read_b64 v[1:2], v7
	s_load_dwordx2 s[4:5], s[4:5], 0x0
	s_waitcnt lgkmcnt(0)
	v_div_scale_f64 v[8:9], s[20:21], s[4:5], s[4:5], v[1:2]
	v_div_scale_f64 v[14:15], vcc, v[1:2], s[4:5], v[1:2]
	v_rcp_f64_e32 v[10:11], v[8:9]
	v_fma_f64 v[12:13], -v[8:9], v[10:11], 1.0
	v_fma_f64 v[10:11], v[10:11], v[12:13], v[10:11]
	v_fma_f64 v[12:13], -v[8:9], v[10:11], 1.0
	v_fma_f64 v[10:11], v[10:11], v[12:13], v[10:11]
	v_mul_f64 v[12:13], v[14:15], v[10:11]
	v_fma_f64 v[8:9], -v[8:9], v[12:13], v[14:15]
	v_div_fmas_f64 v[8:9], v[8:9], v[10:11], v[12:13]
	v_div_fixup_f64 v[1:2], v[8:9], s[4:5], v[1:2]
.LBB24_101:                             ;   in Loop: Header=BB24_3 Depth=1
	s_andn2_b64 vcc, exec, s[34:35]
	s_cbranch_vccnz .LBB24_119
; %bb.102:                              ;   in Loop: Header=BB24_3 Depth=1
	v_mov_b32_dpp v8, v4 row_shr:1 row_mask:0xf bank_mask:0xf
	v_mov_b32_dpp v9, v5 row_shr:1 row_mask:0xf bank_mask:0xf
	v_cmp_lt_f64_e32 vcc, v[4:5], v[8:9]
	v_cndmask_b32_e32 v6, v5, v9, vcc
	v_cndmask_b32_e32 v5, v4, v8, vcc
	s_nop 0
	v_mov_b32_dpp v9, v6 row_shr:2 row_mask:0xf bank_mask:0xf
	v_mov_b32_dpp v8, v5 row_shr:2 row_mask:0xf bank_mask:0xf
	v_cmp_lt_f64_e32 vcc, v[5:6], v[8:9]
	v_cndmask_b32_e32 v4, v6, v9, vcc
	v_cndmask_b32_e32 v3, v5, v8, vcc
	s_nop 0
	v_mov_b32_dpp v8, v4 row_shr:4 row_mask:0xf bank_mask:0xe
	v_mov_b32_dpp v5, v3 row_shr:4 row_mask:0xf bank_mask:0xe
	s_and_saveexec_b64 s[4:5], s[2:3]
	s_cbranch_execz .LBB24_104
; %bb.103:                              ;   in Loop: Header=BB24_3 Depth=1
	v_mov_b32_e32 v6, v8
	v_cmp_lt_f64_e32 vcc, v[3:4], v[5:6]
	v_cndmask_b32_e32 v4, v4, v8, vcc
	v_cndmask_b32_e32 v3, v3, v5, vcc
	ds_write_b64 v31, v[3:4]
.LBB24_104:                             ;   in Loop: Header=BB24_3 Depth=1
	s_or_b64 exec, exec, s[4:5]
	s_waitcnt vmcnt(0) lgkmcnt(0)
	s_barrier
	s_and_saveexec_b64 s[4:5], s[22:23]
	s_cbranch_execz .LBB24_106
; %bb.105:                              ;   in Loop: Header=BB24_3 Depth=1
	ds_read2st64_b64 v[3:6], v29 offset1:1
	s_waitcnt lgkmcnt(0)
	v_cmp_lt_f64_e32 vcc, v[3:4], v[5:6]
	v_cndmask_b32_e32 v4, v4, v6, vcc
	v_cndmask_b32_e32 v3, v3, v5, vcc
	ds_write_b64 v29, v[3:4]
.LBB24_106:                             ;   in Loop: Header=BB24_3 Depth=1
	s_or_b64 exec, exec, s[4:5]
	s_waitcnt lgkmcnt(0)
	s_barrier
	s_and_saveexec_b64 s[4:5], s[6:7]
	s_cbranch_execz .LBB24_108
; %bb.107:                              ;   in Loop: Header=BB24_3 Depth=1
	ds_read2_b64 v[3:6], v29 offset1:32
	s_waitcnt lgkmcnt(0)
	v_cmp_lt_f64_e32 vcc, v[3:4], v[5:6]
	v_cndmask_b32_e32 v4, v4, v6, vcc
	v_cndmask_b32_e32 v3, v3, v5, vcc
	ds_write_b64 v29, v[3:4]
.LBB24_108:                             ;   in Loop: Header=BB24_3 Depth=1
	s_or_b64 exec, exec, s[4:5]
	s_waitcnt lgkmcnt(0)
	s_barrier
	s_and_saveexec_b64 s[4:5], s[8:9]
	s_cbranch_execz .LBB24_110
; %bb.109:                              ;   in Loop: Header=BB24_3 Depth=1
	ds_read2_b64 v[3:6], v29 offset1:16
	s_waitcnt lgkmcnt(0)
	v_cmp_lt_f64_e32 vcc, v[3:4], v[5:6]
	v_cndmask_b32_e32 v4, v4, v6, vcc
	v_cndmask_b32_e32 v3, v3, v5, vcc
	ds_write_b64 v29, v[3:4]
.LBB24_110:                             ;   in Loop: Header=BB24_3 Depth=1
	;; [unrolled: 13-line block ×5, first 2 shown]
	s_or_b64 exec, exec, s[4:5]
	s_waitcnt lgkmcnt(0)
	s_barrier
	s_and_saveexec_b64 s[4:5], s[16:17]
	s_cbranch_execz .LBB24_118
; %bb.117:                              ;   in Loop: Header=BB24_3 Depth=1
	ds_read_b128 v[3:6], v7
	s_waitcnt lgkmcnt(0)
	v_cmp_lt_f64_e32 vcc, v[3:4], v[5:6]
	v_cndmask_b32_e32 v4, v4, v6, vcc
	v_cndmask_b32_e32 v3, v3, v5, vcc
	ds_write_b64 v7, v[3:4]
.LBB24_118:                             ;   in Loop: Header=BB24_3 Depth=1
	s_or_b64 exec, exec, s[4:5]
	v_readlane_b32 s4, v46, 10
	v_readlane_b32 s5, v46, 11
	s_waitcnt lgkmcnt(0)
	s_barrier
	ds_read_b64 v[3:4], v7
	s_load_dwordx2 s[4:5], s[4:5], 0x0
	s_waitcnt lgkmcnt(0)
	v_div_scale_f64 v[5:6], s[20:21], s[4:5], s[4:5], v[3:4]
	v_div_scale_f64 v[12:13], vcc, v[3:4], s[4:5], v[3:4]
	v_rcp_f64_e32 v[8:9], v[5:6]
	v_fma_f64 v[10:11], -v[5:6], v[8:9], 1.0
	v_fma_f64 v[8:9], v[8:9], v[10:11], v[8:9]
	v_fma_f64 v[10:11], -v[5:6], v[8:9], 1.0
	v_fma_f64 v[8:9], v[8:9], v[10:11], v[8:9]
	v_mul_f64 v[10:11], v[12:13], v[8:9]
	v_fma_f64 v[5:6], -v[5:6], v[10:11], v[12:13]
	v_div_fmas_f64 v[5:6], v[5:6], v[8:9], v[10:11]
	v_div_fixup_f64 v[4:5], v[5:6], s[4:5], v[3:4]
.LBB24_119:                             ;   in Loop: Header=BB24_3 Depth=1
	s_mov_b64 s[4:5], exec
	v_readlane_b32 s20, v46, 14
	v_readlane_b32 s21, v46, 15
	s_and_b64 s[20:21], s[4:5], s[20:21]
	s_mov_b64 exec, s[20:21]
	s_cbranch_execz .LBB24_131
; %bb.120:                              ;   in Loop: Header=BB24_3 Depth=1
	s_mov_b64 s[20:21], 0
	v_mov_b32_e32 v8, v28
	s_branch .LBB24_122
.LBB24_121:                             ;   in Loop: Header=BB24_122 Depth=2
	s_or_b64 exec, exec, s[84:85]
	v_add_u32_e32 v8, 0x80, v8
	v_cmp_le_u32_e32 vcc, s73, v8
	s_or_b64 s[20:21], vcc, s[20:21]
	s_andn2_b64 exec, exec, s[20:21]
	s_cbranch_execz .LBB24_131
.LBB24_122:                             ;   Parent Loop BB24_3 Depth=1
                                        ; =>  This Loop Header: Depth=2
                                        ;       Child Loop BB24_125 Depth 3
                                        ;       Child Loop BB24_128 Depth 3
	v_cmp_gt_i32_e32 vcc, s33, v8
	s_and_saveexec_b64 s[84:85], vcc
	s_cbranch_execz .LBB24_121
; %bb.123:                              ;   in Loop: Header=BB24_122 Depth=2
	v_ashrrev_i32_e32 v9, 31, v8
	v_lshlrev_b64 v[10:11], 2, v[8:9]
	v_mov_b32_e32 v3, s37
	v_add_co_u32_e32 v12, vcc, s36, v10
	v_addc_co_u32_e32 v13, vcc, v3, v11, vcc
	global_load_dword v3, v[12:13], off
	v_mov_b32_e32 v6, s39
	v_add_co_u32_e32 v12, vcc, s38, v10
	v_addc_co_u32_e32 v13, vcc, v6, v11, vcc
	global_load_dword v6, v[12:13], off
	s_waitcnt vmcnt(1)
	v_add_u32_e32 v12, v32, v3
	s_waitcnt vmcnt(0)
	v_subrev_u32_e32 v3, s68, v6
	v_cmp_lt_i32_e32 vcc, v12, v3
	s_and_saveexec_b64 s[56:57], vcc
	s_cbranch_execz .LBB24_126
; %bb.124:                              ;   in Loop: Header=BB24_122 Depth=2
	v_ashrrev_i32_e32 v13, 31, v12
	v_lshlrev_b64 v[15:16], 3, v[12:13]
	v_mov_b32_e32 v6, s77
	v_add_co_u32_e32 v13, vcc, s76, v15
	v_addc_co_u32_e32 v14, vcc, v6, v16, vcc
	v_mov_b32_e32 v6, s43
	v_add_co_u32_e32 v15, vcc, s42, v15
	v_addc_co_u32_e32 v16, vcc, v6, v16, vcc
	s_mov_b64 s[58:59], 0
.LBB24_125:                             ;   Parent Loop BB24_3 Depth=1
                                        ;     Parent Loop BB24_122 Depth=2
                                        ; =>    This Inner Loop Header: Depth=3
	global_load_dwordx2 v[17:18], v[13:14], off
	v_add_co_u32_e32 v13, vcc, 64, v13
	v_add_u32_e32 v12, 8, v12
	v_addc_co_u32_e32 v14, vcc, 0, v14, vcc
	v_cmp_ge_i32_e32 vcc, v12, v3
	s_or_b64 s[58:59], vcc, s[58:59]
	s_waitcnt vmcnt(0)
	global_store_dwordx2 v[15:16], v[17:18], off
	v_add_co_u32_e32 v15, vcc, 64, v15
	v_addc_co_u32_e32 v16, vcc, 0, v16, vcc
	s_andn2_b64 exec, exec, s[58:59]
	s_cbranch_execnz .LBB24_125
.LBB24_126:                             ;   in Loop: Header=BB24_122 Depth=2
	s_or_b64 exec, exec, s[56:57]
	v_mov_b32_e32 v3, s25
	v_add_co_u32_e32 v12, vcc, s24, v10
	v_addc_co_u32_e32 v13, vcc, v3, v11, vcc
	v_mov_b32_e32 v6, s27
	v_add_co_u32_e32 v10, vcc, s26, v10
	v_addc_co_u32_e32 v11, vcc, v6, v11, vcc
	global_load_dword v3, v[12:13], off
	global_load_dword v6, v[10:11], off
	s_waitcnt vmcnt(1)
	v_add_u32_e32 v10, v33, v3
	s_waitcnt vmcnt(0)
	v_subrev_u32_e32 v3, s72, v6
	v_cmp_lt_i32_e32 vcc, v10, v3
	s_and_saveexec_b64 s[56:57], vcc
	s_cbranch_execz .LBB24_129
; %bb.127:                              ;   in Loop: Header=BB24_122 Depth=2
	v_ashrrev_i32_e32 v11, 31, v10
	v_lshlrev_b64 v[13:14], 3, v[10:11]
	v_mov_b32_e32 v6, s79
	v_add_co_u32_e32 v11, vcc, s78, v13
	v_addc_co_u32_e32 v12, vcc, v6, v14, vcc
	v_mov_b32_e32 v6, s31
	v_add_co_u32_e32 v13, vcc, s30, v13
	v_addc_co_u32_e32 v14, vcc, v6, v14, vcc
	s_mov_b64 s[58:59], 0
.LBB24_128:                             ;   Parent Loop BB24_3 Depth=1
                                        ;     Parent Loop BB24_122 Depth=2
                                        ; =>    This Inner Loop Header: Depth=3
	global_load_dwordx2 v[15:16], v[11:12], off
	v_add_co_u32_e32 v11, vcc, 64, v11
	v_add_u32_e32 v10, 8, v10
	v_addc_co_u32_e32 v12, vcc, 0, v12, vcc
	v_cmp_ge_i32_e32 vcc, v10, v3
	s_or_b64 s[58:59], vcc, s[58:59]
	s_waitcnt vmcnt(0)
	global_store_dwordx2 v[13:14], v[15:16], off
	v_add_co_u32_e32 v13, vcc, 64, v13
	v_addc_co_u32_e32 v14, vcc, 0, v14, vcc
	s_andn2_b64 exec, exec, s[58:59]
	s_cbranch_execnz .LBB24_128
.LBB24_129:                             ;   in Loop: Header=BB24_122 Depth=2
	s_or_b64 exec, exec, s[56:57]
	s_and_b64 exec, exec, s[18:19]
	s_cbranch_execz .LBB24_121
; %bb.130:                              ;   in Loop: Header=BB24_122 Depth=2
	v_lshlrev_b64 v[9:10], 3, v[8:9]
	v_mov_b32_e32 v3, s63
	v_add_co_u32_e32 v11, vcc, s62, v9
	v_addc_co_u32_e32 v12, vcc, v3, v10, vcc
	global_load_dwordx2 v[11:12], v[11:12], off
	v_mov_b32_e32 v3, s61
	v_add_co_u32_e32 v9, vcc, s60, v9
	v_addc_co_u32_e32 v10, vcc, v3, v10, vcc
	s_waitcnt vmcnt(0)
	global_store_dwordx2 v[9:10], v[11:12], off
	s_branch .LBB24_121
.LBB24_131:                             ;   in Loop: Header=BB24_3 Depth=1
	s_or_b64 exec, exec, s[4:5]
	s_mov_b64 s[20:21], -1
	s_and_b64 vcc, exec, s[66:67]
	s_mov_b64 s[52:53], -1
	s_cbranch_vccz .LBB24_141
; %bb.132:                              ;   in Loop: Header=BB24_3 Depth=1
	v_readlane_b32 s52, v46, 16
	v_readlane_b32 s53, v46, 17
	s_mov_b64 s[4:5], -1
	s_and_b64 vcc, exec, s[52:53]
                                        ; implicit-def: $sgpr56_sgpr57
	s_cbranch_vccz .LBB24_138
; %bb.133:                              ;   in Loop: Header=BB24_3 Depth=1
	v_readlane_b32 s52, v46, 12
	v_readlane_b32 s53, v46, 13
	s_and_b64 vcc, exec, s[52:53]
                                        ; implicit-def: $sgpr56_sgpr57
	s_cbranch_vccz .LBB24_135
; %bb.134:                              ;   in Loop: Header=BB24_3 Depth=1
	v_readlane_b32 s56, v46, 0
	v_readlane_b32 s57, v46, 1
	;; [unrolled: 1-line block ×4, first 2 shown]
	v_cmp_ge_f64_e64 s[56:57], s[58:59], v[4:5]
	s_mov_b64 s[4:5], 0
.LBB24_135:                             ;   in Loop: Header=BB24_3 Depth=1
	s_andn2_b64 vcc, exec, s[4:5]
	s_cbranch_vccnz .LBB24_137
; %bb.136:                              ;   in Loop: Header=BB24_3 Depth=1
	v_readlane_b32 s84, v46, 0
	v_readlane_b32 s86, v46, 2
	;; [unrolled: 1-line block ×3, first 2 shown]
	v_cmp_ge_f64_e32 vcc, s[86:87], v[1:2]
	s_andn2_b64 s[4:5], s[56:57], exec
	v_readlane_b32 s85, v46, 1
	s_and_b64 s[52:53], vcc, exec
	s_or_b64 s[56:57], s[4:5], s[52:53]
.LBB24_137:                             ;   in Loop: Header=BB24_3 Depth=1
	s_mov_b64 s[4:5], 0
.LBB24_138:                             ;   in Loop: Header=BB24_3 Depth=1
	s_andn2_b64 vcc, exec, s[4:5]
	s_cbranch_vccnz .LBB24_140
; %bb.139:                              ;   in Loop: Header=BB24_3 Depth=1
	v_readlane_b32 s84, v46, 0
	v_readlane_b32 s86, v46, 2
	;; [unrolled: 1-line block ×3, first 2 shown]
	v_cmp_ge_f64_e32 vcc, s[86:87], v[1:2]
	v_cmp_ge_f64_e64 s[4:5], s[86:87], v[4:5]
	s_andn2_b64 s[52:53], s[56:57], exec
	v_readlane_b32 s85, v46, 1
	s_and_b64 s[4:5], vcc, s[4:5]
	s_and_b64 s[4:5], s[4:5], exec
	s_or_b64 s[56:57], s[52:53], s[4:5]
.LBB24_140:                             ;   in Loop: Header=BB24_3 Depth=1
	s_xor_b64 s[52:53], s[56:57], -1
.LBB24_141:                             ;   in Loop: Header=BB24_3 Depth=1
	v_mov_b32_e32 v3, s54
	s_and_saveexec_b64 s[4:5], s[52:53]
	s_cbranch_execz .LBB24_2
; %bb.142:                              ;   in Loop: Header=BB24_3 Depth=1
	s_add_i32 s54, s54, 1
	s_cmp_eq_u32 s54, s69
	s_cselect_b64 s[20:21], -1, 0
	v_mov_b32_e32 v3, s69
	s_orn2_b64 s[20:21], s[20:21], exec
	s_branch .LBB24_2
.LBB24_143:
	s_or_b64 exec, exec, s[82:83]
	v_readlane_b32 s8, v46, 6
	v_readlane_b32 s9, v46, 7
	;; [unrolled: 1-line block ×4, first 2 shown]
.LBB24_144:
	v_readlane_b32 s0, v46, 4
	v_readlane_b32 s1, v46, 5
	s_or_b64 exec, exec, s[0:1]
	s_andn2_b64 vcc, exec, s[66:67]
	s_cbranch_vccnz .LBB24_165
; %bb.145:
	v_mov_b32_dpp v6, v3 row_shr:1 row_mask:0xf bank_mask:0xf
	v_max_i32_e32 v3, v3, v6
	v_cmp_eq_u32_e32 vcc, 7, v27
	s_nop 0
	v_mov_b32_dpp v6, v3 row_shr:2 row_mask:0xf bank_mask:0xf
	v_max_i32_e32 v3, v3, v6
	s_nop 1
	v_mov_b32_dpp v6, v3 row_shr:4 row_mask:0xf bank_mask:0xe
	s_and_saveexec_b64 s[0:1], vcc
; %bb.146:
	v_lshlrev_b32_e32 v7, 2, v26
	v_max_i32_e32 v3, v3, v6
	ds_write_b32 v7, v3 offset:1024
; %bb.147:
	s_or_b64 exec, exec, s[0:1]
	v_cmp_gt_u32_e32 vcc, 64, v0
	v_lshlrev_b32_e32 v3, 2, v0
	s_waitcnt vmcnt(0) lgkmcnt(0)
	s_barrier
	s_and_saveexec_b64 s[0:1], vcc
	s_cbranch_execz .LBB24_149
; %bb.148:
	ds_read2st64_b32 v[6:7], v3 offset0:4 offset1:5
	s_waitcnt lgkmcnt(0)
	v_max_i32_e32 v6, v6, v7
	ds_write_b32 v3, v6 offset:1024
.LBB24_149:
	s_or_b64 exec, exec, s[0:1]
	v_cmp_gt_u32_e32 vcc, 32, v0
	s_waitcnt lgkmcnt(0)
	s_barrier
	s_and_saveexec_b64 s[0:1], vcc
	s_cbranch_execz .LBB24_151
; %bb.150:
	v_add_u32_e32 v6, 0x400, v3
	ds_read2_b32 v[6:7], v6 offset1:32
	s_waitcnt lgkmcnt(0)
	v_max_i32_e32 v6, v6, v7
	ds_write_b32 v3, v6 offset:1024
.LBB24_151:
	s_or_b64 exec, exec, s[0:1]
	v_cmp_gt_u32_e32 vcc, 16, v0
	s_waitcnt lgkmcnt(0)
	s_barrier
	s_and_saveexec_b64 s[0:1], vcc
	s_cbranch_execz .LBB24_153
; %bb.152:
	v_add_u32_e32 v6, 0x400, v3
	ds_read2_b32 v[6:7], v6 offset1:16
	s_waitcnt lgkmcnt(0)
	v_max_i32_e32 v6, v6, v7
	ds_write_b32 v3, v6 offset:1024
.LBB24_153:
	;; [unrolled: 13-line block ×5, first 2 shown]
	s_or_b64 exec, exec, s[0:1]
	v_cmp_eq_u32_e32 vcc, 0, v0
	s_waitcnt lgkmcnt(0)
	s_barrier
	s_and_saveexec_b64 s[0:1], vcc
	s_cbranch_execz .LBB24_161
; %bb.160:
	v_mov_b32_e32 v3, 0
	ds_read_b64 v[6:7], v3 offset:1024
	s_waitcnt lgkmcnt(0)
	v_max_i32_e32 v6, v6, v7
	ds_write_b32 v3, v6 offset:1024
.LBB24_161:
	s_or_b64 exec, exec, s[0:1]
	s_waitcnt lgkmcnt(0)
	s_barrier
	s_and_saveexec_b64 s[0:1], vcc
	s_cbranch_execz .LBB24_164
; %bb.162:
	v_mbcnt_lo_u32_b32 v3, exec_lo, 0
	v_mbcnt_hi_u32_b32 v3, exec_hi, v3
	v_cmp_eq_u32_e32 vcc, 0, v3
	s_and_b64 exec, exec, vcc
	s_cbranch_execz .LBB24_164
; %bb.163:
	v_mov_b32_e32 v3, 0
	ds_read_b32 v6, v3 offset:1024
	v_readlane_b32 s4, v46, 0
	v_readlane_b32 s5, v46, 1
	;; [unrolled: 1-line block ×4, first 2 shown]
	s_waitcnt lgkmcnt(0)
	v_add_u32_e32 v6, 1, v6
	s_nop 0
	global_atomic_smax v3, v6, s[4:5]
.LBB24_164:
	s_or_b64 exec, exec, s[0:1]
.LBB24_165:
	v_cmp_eq_u32_e32 vcc, 0, v0
	s_and_b64 s[0:1], vcc, s[64:65]
	s_and_saveexec_b64 s[2:3], s[0:1]
	s_cbranch_execz .LBB24_172
; %bb.166:
	v_mov_b32_e32 v6, 0
	s_mov_b64 s[0:1], exec
	v_mov_b32_e32 v7, 0x7ff80000
.LBB24_167:                             ; =>This Inner Loop Header: Depth=1
	s_ff1_i32_b64 s6, s[0:1]
	v_readlane_b32 s5, v2, s6
	v_readlane_b32 s4, v1, s6
	v_max_f64 v[6:7], v[6:7], v[6:7]
	v_max_f64 v[8:9], s[4:5], s[4:5]
	s_lshl_b64 s[4:5], 1, s6
	s_andn2_b64 s[0:1], s[0:1], s[4:5]
	s_cmp_lg_u64 s[0:1], 0
	v_max_f64 v[6:7], v[6:7], v[8:9]
	s_cbranch_scc1 .LBB24_167
; %bb.168:
	v_mbcnt_lo_u32_b32 v0, exec_lo, 0
	v_mbcnt_hi_u32_b32 v0, exec_hi, v0
	v_cmp_eq_u32_e64 s[0:1], 0, v0
	s_and_saveexec_b64 s[4:5], s[0:1]
	s_xor_b64 s[4:5], exec, s[4:5]
	s_cbranch_execz .LBB24_172
; %bb.169:
	v_mov_b32_e32 v8, 0
	global_load_dwordx2 v[2:3], v8, s[8:9]
	v_max_f64 v[6:7], v[6:7], v[6:7]
	s_mov_b64 s[4:5], 0
.LBB24_170:                             ; =>This Inner Loop Header: Depth=1
	s_waitcnt vmcnt(0)
	v_max_f64 v[0:1], v[2:3], v[2:3]
	v_max_f64 v[0:1], v[0:1], v[6:7]
	global_atomic_cmpswap_x2 v[0:1], v8, v[0:3], s[8:9] glc
	s_waitcnt vmcnt(0)
	v_cmp_eq_u64_e64 s[0:1], v[0:1], v[2:3]
	v_mov_b32_e32 v3, v1
	s_or_b64 s[4:5], s[0:1], s[4:5]
	v_mov_b32_e32 v2, v0
	s_andn2_b64 exec, exec, s[4:5]
	s_cbranch_execnz .LBB24_170
; %bb.171:
	s_or_b64 exec, exec, s[4:5]
.LBB24_172:
	s_or_b64 exec, exec, s[2:3]
	s_and_b64 s[0:1], vcc, s[34:35]
	s_and_saveexec_b64 s[2:3], s[0:1]
	s_cbranch_execz .LBB24_178
; %bb.173:
	v_mov_b32_e32 v0, 0
	s_mov_b64 s[0:1], exec
	v_mov_b32_e32 v1, 0x7ff80000
.LBB24_174:                             ; =>This Inner Loop Header: Depth=1
	s_ff1_i32_b64 s4, s[0:1]
	v_readlane_b32 s3, v5, s4
	v_readlane_b32 s2, v4, s4
	v_max_f64 v[0:1], v[0:1], v[0:1]
	v_max_f64 v[2:3], s[2:3], s[2:3]
	s_lshl_b64 s[2:3], 1, s4
	s_andn2_b64 s[0:1], s[0:1], s[2:3]
	s_cmp_lg_u64 s[0:1], 0
	v_max_f64 v[0:1], v[0:1], v[2:3]
	s_cbranch_scc1 .LBB24_174
; %bb.175:
	v_mbcnt_lo_u32_b32 v2, exec_lo, 0
	v_mbcnt_hi_u32_b32 v2, exec_hi, v2
	v_cmp_eq_u32_e32 vcc, 0, v2
	s_and_saveexec_b64 s[0:1], vcc
	s_xor_b64 s[0:1], exec, s[0:1]
	s_cbranch_execz .LBB24_178
; %bb.176:
	v_mov_b32_e32 v6, 0
	global_load_dwordx2 v[2:3], v6, s[10:11]
	v_max_f64 v[4:5], v[0:1], v[0:1]
	s_mov_b64 s[0:1], 0
.LBB24_177:                             ; =>This Inner Loop Header: Depth=1
	s_waitcnt vmcnt(0)
	v_max_f64 v[0:1], v[2:3], v[2:3]
	v_max_f64 v[0:1], v[0:1], v[4:5]
	global_atomic_cmpswap_x2 v[0:1], v6, v[0:3], s[10:11] glc
	s_waitcnt vmcnt(0)
	v_cmp_eq_u64_e32 vcc, v[0:1], v[2:3]
	v_mov_b32_e32 v3, v1
	s_or_b64 s[0:1], vcc, s[0:1]
	v_mov_b32_e32 v2, v0
	s_andn2_b64 exec, exec, s[0:1]
	s_cbranch_execnz .LBB24_177
.LBB24_178:
	s_endpgm
	.section	.rodata,"a",@progbits
	.p2align	6, 0x0
	.amdhsa_kernel _ZN9rocsparseL6kernelILi1024ELi8EdiiEEvbbbT3_PS1_NS_15floating_traitsIT1_E6data_tES1_T2_PKS7_S9_PKS1_PKS4_21rocsparse_index_base_S9_S9_SB_PS4_SF_SE_S9_S9_SB_SF_SF_SE_SF_SF_PS6_SG_PKS6_
		.amdhsa_group_segment_fixed_size 1536
		.amdhsa_private_segment_fixed_size 0
		.amdhsa_kernarg_size 208
		.amdhsa_user_sgpr_count 6
		.amdhsa_user_sgpr_private_segment_buffer 1
		.amdhsa_user_sgpr_dispatch_ptr 0
		.amdhsa_user_sgpr_queue_ptr 0
		.amdhsa_user_sgpr_kernarg_segment_ptr 1
		.amdhsa_user_sgpr_dispatch_id 0
		.amdhsa_user_sgpr_flat_scratch_init 0
		.amdhsa_user_sgpr_private_segment_size 0
		.amdhsa_uses_dynamic_stack 0
		.amdhsa_system_sgpr_private_segment_wavefront_offset 0
		.amdhsa_system_sgpr_workgroup_id_x 1
		.amdhsa_system_sgpr_workgroup_id_y 0
		.amdhsa_system_sgpr_workgroup_id_z 0
		.amdhsa_system_sgpr_workgroup_info 0
		.amdhsa_system_vgpr_workitem_id 0
		.amdhsa_next_free_vgpr 47
		.amdhsa_next_free_sgpr 96
		.amdhsa_reserve_vcc 1
		.amdhsa_reserve_flat_scratch 0
		.amdhsa_float_round_mode_32 0
		.amdhsa_float_round_mode_16_64 0
		.amdhsa_float_denorm_mode_32 3
		.amdhsa_float_denorm_mode_16_64 3
		.amdhsa_dx10_clamp 1
		.amdhsa_ieee_mode 1
		.amdhsa_fp16_overflow 0
		.amdhsa_exception_fp_ieee_invalid_op 0
		.amdhsa_exception_fp_denorm_src 0
		.amdhsa_exception_fp_ieee_div_zero 0
		.amdhsa_exception_fp_ieee_overflow 0
		.amdhsa_exception_fp_ieee_underflow 0
		.amdhsa_exception_fp_ieee_inexact 0
		.amdhsa_exception_int_div_zero 0
	.end_amdhsa_kernel
	.section	.text._ZN9rocsparseL6kernelILi1024ELi8EdiiEEvbbbT3_PS1_NS_15floating_traitsIT1_E6data_tES1_T2_PKS7_S9_PKS1_PKS4_21rocsparse_index_base_S9_S9_SB_PS4_SF_SE_S9_S9_SB_SF_SF_SE_SF_SF_PS6_SG_PKS6_,"axG",@progbits,_ZN9rocsparseL6kernelILi1024ELi8EdiiEEvbbbT3_PS1_NS_15floating_traitsIT1_E6data_tES1_T2_PKS7_S9_PKS1_PKS4_21rocsparse_index_base_S9_S9_SB_PS4_SF_SE_S9_S9_SB_SF_SF_SE_SF_SF_PS6_SG_PKS6_,comdat
.Lfunc_end24:
	.size	_ZN9rocsparseL6kernelILi1024ELi8EdiiEEvbbbT3_PS1_NS_15floating_traitsIT1_E6data_tES1_T2_PKS7_S9_PKS1_PKS4_21rocsparse_index_base_S9_S9_SB_PS4_SF_SE_S9_S9_SB_SF_SF_SE_SF_SF_PS6_SG_PKS6_, .Lfunc_end24-_ZN9rocsparseL6kernelILi1024ELi8EdiiEEvbbbT3_PS1_NS_15floating_traitsIT1_E6data_tES1_T2_PKS7_S9_PKS1_PKS4_21rocsparse_index_base_S9_S9_SB_PS4_SF_SE_S9_S9_SB_SF_SF_SE_SF_SF_PS6_SG_PKS6_
                                        ; -- End function
	.set _ZN9rocsparseL6kernelILi1024ELi8EdiiEEvbbbT3_PS1_NS_15floating_traitsIT1_E6data_tES1_T2_PKS7_S9_PKS1_PKS4_21rocsparse_index_base_S9_S9_SB_PS4_SF_SE_S9_S9_SB_SF_SF_SE_SF_SF_PS6_SG_PKS6_.num_vgpr, 47
	.set _ZN9rocsparseL6kernelILi1024ELi8EdiiEEvbbbT3_PS1_NS_15floating_traitsIT1_E6data_tES1_T2_PKS7_S9_PKS1_PKS4_21rocsparse_index_base_S9_S9_SB_PS4_SF_SE_S9_S9_SB_SF_SF_SE_SF_SF_PS6_SG_PKS6_.num_agpr, 0
	.set _ZN9rocsparseL6kernelILi1024ELi8EdiiEEvbbbT3_PS1_NS_15floating_traitsIT1_E6data_tES1_T2_PKS7_S9_PKS1_PKS4_21rocsparse_index_base_S9_S9_SB_PS4_SF_SE_S9_S9_SB_SF_SF_SE_SF_SF_PS6_SG_PKS6_.numbered_sgpr, 96
	.set _ZN9rocsparseL6kernelILi1024ELi8EdiiEEvbbbT3_PS1_NS_15floating_traitsIT1_E6data_tES1_T2_PKS7_S9_PKS1_PKS4_21rocsparse_index_base_S9_S9_SB_PS4_SF_SE_S9_S9_SB_SF_SF_SE_SF_SF_PS6_SG_PKS6_.num_named_barrier, 0
	.set _ZN9rocsparseL6kernelILi1024ELi8EdiiEEvbbbT3_PS1_NS_15floating_traitsIT1_E6data_tES1_T2_PKS7_S9_PKS1_PKS4_21rocsparse_index_base_S9_S9_SB_PS4_SF_SE_S9_S9_SB_SF_SF_SE_SF_SF_PS6_SG_PKS6_.private_seg_size, 0
	.set _ZN9rocsparseL6kernelILi1024ELi8EdiiEEvbbbT3_PS1_NS_15floating_traitsIT1_E6data_tES1_T2_PKS7_S9_PKS1_PKS4_21rocsparse_index_base_S9_S9_SB_PS4_SF_SE_S9_S9_SB_SF_SF_SE_SF_SF_PS6_SG_PKS6_.uses_vcc, 1
	.set _ZN9rocsparseL6kernelILi1024ELi8EdiiEEvbbbT3_PS1_NS_15floating_traitsIT1_E6data_tES1_T2_PKS7_S9_PKS1_PKS4_21rocsparse_index_base_S9_S9_SB_PS4_SF_SE_S9_S9_SB_SF_SF_SE_SF_SF_PS6_SG_PKS6_.uses_flat_scratch, 0
	.set _ZN9rocsparseL6kernelILi1024ELi8EdiiEEvbbbT3_PS1_NS_15floating_traitsIT1_E6data_tES1_T2_PKS7_S9_PKS1_PKS4_21rocsparse_index_base_S9_S9_SB_PS4_SF_SE_S9_S9_SB_SF_SF_SE_SF_SF_PS6_SG_PKS6_.has_dyn_sized_stack, 0
	.set _ZN9rocsparseL6kernelILi1024ELi8EdiiEEvbbbT3_PS1_NS_15floating_traitsIT1_E6data_tES1_T2_PKS7_S9_PKS1_PKS4_21rocsparse_index_base_S9_S9_SB_PS4_SF_SE_S9_S9_SB_SF_SF_SE_SF_SF_PS6_SG_PKS6_.has_recursion, 0
	.set _ZN9rocsparseL6kernelILi1024ELi8EdiiEEvbbbT3_PS1_NS_15floating_traitsIT1_E6data_tES1_T2_PKS7_S9_PKS1_PKS4_21rocsparse_index_base_S9_S9_SB_PS4_SF_SE_S9_S9_SB_SF_SF_SE_SF_SF_PS6_SG_PKS6_.has_indirect_call, 0
	.section	.AMDGPU.csdata,"",@progbits
; Kernel info:
; codeLenInByte = 5980
; TotalNumSgprs: 100
; NumVgprs: 47
; ScratchSize: 0
; MemoryBound: 1
; FloatMode: 240
; IeeeMode: 1
; LDSByteSize: 1536 bytes/workgroup (compile time only)
; SGPRBlocks: 12
; VGPRBlocks: 11
; NumSGPRsForWavesPerEU: 100
; NumVGPRsForWavesPerEU: 47
; Occupancy: 5
; WaveLimiterHint : 1
; COMPUTE_PGM_RSRC2:SCRATCH_EN: 0
; COMPUTE_PGM_RSRC2:USER_SGPR: 6
; COMPUTE_PGM_RSRC2:TRAP_HANDLER: 0
; COMPUTE_PGM_RSRC2:TGID_X_EN: 1
; COMPUTE_PGM_RSRC2:TGID_Y_EN: 0
; COMPUTE_PGM_RSRC2:TGID_Z_EN: 0
; COMPUTE_PGM_RSRC2:TIDIG_COMP_CNT: 0
	.section	.text._ZN9rocsparseL6kernelILi1024ELi16EdiiEEvbbbT3_PS1_NS_15floating_traitsIT1_E6data_tES1_T2_PKS7_S9_PKS1_PKS4_21rocsparse_index_base_S9_S9_SB_PS4_SF_SE_S9_S9_SB_SF_SF_SE_SF_SF_PS6_SG_PKS6_,"axG",@progbits,_ZN9rocsparseL6kernelILi1024ELi16EdiiEEvbbbT3_PS1_NS_15floating_traitsIT1_E6data_tES1_T2_PKS7_S9_PKS1_PKS4_21rocsparse_index_base_S9_S9_SB_PS4_SF_SE_S9_S9_SB_SF_SF_SE_SF_SF_PS6_SG_PKS6_,comdat
	.globl	_ZN9rocsparseL6kernelILi1024ELi16EdiiEEvbbbT3_PS1_NS_15floating_traitsIT1_E6data_tES1_T2_PKS7_S9_PKS1_PKS4_21rocsparse_index_base_S9_S9_SB_PS4_SF_SE_S9_S9_SB_SF_SF_SE_SF_SF_PS6_SG_PKS6_ ; -- Begin function _ZN9rocsparseL6kernelILi1024ELi16EdiiEEvbbbT3_PS1_NS_15floating_traitsIT1_E6data_tES1_T2_PKS7_S9_PKS1_PKS4_21rocsparse_index_base_S9_S9_SB_PS4_SF_SE_S9_S9_SB_SF_SF_SE_SF_SF_PS6_SG_PKS6_
	.p2align	8
	.type	_ZN9rocsparseL6kernelILi1024ELi16EdiiEEvbbbT3_PS1_NS_15floating_traitsIT1_E6data_tES1_T2_PKS7_S9_PKS1_PKS4_21rocsparse_index_base_S9_S9_SB_PS4_SF_SE_S9_S9_SB_SF_SF_SE_SF_SF_PS6_SG_PKS6_,@function
_ZN9rocsparseL6kernelILi1024ELi16EdiiEEvbbbT3_PS1_NS_15floating_traitsIT1_E6data_tES1_T2_PKS7_S9_PKS1_PKS4_21rocsparse_index_base_S9_S9_SB_PS4_SF_SE_S9_S9_SB_SF_SF_SE_SF_SF_PS6_SG_PKS6_: ; @_ZN9rocsparseL6kernelILi1024ELi16EdiiEEvbbbT3_PS1_NS_15floating_traitsIT1_E6data_tES1_T2_PKS7_S9_PKS1_PKS4_21rocsparse_index_base_S9_S9_SB_PS4_SF_SE_S9_S9_SB_SF_SF_SE_SF_SF_PS6_SG_PKS6_
; %bb.0:
	s_load_dword s0, s[4:5], 0x0
	s_load_dwordx2 s[66:67], s[4:5], 0x0
	s_load_dwordx4 s[8:11], s[4:5], 0xb8
	s_load_dwordx4 s[12:15], s[4:5], 0x8
	s_load_dword s33, s[4:5], 0x18
	s_waitcnt lgkmcnt(0)
	s_bitcmp1_b32 s0, 0
	s_cselect_b64 s[64:65], -1, 0
	s_bitcmp1_b32 s0, 8
                                        ; implicit-def: $vgpr46 : SGPR spill to VGPR lane
	s_cselect_b64 s[34:35], -1, 0
	s_bitcmp1_b32 s66, 16
	v_mov_b32_e32 v3, 0
	v_writelane_b32 v46, s12, 0
	s_cselect_b64 s[22:23], -1, 0
	v_lshrrev_b32_e32 v26, 4, v0
	s_lshl_b32 s55, s6, 10
	v_lshlrev_b32_e32 v29, 3, v0
	v_mov_b32_e32 v4, v3
	v_writelane_b32 v46, s13, 1
	v_or_b32_e32 v28, s55, v26
	ds_write_b64 v29, v[3:4]
	s_cmp_gt_i32 s67, 0
	v_mov_b32_e32 v4, 0
	v_mov_b32_e32 v1, 0
	v_writelane_b32 v46, s14, 2
	v_and_b32_e32 v27, 15, v0
	s_mov_b32 s66, 0
	v_cmp_gt_i32_e32 vcc, s33, v28
	s_cselect_b64 s[0:1], -1, 0
	v_mov_b32_e32 v5, 0
	v_mov_b32_e32 v2, 0
	v_writelane_b32 v46, s15, 3
	s_waitcnt lgkmcnt(0)
	s_barrier
	s_and_b64 s[0:1], s[0:1], vcc
	s_mov_b64 s[2:3], exec
	v_writelane_b32 v46, s2, 4
	s_and_b64 s[0:1], s[2:3], s[0:1]
	v_writelane_b32 v46, s3, 5
	s_mov_b64 exec, s[0:1]
	s_cbranch_execz .LBB25_140
; %bb.1:
	s_load_dwordx2 s[0:1], s[4:5], 0xc8
	v_writelane_b32 v46, s8, 6
	v_writelane_b32 v46, s9, 7
	;; [unrolled: 1-line block ×4, first 2 shown]
	s_load_dwordx4 s[60:63], s[4:5], 0xa8
	s_load_dwordx8 s[24:31], s[4:5], 0x78
	s_load_dwordx8 s[36:43], s[4:5], 0x48
	s_load_dword s52, s[4:5], 0x40
	s_load_dwordx2 s[74:75], s[4:5], 0x68
	s_load_dword s53, s[4:5], 0x70
	s_load_dwordx2 s[76:77], s[4:5], 0x98
	s_load_dword s54, s[4:5], 0xa0
	s_waitcnt lgkmcnt(0)
	v_writelane_b32 v46, s0, 10
	s_load_dwordx8 s[44:51], s[4:5], 0x20
	v_writelane_b32 v46, s1, 11
	s_xor_b64 s[0:1], s[34:35], -1
	v_writelane_b32 v46, s0, 12
	s_and_b64 s[18:19], s[34:35], s[22:23]
	v_writelane_b32 v46, s1, 13
	s_addk_i32 s55, 0x400
	s_xor_b64 s[18:19], s[18:19], -1
	v_mov_b32_e32 v1, 0
	v_mov_b32_e32 v4, 0
	v_subrev_u32_e32 v30, s52, v27
	v_cmp_gt_u32_e64 s[0:1], s55, v28
	v_cmp_eq_u32_e64 s[2:3], 15, v27
	v_lshlrev_b32_e32 v31, 3, v26
	v_cmp_gt_u32_e64 s[20:21], 32, v0
	v_cmp_gt_u32_e64 s[6:7], 16, v0
	;; [unrolled: 1-line block ×5, first 2 shown]
	v_cmp_eq_u32_e64 s[14:15], 0, v0
	v_subrev_u32_e32 v32, s53, v27
	v_subrev_u32_e32 v33, s54, v27
	v_cmp_eq_u32_e64 s[16:17], 0, v27
	v_writelane_b32 v46, s18, 14
	v_mov_b32_e32 v2, 0
	s_mov_b64 s[80:81], 0
	v_mov_b32_e32 v7, 0
	v_mov_b32_e32 v5, 0
	s_movk_i32 s70, 0x1f8
	v_writelane_b32 v46, s19, 15
	s_branch .LBB25_3
.LBB25_2:                               ;   in Loop: Header=BB25_3 Depth=1
	s_or_b64 exec, exec, s[4:5]
	s_and_b64 s[4:5], exec, s[18:19]
	s_or_b64 s[80:81], s[4:5], s[80:81]
	s_andn2_b64 exec, exec, s[80:81]
	s_cbranch_execz .LBB25_139
.LBB25_3:                               ; =>This Loop Header: Depth=1
                                        ;     Child Loop BB25_7 Depth 2
                                        ;       Child Loop BB25_12 Depth 3
                                        ;         Child Loop BB25_16 Depth 4
                                        ;         Child Loop BB25_37 Depth 4
	;; [unrolled: 1-line block ×5, first 2 shown]
                                        ;     Child Loop BB25_118 Depth 2
                                        ;       Child Loop BB25_121 Depth 3
                                        ;       Child Loop BB25_124 Depth 3
	s_mov_b32 s71, 0
	v_cndmask_b32_e64 v2, v2, 0, s[34:35]
	v_cndmask_b32_e64 v1, v1, 0, s[34:35]
	;; [unrolled: 1-line block ×4, first 2 shown]
	s_branch .LBB25_7
.LBB25_4:                               ;   in Loop: Header=BB25_7 Depth=2
	s_or_b64 exec, exec, s[86:87]
.LBB25_5:                               ;   in Loop: Header=BB25_7 Depth=2
	s_or_b64 exec, exec, s[84:85]
.LBB25_6:                               ;   in Loop: Header=BB25_7 Depth=2
	s_or_b64 exec, exec, s[82:83]
	s_add_i32 s71, s71, 1
	s_cmp_eq_u32 s71, 16
	s_cbranch_scc1 .LBB25_83
.LBB25_7:                               ;   Parent Loop BB25_3 Depth=1
                                        ; =>  This Loop Header: Depth=2
                                        ;       Child Loop BB25_12 Depth 3
                                        ;         Child Loop BB25_16 Depth 4
                                        ;         Child Loop BB25_37 Depth 4
	;; [unrolled: 1-line block ×5, first 2 shown]
	v_lshl_add_u32 v8, s71, 6, v28
	v_cmp_gt_i32_e32 vcc, s33, v8
	s_and_saveexec_b64 s[82:83], vcc
	s_cbranch_execz .LBB25_6
; %bb.8:                                ;   in Loop: Header=BB25_7 Depth=2
	v_ashrrev_i32_e32 v9, 31, v8
	v_lshlrev_b64 v[10:11], 2, v[8:9]
	s_waitcnt lgkmcnt(0)
	v_mov_b32_e32 v3, s45
	v_add_co_u32_e32 v12, vcc, s44, v10
	v_addc_co_u32_e32 v13, vcc, v3, v11, vcc
	global_load_dword v3, v[12:13], off
	v_mov_b32_e32 v6, s47
	v_add_co_u32_e32 v12, vcc, s46, v10
	v_addc_co_u32_e32 v13, vcc, v6, v11, vcc
	global_load_dword v6, v[12:13], off
	s_waitcnt vmcnt(1)
	v_add_u32_e32 v9, v30, v3
	s_waitcnt vmcnt(0)
	v_subrev_u32_e32 v3, s52, v6
	v_cmp_lt_i32_e32 vcc, v9, v3
	s_and_saveexec_b64 s[84:85], vcc
	s_cbranch_execz .LBB25_5
; %bb.9:                                ;   in Loop: Header=BB25_7 Depth=2
	v_mov_b32_e32 v6, s39
	v_add_co_u32_e32 v12, vcc, s38, v10
	v_addc_co_u32_e32 v13, vcc, v6, v11, vcc
	v_mov_b32_e32 v6, s37
	v_add_co_u32_e32 v10, vcc, s36, v10
	v_addc_co_u32_e32 v11, vcc, v6, v11, vcc
	global_load_dword v6, v[10:11], off
	s_nop 0
	global_load_dword v10, v[12:13], off
	v_mov_b32_e32 v17, s41
	v_mov_b32_e32 v18, s43
	s_mov_b64 s[86:87], 0
	s_waitcnt vmcnt(1)
	v_subrev_u32_e32 v11, s53, v6
	v_ashrrev_i32_e32 v12, 31, v11
	v_lshlrev_b64 v[13:14], 2, v[11:12]
	v_lshlrev_b64 v[15:16], 3, v[11:12]
	v_add_co_u32_e32 v35, vcc, s40, v13
	v_addc_co_u32_e32 v36, vcc, v17, v14, vcc
	s_waitcnt vmcnt(0)
	v_sub_u32_e32 v34, v10, v6
	v_add_co_u32_e32 v37, vcc, s42, v15
	v_cmp_lt_i32_e64 s[18:19], 0, v34
	v_addc_co_u32_e32 v38, vcc, v18, v16, vcc
	s_branch .LBB25_12
.LBB25_10:                              ;   in Loop: Header=BB25_12 Depth=3
	s_or_b64 exec, exec, s[56:57]
.LBB25_11:                              ;   in Loop: Header=BB25_12 Depth=3
	s_or_b64 exec, exec, s[4:5]
	v_add_u32_e32 v9, 16, v9
	v_cmp_ge_i32_e32 vcc, v9, v3
	s_or_b64 s[86:87], vcc, s[86:87]
	s_andn2_b64 exec, exec, s[86:87]
	s_cbranch_execz .LBB25_4
.LBB25_12:                              ;   Parent Loop BB25_3 Depth=1
                                        ;     Parent Loop BB25_7 Depth=2
                                        ; =>    This Loop Header: Depth=3
                                        ;         Child Loop BB25_16 Depth 4
                                        ;         Child Loop BB25_37 Depth 4
	;; [unrolled: 1-line block ×5, first 2 shown]
	v_ashrrev_i32_e32 v10, 31, v9
	v_lshlrev_b64 v[12:13], 2, v[9:10]
	v_mov_b32_e32 v6, s49
	v_add_co_u32_e32 v12, vcc, s48, v12
	v_addc_co_u32_e32 v13, vcc, v6, v13, vcc
	global_load_dword v6, v[12:13], off
	v_mov_b32_e32 v17, s25
	v_mov_b32_e32 v18, s27
	;; [unrolled: 1-line block ×3, first 2 shown]
	s_waitcnt vmcnt(0)
	v_subrev_u32_e32 v12, s52, v6
	v_ashrrev_i32_e32 v13, 31, v12
	v_lshlrev_b64 v[14:15], 2, v[12:13]
	v_add_co_u32_e32 v16, vcc, s24, v14
	v_addc_co_u32_e32 v17, vcc, v17, v15, vcc
	v_add_co_u32_e32 v14, vcc, s26, v14
	v_addc_co_u32_e32 v15, vcc, v18, v15, vcc
	global_load_dword v6, v[16:17], off
	s_nop 0
	global_load_dword v16, v[14:15], off
	v_mov_b32_e32 v14, 0
	v_mov_b32_e32 v15, 0
	s_waitcnt vmcnt(1)
	v_subrev_u32_e32 v18, s54, v6
	s_waitcnt vmcnt(0)
	v_sub_u32_e32 v39, v16, v6
	v_mov_b32_e32 v6, v19
	s_and_saveexec_b64 s[4:5], s[18:19]
	s_cbranch_execz .LBB25_20
; %bb.13:                               ;   in Loop: Header=BB25_12 Depth=3
	v_ashrrev_i32_e32 v19, 31, v18
	v_lshlrev_b64 v[14:15], 2, v[18:19]
	v_mov_b32_e32 v6, s29
	v_add_co_u32_e32 v16, vcc, s28, v14
	v_addc_co_u32_e32 v17, vcc, v6, v15, vcc
	v_lshlrev_b64 v[14:15], 3, v[18:19]
	v_mov_b32_e32 v6, s31
	v_add_co_u32_e32 v21, vcc, s30, v14
	v_addc_co_u32_e32 v22, vcc, v6, v15, vcc
	v_mov_b32_e32 v14, 0
	v_mov_b32_e32 v6, 0
	;; [unrolled: 1-line block ×3, first 2 shown]
	s_mov_b64 s[88:89], 0
	v_mov_b32_e32 v19, v6
                                        ; implicit-def: $sgpr90_sgpr91
	s_branch .LBB25_16
.LBB25_14:                              ;   in Loop: Header=BB25_16 Depth=4
	s_or_b64 exec, exec, s[56:57]
	v_cmp_le_i32_e32 vcc, v23, v24
	v_addc_co_u32_e32 v6, vcc, 0, v6, vcc
	v_cmp_ge_i32_e32 vcc, v23, v24
	v_addc_co_u32_e32 v19, vcc, 0, v19, vcc
	v_cmp_ge_i32_e32 vcc, v6, v34
	s_andn2_b64 s[56:57], s[90:91], exec
	s_and_b64 s[58:59], vcc, exec
	s_or_b64 s[90:91], s[56:57], s[58:59]
.LBB25_15:                              ;   in Loop: Header=BB25_16 Depth=4
	s_or_b64 exec, exec, s[68:69]
	s_and_b64 s[56:57], exec, s[90:91]
	s_or_b64 s[88:89], s[56:57], s[88:89]
	s_andn2_b64 exec, exec, s[88:89]
	s_cbranch_execz .LBB25_19
.LBB25_16:                              ;   Parent Loop BB25_3 Depth=1
                                        ;     Parent Loop BB25_7 Depth=2
                                        ;       Parent Loop BB25_12 Depth=3
                                        ; =>      This Inner Loop Header: Depth=4
	v_cmp_lt_i32_e32 vcc, v19, v39
	s_or_b64 s[90:91], s[90:91], exec
	s_and_saveexec_b64 s[68:69], vcc
	s_cbranch_execz .LBB25_15
; %bb.17:                               ;   in Loop: Header=BB25_16 Depth=4
	v_lshlrev_b64 v[23:24], 2, v[6:7]
	v_mov_b32_e32 v20, v7
	v_add_co_u32_e32 v23, vcc, v35, v23
	v_addc_co_u32_e32 v24, vcc, v36, v24, vcc
	global_load_dword v25, v[23:24], off
	v_lshlrev_b64 v[23:24], 2, v[19:20]
	v_add_co_u32_e32 v23, vcc, v16, v23
	v_addc_co_u32_e32 v24, vcc, v17, v24, vcc
	global_load_dword v24, v[23:24], off
	s_waitcnt vmcnt(1)
	v_subrev_u32_e32 v23, s53, v25
	s_waitcnt vmcnt(0)
	v_subrev_u32_e32 v24, s54, v24
	v_cmp_eq_u32_e32 vcc, v23, v24
	s_and_saveexec_b64 s[56:57], vcc
	s_cbranch_execz .LBB25_14
; %bb.18:                               ;   in Loop: Header=BB25_16 Depth=4
	v_lshlrev_b64 v[40:41], 3, v[6:7]
	v_lshlrev_b64 v[42:43], 3, v[19:20]
	v_add_co_u32_e32 v40, vcc, v37, v40
	v_addc_co_u32_e32 v41, vcc, v38, v41, vcc
	v_add_co_u32_e32 v42, vcc, v21, v42
	v_addc_co_u32_e32 v43, vcc, v22, v43, vcc
	global_load_dwordx2 v[40:41], v[40:41], off
	s_nop 0
	global_load_dwordx2 v[42:43], v[42:43], off
	s_waitcnt vmcnt(0)
	v_fma_f64 v[14:15], v[40:41], v[42:43], v[14:15]
	s_branch .LBB25_14
.LBB25_19:                              ;   in Loop: Header=BB25_12 Depth=3
	s_or_b64 exec, exec, s[88:89]
.LBB25_20:                              ;   in Loop: Header=BB25_12 Depth=3
	s_or_b64 exec, exec, s[4:5]
	v_lshlrev_b64 v[16:17], 3, v[9:10]
	v_mov_b32_e32 v10, s51
	v_add_co_u32_e32 v16, vcc, s50, v16
	v_addc_co_u32_e32 v17, vcc, v10, v17, vcc
	global_load_dwordx2 v[16:17], v[16:17], off
	v_cmp_le_i32_e64 s[4:5], v8, v12
	v_cmp_gt_i32_e32 vcc, v8, v12
	s_waitcnt vmcnt(0)
	v_add_f64 v[20:21], v[16:17], -v[14:15]
	s_and_saveexec_b64 s[56:57], vcc
	s_cbranch_execnz .LBB25_23
; %bb.21:                               ;   in Loop: Header=BB25_12 Depth=3
	s_or_b64 exec, exec, s[56:57]
	v_cmp_class_f64_e64 s[88:89], v[20:21], s70
	s_and_saveexec_b64 s[90:91], s[88:89]
	s_cbranch_execnz .LBB25_26
.LBB25_22:                              ;   in Loop: Header=BB25_12 Depth=3
	s_or_b64 exec, exec, s[90:91]
	s_and_b64 s[56:57], s[22:23], s[88:89]
	s_and_saveexec_b64 s[4:5], s[56:57]
	s_cbranch_execz .LBB25_11
	s_branch .LBB25_61
.LBB25_23:                              ;   in Loop: Header=BB25_12 Depth=3
	v_lshlrev_b64 v[22:23], 3, v[12:13]
	v_mov_b32_e32 v10, s61
	v_add_co_u32_e32 v22, vcc, s60, v22
	v_addc_co_u32_e32 v23, vcc, v10, v23, vcc
	global_load_dwordx2 v[22:23], v[22:23], off
	v_mov_b32_e32 v24, 0
	v_mov_b32_e32 v25, 0
	s_waitcnt vmcnt(0)
	v_cmp_lg_f64_e32 vcc, 0, v[22:23]
	s_and_saveexec_b64 s[58:59], vcc
	s_cbranch_execz .LBB25_25
; %bb.24:                               ;   in Loop: Header=BB25_12 Depth=3
	v_div_scale_f64 v[24:25], s[68:69], v[22:23], v[22:23], v[20:21]
	v_div_scale_f64 v[44:45], vcc, v[20:21], v[22:23], v[20:21]
	v_rcp_f64_e32 v[40:41], v[24:25]
	v_fma_f64 v[42:43], -v[24:25], v[40:41], 1.0
	v_fma_f64 v[40:41], v[40:41], v[42:43], v[40:41]
	v_fma_f64 v[42:43], -v[24:25], v[40:41], 1.0
	v_fma_f64 v[40:41], v[40:41], v[42:43], v[40:41]
	v_mul_f64 v[42:43], v[44:45], v[40:41]
	v_fma_f64 v[24:25], -v[24:25], v[42:43], v[44:45]
	v_div_fmas_f64 v[24:25], v[24:25], v[40:41], v[42:43]
	v_div_fixup_f64 v[24:25], v[24:25], v[22:23], v[20:21]
.LBB25_25:                              ;   in Loop: Header=BB25_12 Depth=3
	s_or_b64 exec, exec, s[58:59]
	v_mov_b32_e32 v20, v24
	v_mov_b32_e32 v21, v25
	s_or_b64 exec, exec, s[56:57]
	v_cmp_class_f64_e64 s[88:89], v[20:21], s70
	s_and_saveexec_b64 s[90:91], s[88:89]
	s_cbranch_execz .LBB25_22
.LBB25_26:                              ;   in Loop: Header=BB25_12 Depth=3
	s_and_saveexec_b64 s[56:57], s[4:5]
	s_xor_b64 s[4:5], exec, s[56:57]
	s_cbranch_execz .LBB25_47
; %bb.27:                               ;   in Loop: Header=BB25_12 Depth=3
	v_cmp_ge_i32_e32 vcc, v8, v12
	s_and_saveexec_b64 s[56:57], vcc
	s_xor_b64 s[56:57], exec, s[56:57]
	s_cbranch_execz .LBB25_33
; %bb.28:                               ;   in Loop: Header=BB25_12 Depth=3
	v_lshlrev_b64 v[22:23], 3, v[12:13]
	v_mov_b32_e32 v10, s63
	v_add_co_u32_e32 v24, vcc, s62, v22
	v_addc_co_u32_e32 v25, vcc, v10, v23, vcc
	s_andn2_b64 vcc, exec, s[34:35]
	global_store_dwordx2 v[24:25], v[20:21], off
	s_cbranch_vccnz .LBB25_32
; %bb.29:                               ;   in Loop: Header=BB25_12 Depth=3
	v_mov_b32_e32 v10, s61
	v_add_co_u32_e32 v22, vcc, s60, v22
	v_addc_co_u32_e32 v23, vcc, v10, v23, vcc
	global_load_dwordx2 v[22:23], v[22:23], off
	s_waitcnt vmcnt(0)
	v_add_f64 v[20:21], v[22:23], -v[20:21]
	v_cmp_class_f64_e64 s[68:69], v[20:21], s70
	s_and_saveexec_b64 s[58:59], s[68:69]
	s_cbranch_execz .LBB25_31
; %bb.30:                               ;   in Loop: Header=BB25_12 Depth=3
	v_cmp_lt_f64_e64 vcc, v[1:2], |v[20:21]|
	v_and_b32_e32 v10, 0x7fffffff, v21
	v_cndmask_b32_e32 v2, v2, v10, vcc
	v_cndmask_b32_e32 v1, v1, v20, vcc
.LBB25_31:                              ;   in Loop: Header=BB25_12 Depth=3
	s_or_b64 exec, exec, s[58:59]
.LBB25_32:                              ;   in Loop: Header=BB25_12 Depth=3
                                        ; implicit-def: $vgpr20_vgpr21
.LBB25_33:                              ;   in Loop: Header=BB25_12 Depth=3
	s_andn2_saveexec_b64 s[92:93], s[56:57]
	s_cbranch_execz .LBB25_46
; %bb.34:                               ;   in Loop: Header=BB25_12 Depth=3
	v_cmp_lt_i32_e32 vcc, v19, v39
	s_and_saveexec_b64 s[94:95], vcc
	s_cbranch_execz .LBB25_45
; %bb.35:                               ;   in Loop: Header=BB25_12 Depth=3
	s_mov_b64 s[68:69], 0
	v_mov_b32_e32 v10, v19
                                        ; implicit-def: $sgpr72_sgpr73
                                        ; implicit-def: $sgpr56_sgpr57
                                        ; implicit-def: $sgpr78_sgpr79
	s_branch .LBB25_37
.LBB25_36:                              ;   in Loop: Header=BB25_37 Depth=4
	s_or_b64 exec, exec, s[58:59]
	s_and_b64 s[58:59], exec, s[56:57]
	s_or_b64 s[68:69], s[58:59], s[68:69]
	s_andn2_b64 s[58:59], s[72:73], exec
	s_and_b64 s[72:73], s[78:79], exec
	s_or_b64 s[72:73], s[58:59], s[72:73]
	s_andn2_b64 exec, exec, s[68:69]
	s_cbranch_execz .LBB25_39
.LBB25_37:                              ;   Parent Loop BB25_3 Depth=1
                                        ;     Parent Loop BB25_7 Depth=2
                                        ;       Parent Loop BB25_12 Depth=3
                                        ; =>      This Inner Loop Header: Depth=4
	v_add_u32_e32 v22, v18, v10
	v_ashrrev_i32_e32 v23, 31, v22
	v_lshlrev_b64 v[24:25], 2, v[22:23]
	v_mov_b32_e32 v40, s29
	v_add_co_u32_e32 v24, vcc, s28, v24
	v_addc_co_u32_e32 v25, vcc, v40, v25, vcc
	global_load_dword v24, v[24:25], off
	s_or_b64 s[78:79], s[78:79], exec
	s_or_b64 s[56:57], s[56:57], exec
	s_waitcnt vmcnt(0)
	v_subrev_u32_e32 v24, s54, v24
	v_cmp_ne_u32_e32 vcc, v24, v8
	s_and_saveexec_b64 s[58:59], vcc
	s_cbranch_execz .LBB25_36
; %bb.38:                               ;   in Loop: Header=BB25_37 Depth=4
	v_add_u32_e32 v10, 1, v10
	v_cmp_ge_i32_e32 vcc, v10, v39
	s_andn2_b64 s[56:57], s[56:57], exec
	s_and_b64 vcc, vcc, exec
	s_andn2_b64 s[78:79], s[78:79], exec
	s_or_b64 s[56:57], s[56:57], vcc
	s_branch .LBB25_36
.LBB25_39:                              ;   in Loop: Header=BB25_12 Depth=3
	s_or_b64 exec, exec, s[68:69]
	s_and_saveexec_b64 s[56:57], s[72:73]
	s_xor_b64 s[56:57], exec, s[56:57]
	s_cbranch_execz .LBB25_44
; %bb.40:                               ;   in Loop: Header=BB25_12 Depth=3
	v_lshlrev_b64 v[22:23], 3, v[22:23]
	v_mov_b32_e32 v10, s77
	v_add_co_u32_e32 v24, vcc, s76, v22
	v_addc_co_u32_e32 v25, vcc, v10, v23, vcc
	s_andn2_b64 vcc, exec, s[34:35]
	global_store_dwordx2 v[24:25], v[20:21], off
	s_cbranch_vccnz .LBB25_44
; %bb.41:                               ;   in Loop: Header=BB25_12 Depth=3
	v_mov_b32_e32 v10, s31
	v_add_co_u32_e32 v22, vcc, s30, v22
	v_addc_co_u32_e32 v23, vcc, v10, v23, vcc
	global_load_dwordx2 v[22:23], v[22:23], off
	s_waitcnt vmcnt(0)
	v_add_f64 v[20:21], v[22:23], -v[20:21]
	v_cmp_class_f64_e64 s[68:69], v[20:21], s70
	s_and_saveexec_b64 s[58:59], s[68:69]
	s_cbranch_execz .LBB25_43
; %bb.42:                               ;   in Loop: Header=BB25_12 Depth=3
	v_cmp_lt_f64_e64 vcc, v[1:2], |v[20:21]|
	v_and_b32_e32 v10, 0x7fffffff, v21
	v_cndmask_b32_e32 v2, v2, v10, vcc
	v_cndmask_b32_e32 v1, v1, v20, vcc
.LBB25_43:                              ;   in Loop: Header=BB25_12 Depth=3
	s_or_b64 exec, exec, s[58:59]
.LBB25_44:                              ;   in Loop: Header=BB25_12 Depth=3
	s_or_b64 exec, exec, s[56:57]
.LBB25_45:                              ;   in Loop: Header=BB25_12 Depth=3
	s_or_b64 exec, exec, s[94:95]
.LBB25_46:                              ;   in Loop: Header=BB25_12 Depth=3
	s_or_b64 exec, exec, s[92:93]
                                        ; implicit-def: $vgpr20_vgpr21
.LBB25_47:                              ;   in Loop: Header=BB25_12 Depth=3
	s_andn2_saveexec_b64 s[4:5], s[4:5]
	s_cbranch_execz .LBB25_60
; %bb.48:                               ;   in Loop: Header=BB25_12 Depth=3
	v_cmp_lt_i32_e32 vcc, v6, v34
	s_and_saveexec_b64 s[92:93], vcc
	s_cbranch_execz .LBB25_59
; %bb.49:                               ;   in Loop: Header=BB25_12 Depth=3
	s_mov_b64 s[94:95], 0
	v_mov_b32_e32 v10, v6
                                        ; implicit-def: $sgpr68_sgpr69
                                        ; implicit-def: $sgpr56_sgpr57
                                        ; implicit-def: $sgpr72_sgpr73
	s_branch .LBB25_51
.LBB25_50:                              ;   in Loop: Header=BB25_51 Depth=4
	s_or_b64 exec, exec, s[58:59]
	s_and_b64 s[58:59], exec, s[56:57]
	s_or_b64 s[94:95], s[58:59], s[94:95]
	s_andn2_b64 s[58:59], s[68:69], exec
	s_and_b64 s[68:69], s[72:73], exec
	s_or_b64 s[68:69], s[58:59], s[68:69]
	s_andn2_b64 exec, exec, s[94:95]
	s_cbranch_execz .LBB25_53
.LBB25_51:                              ;   Parent Loop BB25_3 Depth=1
                                        ;     Parent Loop BB25_7 Depth=2
                                        ;       Parent Loop BB25_12 Depth=3
                                        ; =>      This Inner Loop Header: Depth=4
	v_add_u32_e32 v22, v11, v10
	v_ashrrev_i32_e32 v23, 31, v22
	v_lshlrev_b64 v[24:25], 2, v[22:23]
	v_mov_b32_e32 v40, s41
	v_add_co_u32_e32 v24, vcc, s40, v24
	v_addc_co_u32_e32 v25, vcc, v40, v25, vcc
	global_load_dword v24, v[24:25], off
	s_or_b64 s[72:73], s[72:73], exec
	s_or_b64 s[56:57], s[56:57], exec
	s_waitcnt vmcnt(0)
	v_subrev_u32_e32 v24, s53, v24
	v_cmp_ne_u32_e32 vcc, v24, v12
	s_and_saveexec_b64 s[58:59], vcc
	s_cbranch_execz .LBB25_50
; %bb.52:                               ;   in Loop: Header=BB25_51 Depth=4
	v_add_u32_e32 v10, 1, v10
	v_cmp_ge_i32_e32 vcc, v10, v34
	s_andn2_b64 s[56:57], s[56:57], exec
	s_and_b64 s[78:79], vcc, exec
	s_andn2_b64 s[72:73], s[72:73], exec
	s_or_b64 s[56:57], s[56:57], s[78:79]
	s_branch .LBB25_50
.LBB25_53:                              ;   in Loop: Header=BB25_12 Depth=3
	s_or_b64 exec, exec, s[94:95]
	s_and_saveexec_b64 s[56:57], s[68:69]
	s_xor_b64 s[56:57], exec, s[56:57]
	s_cbranch_execz .LBB25_58
; %bb.54:                               ;   in Loop: Header=BB25_12 Depth=3
	v_lshlrev_b64 v[22:23], 3, v[22:23]
	v_mov_b32_e32 v10, s75
	v_add_co_u32_e32 v24, vcc, s74, v22
	v_addc_co_u32_e32 v25, vcc, v10, v23, vcc
	s_andn2_b64 vcc, exec, s[34:35]
	global_store_dwordx2 v[24:25], v[20:21], off
	s_cbranch_vccnz .LBB25_58
; %bb.55:                               ;   in Loop: Header=BB25_12 Depth=3
	v_mov_b32_e32 v10, s43
	v_add_co_u32_e32 v22, vcc, s42, v22
	v_addc_co_u32_e32 v23, vcc, v10, v23, vcc
	global_load_dwordx2 v[22:23], v[22:23], off
	s_waitcnt vmcnt(0)
	v_add_f64 v[20:21], v[22:23], -v[20:21]
	v_cmp_class_f64_e64 s[68:69], v[20:21], s70
	s_and_saveexec_b64 s[58:59], s[68:69]
	s_cbranch_execz .LBB25_57
; %bb.56:                               ;   in Loop: Header=BB25_12 Depth=3
	v_cmp_lt_f64_e64 vcc, v[1:2], |v[20:21]|
	v_and_b32_e32 v10, 0x7fffffff, v21
	v_cndmask_b32_e32 v2, v2, v10, vcc
	v_cndmask_b32_e32 v1, v1, v20, vcc
.LBB25_57:                              ;   in Loop: Header=BB25_12 Depth=3
	s_or_b64 exec, exec, s[58:59]
.LBB25_58:                              ;   in Loop: Header=BB25_12 Depth=3
	s_or_b64 exec, exec, s[56:57]
.LBB25_59:                              ;   in Loop: Header=BB25_12 Depth=3
	s_or_b64 exec, exec, s[92:93]
.LBB25_60:                              ;   in Loop: Header=BB25_12 Depth=3
	s_or_b64 exec, exec, s[4:5]
	s_or_b64 exec, exec, s[90:91]
	s_and_b64 s[56:57], s[22:23], s[88:89]
	s_and_saveexec_b64 s[4:5], s[56:57]
	s_cbranch_execz .LBB25_11
.LBB25_61:                              ;   in Loop: Header=BB25_12 Depth=3
	v_cmp_ge_i32_e32 vcc, v19, v39
	s_and_saveexec_b64 s[56:57], vcc
	s_xor_b64 s[88:89], exec, s[56:57]
	s_cbranch_execnz .LBB25_67
; %bb.62:                               ;   in Loop: Header=BB25_12 Depth=3
	s_andn2_saveexec_b64 s[88:89], s[88:89]
	s_cbranch_execnz .LBB25_76
.LBB25_63:                              ;   in Loop: Header=BB25_12 Depth=3
	s_or_b64 exec, exec, s[88:89]
	v_cmp_eq_u32_e32 vcc, v8, v12
	s_and_saveexec_b64 s[56:57], vcc
	s_cbranch_execz .LBB25_65
.LBB25_64:                              ;   in Loop: Header=BB25_12 Depth=3
	v_lshlrev_b64 v[12:13], 3, v[12:13]
	v_mov_b32_e32 v6, s61
	v_add_co_u32_e32 v12, vcc, s60, v12
	v_addc_co_u32_e32 v13, vcc, v6, v13, vcc
	global_load_dwordx2 v[12:13], v[12:13], off
	s_waitcnt vmcnt(0)
	v_add_f64 v[14:15], v[14:15], v[12:13]
.LBB25_65:                              ;   in Loop: Header=BB25_12 Depth=3
	s_or_b64 exec, exec, s[56:57]
	v_add_f64 v[12:13], v[16:17], -v[14:15]
	v_cmp_class_f64_e64 s[58:59], v[12:13], s70
	s_and_saveexec_b64 s[56:57], s[58:59]
	s_cbranch_execz .LBB25_10
; %bb.66:                               ;   in Loop: Header=BB25_12 Depth=3
	v_cmp_lt_f64_e64 vcc, v[4:5], |v[12:13]|
	v_and_b32_e32 v6, 0x7fffffff, v13
	v_cndmask_b32_e32 v5, v5, v6, vcc
	v_cndmask_b32_e32 v4, v4, v12, vcc
	s_branch .LBB25_10
.LBB25_67:                              ;   in Loop: Header=BB25_12 Depth=3
	v_cmp_lt_i32_e32 vcc, v6, v34
	s_and_saveexec_b64 s[90:91], vcc
	s_cbranch_execz .LBB25_75
; %bb.68:                               ;   in Loop: Header=BB25_12 Depth=3
	s_mov_b64 s[68:69], 0
                                        ; implicit-def: $sgpr72_sgpr73
                                        ; implicit-def: $sgpr56_sgpr57
                                        ; implicit-def: $sgpr78_sgpr79
	s_branch .LBB25_70
.LBB25_69:                              ;   in Loop: Header=BB25_70 Depth=4
	s_or_b64 exec, exec, s[58:59]
	s_and_b64 s[58:59], exec, s[56:57]
	s_or_b64 s[68:69], s[58:59], s[68:69]
	s_andn2_b64 s[58:59], s[72:73], exec
	s_and_b64 s[72:73], s[78:79], exec
	s_or_b64 s[72:73], s[58:59], s[72:73]
	s_andn2_b64 exec, exec, s[68:69]
	s_cbranch_execz .LBB25_72
.LBB25_70:                              ;   Parent Loop BB25_3 Depth=1
                                        ;     Parent Loop BB25_7 Depth=2
                                        ;       Parent Loop BB25_12 Depth=3
                                        ; =>      This Inner Loop Header: Depth=4
	v_add_u32_e32 v18, v11, v6
	v_ashrrev_i32_e32 v19, 31, v18
	v_lshlrev_b64 v[20:21], 2, v[18:19]
	v_mov_b32_e32 v10, s41
	v_add_co_u32_e32 v20, vcc, s40, v20
	v_addc_co_u32_e32 v21, vcc, v10, v21, vcc
	global_load_dword v10, v[20:21], off
	s_or_b64 s[78:79], s[78:79], exec
	s_or_b64 s[56:57], s[56:57], exec
	s_waitcnt vmcnt(0)
	v_subrev_u32_e32 v10, s53, v10
	v_cmp_ne_u32_e32 vcc, v10, v12
	s_and_saveexec_b64 s[58:59], vcc
	s_cbranch_execz .LBB25_69
; %bb.71:                               ;   in Loop: Header=BB25_70 Depth=4
	v_add_u32_e32 v6, 1, v6
	v_cmp_ge_i32_e32 vcc, v6, v34
	s_andn2_b64 s[56:57], s[56:57], exec
	s_and_b64 s[92:93], vcc, exec
	s_andn2_b64 s[78:79], s[78:79], exec
	s_or_b64 s[56:57], s[56:57], s[92:93]
	s_branch .LBB25_69
.LBB25_72:                              ;   in Loop: Header=BB25_12 Depth=3
	s_or_b64 exec, exec, s[68:69]
	s_and_saveexec_b64 s[56:57], s[72:73]
	s_xor_b64 s[56:57], exec, s[56:57]
	s_cbranch_execz .LBB25_74
; %bb.73:                               ;   in Loop: Header=BB25_12 Depth=3
	v_lshlrev_b64 v[18:19], 3, v[18:19]
	v_mov_b32_e32 v6, s43
	v_add_co_u32_e32 v18, vcc, s42, v18
	v_lshlrev_b64 v[20:21], 3, v[12:13]
	v_addc_co_u32_e32 v19, vcc, v6, v19, vcc
	v_mov_b32_e32 v6, s61
	v_add_co_u32_e32 v20, vcc, s60, v20
	v_addc_co_u32_e32 v21, vcc, v6, v21, vcc
	global_load_dwordx2 v[18:19], v[18:19], off
	s_nop 0
	global_load_dwordx2 v[20:21], v[20:21], off
	s_waitcnt vmcnt(0)
	v_fma_f64 v[14:15], v[18:19], v[20:21], v[14:15]
.LBB25_74:                              ;   in Loop: Header=BB25_12 Depth=3
	s_or_b64 exec, exec, s[56:57]
.LBB25_75:                              ;   in Loop: Header=BB25_12 Depth=3
	s_or_b64 exec, exec, s[90:91]
                                        ; implicit-def: $vgpr19
                                        ; implicit-def: $vgpr18
                                        ; implicit-def: $vgpr39
	s_andn2_saveexec_b64 s[88:89], s[88:89]
	s_cbranch_execz .LBB25_63
.LBB25_76:                              ;   in Loop: Header=BB25_12 Depth=3
	s_mov_b64 s[68:69], 0
                                        ; implicit-def: $sgpr72_sgpr73
                                        ; implicit-def: $sgpr56_sgpr57
                                        ; implicit-def: $sgpr78_sgpr79
	s_branch .LBB25_78
.LBB25_77:                              ;   in Loop: Header=BB25_78 Depth=4
	s_or_b64 exec, exec, s[58:59]
	s_and_b64 s[58:59], exec, s[56:57]
	s_or_b64 s[68:69], s[58:59], s[68:69]
	s_andn2_b64 s[58:59], s[72:73], exec
	s_and_b64 s[72:73], s[78:79], exec
	s_or_b64 s[72:73], s[58:59], s[72:73]
	s_andn2_b64 exec, exec, s[68:69]
	s_cbranch_execz .LBB25_80
.LBB25_78:                              ;   Parent Loop BB25_3 Depth=1
                                        ;     Parent Loop BB25_7 Depth=2
                                        ;       Parent Loop BB25_12 Depth=3
                                        ; =>      This Inner Loop Header: Depth=4
	v_add_u32_e32 v20, v18, v19
	v_ashrrev_i32_e32 v21, 31, v20
	v_lshlrev_b64 v[22:23], 2, v[20:21]
	v_mov_b32_e32 v6, s29
	v_add_co_u32_e32 v22, vcc, s28, v22
	v_addc_co_u32_e32 v23, vcc, v6, v23, vcc
	global_load_dword v6, v[22:23], off
	s_or_b64 s[78:79], s[78:79], exec
	s_or_b64 s[56:57], s[56:57], exec
	s_waitcnt vmcnt(0)
	v_subrev_u32_e32 v6, s54, v6
	v_cmp_ne_u32_e32 vcc, v6, v8
	s_and_saveexec_b64 s[58:59], vcc
	s_cbranch_execz .LBB25_77
; %bb.79:                               ;   in Loop: Header=BB25_78 Depth=4
	v_add_u32_e32 v19, 1, v19
	v_cmp_ge_i32_e32 vcc, v19, v39
	s_andn2_b64 s[56:57], s[56:57], exec
	s_and_b64 s[90:91], vcc, exec
	s_andn2_b64 s[78:79], s[78:79], exec
	s_or_b64 s[56:57], s[56:57], s[90:91]
	s_branch .LBB25_77
.LBB25_80:                              ;   in Loop: Header=BB25_12 Depth=3
	s_or_b64 exec, exec, s[68:69]
	s_and_saveexec_b64 s[56:57], s[72:73]
	s_xor_b64 s[56:57], exec, s[56:57]
	s_cbranch_execz .LBB25_82
; %bb.81:                               ;   in Loop: Header=BB25_12 Depth=3
	v_lshlrev_b64 v[18:19], 3, v[20:21]
	v_mov_b32_e32 v6, s31
	v_add_co_u32_e32 v18, vcc, s30, v18
	v_addc_co_u32_e32 v19, vcc, v6, v19, vcc
	global_load_dwordx2 v[18:19], v[18:19], off
	s_waitcnt vmcnt(0)
	v_add_f64 v[14:15], v[14:15], v[18:19]
.LBB25_82:                              ;   in Loop: Header=BB25_12 Depth=3
	s_or_b64 exec, exec, s[56:57]
	s_or_b64 exec, exec, s[88:89]
	v_cmp_eq_u32_e32 vcc, v8, v12
	s_and_saveexec_b64 s[56:57], vcc
	s_cbranch_execnz .LBB25_64
	s_branch .LBB25_65
.LBB25_83:                              ;   in Loop: Header=BB25_3 Depth=1
	s_and_b64 vcc, exec, s[34:35]
	s_cbranch_vccnz .LBB25_86
; %bb.84:                               ;   in Loop: Header=BB25_3 Depth=1
	s_andn2_b64 vcc, exec, s[22:23]
	s_cbranch_vccz .LBB25_101
.LBB25_85:                              ;   in Loop: Header=BB25_3 Depth=1
	s_and_saveexec_b64 s[4:5], s[0:1]
	s_cbranch_execnz .LBB25_116
	s_branch .LBB25_127
.LBB25_86:                              ;   in Loop: Header=BB25_3 Depth=1
	v_mov_b32_dpp v8, v1 row_shr:1 row_mask:0xf bank_mask:0xf
	v_mov_b32_dpp v9, v2 row_shr:1 row_mask:0xf bank_mask:0xf
	v_cmp_lt_f64_e32 vcc, v[1:2], v[8:9]
	v_cndmask_b32_e32 v2, v2, v9, vcc
	v_cndmask_b32_e32 v1, v1, v8, vcc
	s_nop 0
	v_mov_b32_dpp v9, v2 row_shr:2 row_mask:0xf bank_mask:0xf
	v_mov_b32_dpp v8, v1 row_shr:2 row_mask:0xf bank_mask:0xf
	v_cmp_lt_f64_e32 vcc, v[1:2], v[8:9]
	v_cndmask_b32_e32 v2, v2, v9, vcc
	v_cndmask_b32_e32 v1, v1, v8, vcc
	s_nop 0
	v_mov_b32_dpp v9, v2 row_shr:4 row_mask:0xf bank_mask:0xe
	v_mov_b32_dpp v8, v1 row_shr:4 row_mask:0xf bank_mask:0xe
	v_cmp_lt_f64_e32 vcc, v[1:2], v[8:9]
	v_cndmask_b32_e32 v2, v2, v9, vcc
	v_cndmask_b32_e32 v1, v1, v8, vcc
	s_nop 0
	v_mov_b32_dpp v3, v2 row_shr:8 row_mask:0xf bank_mask:0xc
	v_mov_b32_dpp v8, v1 row_shr:8 row_mask:0xf bank_mask:0xc
	s_and_saveexec_b64 s[4:5], s[2:3]
	s_cbranch_execz .LBB25_88
; %bb.87:                               ;   in Loop: Header=BB25_3 Depth=1
	v_mov_b32_e32 v9, v3
	v_cmp_lt_f64_e32 vcc, v[1:2], v[8:9]
	v_cndmask_b32_e32 v2, v2, v3, vcc
	v_cndmask_b32_e32 v1, v1, v8, vcc
	ds_write_b64 v31, v[1:2]
.LBB25_88:                              ;   in Loop: Header=BB25_3 Depth=1
	s_or_b64 exec, exec, s[4:5]
	s_waitcnt vmcnt(0) lgkmcnt(0)
	s_barrier
	s_and_saveexec_b64 s[4:5], s[20:21]
	s_cbranch_execz .LBB25_90
; %bb.89:                               ;   in Loop: Header=BB25_3 Depth=1
	ds_read2_b64 v[8:11], v29 offset1:32
	s_waitcnt lgkmcnt(0)
	v_cmp_lt_f64_e32 vcc, v[8:9], v[10:11]
	v_cndmask_b32_e32 v2, v9, v11, vcc
	v_cndmask_b32_e32 v1, v8, v10, vcc
	ds_write_b64 v29, v[1:2]
.LBB25_90:                              ;   in Loop: Header=BB25_3 Depth=1
	s_or_b64 exec, exec, s[4:5]
	s_waitcnt lgkmcnt(0)
	s_barrier
	s_and_saveexec_b64 s[4:5], s[6:7]
	s_cbranch_execz .LBB25_92
; %bb.91:                               ;   in Loop: Header=BB25_3 Depth=1
	ds_read2_b64 v[8:11], v29 offset1:16
	s_waitcnt lgkmcnt(0)
	v_cmp_lt_f64_e32 vcc, v[8:9], v[10:11]
	v_cndmask_b32_e32 v2, v9, v11, vcc
	v_cndmask_b32_e32 v1, v8, v10, vcc
	ds_write_b64 v29, v[1:2]
.LBB25_92:                              ;   in Loop: Header=BB25_3 Depth=1
	s_or_b64 exec, exec, s[4:5]
	s_waitcnt lgkmcnt(0)
	s_barrier
	s_and_saveexec_b64 s[4:5], s[8:9]
	s_cbranch_execz .LBB25_94
; %bb.93:                               ;   in Loop: Header=BB25_3 Depth=1
	ds_read2_b64 v[8:11], v29 offset1:8
	s_waitcnt lgkmcnt(0)
	v_cmp_lt_f64_e32 vcc, v[8:9], v[10:11]
	v_cndmask_b32_e32 v2, v9, v11, vcc
	v_cndmask_b32_e32 v1, v8, v10, vcc
	ds_write_b64 v29, v[1:2]
.LBB25_94:                              ;   in Loop: Header=BB25_3 Depth=1
	s_or_b64 exec, exec, s[4:5]
	s_waitcnt lgkmcnt(0)
	s_barrier
	s_and_saveexec_b64 s[4:5], s[10:11]
	s_cbranch_execz .LBB25_96
; %bb.95:                               ;   in Loop: Header=BB25_3 Depth=1
	ds_read2_b64 v[8:11], v29 offset1:4
	s_waitcnt lgkmcnt(0)
	v_cmp_lt_f64_e32 vcc, v[8:9], v[10:11]
	v_cndmask_b32_e32 v2, v9, v11, vcc
	v_cndmask_b32_e32 v1, v8, v10, vcc
	ds_write_b64 v29, v[1:2]
.LBB25_96:                              ;   in Loop: Header=BB25_3 Depth=1
	s_or_b64 exec, exec, s[4:5]
	s_waitcnt lgkmcnt(0)
	s_barrier
	s_and_saveexec_b64 s[4:5], s[12:13]
	s_cbranch_execz .LBB25_98
; %bb.97:                               ;   in Loop: Header=BB25_3 Depth=1
	ds_read2_b64 v[8:11], v29 offset1:2
	s_waitcnt lgkmcnt(0)
	v_cmp_lt_f64_e32 vcc, v[8:9], v[10:11]
	v_cndmask_b32_e32 v2, v9, v11, vcc
	v_cndmask_b32_e32 v1, v8, v10, vcc
	ds_write_b64 v29, v[1:2]
.LBB25_98:                              ;   in Loop: Header=BB25_3 Depth=1
	s_or_b64 exec, exec, s[4:5]
	s_waitcnt lgkmcnt(0)
	s_barrier
	s_and_saveexec_b64 s[4:5], s[14:15]
	s_cbranch_execz .LBB25_100
; %bb.99:                               ;   in Loop: Header=BB25_3 Depth=1
	ds_read_b128 v[8:11], v7
	s_waitcnt lgkmcnt(0)
	v_cmp_lt_f64_e32 vcc, v[8:9], v[10:11]
	v_cndmask_b32_e32 v2, v9, v11, vcc
	v_cndmask_b32_e32 v1, v8, v10, vcc
	ds_write_b64 v7, v[1:2]
.LBB25_100:                             ;   in Loop: Header=BB25_3 Depth=1
	s_or_b64 exec, exec, s[4:5]
	v_readlane_b32 s4, v46, 10
	v_readlane_b32 s5, v46, 11
	s_waitcnt lgkmcnt(0)
	s_barrier
	ds_read_b64 v[1:2], v7
	s_load_dwordx2 s[4:5], s[4:5], 0x0
	s_waitcnt lgkmcnt(0)
	v_div_scale_f64 v[8:9], s[18:19], s[4:5], s[4:5], v[1:2]
	v_div_scale_f64 v[14:15], vcc, v[1:2], s[4:5], v[1:2]
	v_rcp_f64_e32 v[10:11], v[8:9]
	v_fma_f64 v[12:13], -v[8:9], v[10:11], 1.0
	v_fma_f64 v[10:11], v[10:11], v[12:13], v[10:11]
	v_fma_f64 v[12:13], -v[8:9], v[10:11], 1.0
	v_fma_f64 v[10:11], v[10:11], v[12:13], v[10:11]
	v_mul_f64 v[12:13], v[14:15], v[10:11]
	v_fma_f64 v[8:9], -v[8:9], v[12:13], v[14:15]
	v_div_fmas_f64 v[8:9], v[8:9], v[10:11], v[12:13]
	v_div_fixup_f64 v[1:2], v[8:9], s[4:5], v[1:2]
	s_andn2_b64 vcc, exec, s[22:23]
	s_cbranch_vccnz .LBB25_85
.LBB25_101:                             ;   in Loop: Header=BB25_3 Depth=1
	v_mov_b32_dpp v8, v4 row_shr:1 row_mask:0xf bank_mask:0xf
	v_mov_b32_dpp v9, v5 row_shr:1 row_mask:0xf bank_mask:0xf
	v_cmp_lt_f64_e32 vcc, v[4:5], v[8:9]
	v_cndmask_b32_e32 v5, v5, v9, vcc
	v_cndmask_b32_e32 v4, v4, v8, vcc
	s_nop 0
	v_mov_b32_dpp v9, v5 row_shr:2 row_mask:0xf bank_mask:0xf
	v_mov_b32_dpp v8, v4 row_shr:2 row_mask:0xf bank_mask:0xf
	v_cmp_lt_f64_e32 vcc, v[4:5], v[8:9]
	v_cndmask_b32_e32 v6, v5, v9, vcc
	v_cndmask_b32_e32 v5, v4, v8, vcc
	s_nop 0
	;; [unrolled: 6-line block ×3, first 2 shown]
	v_mov_b32_dpp v8, v4 row_shr:8 row_mask:0xf bank_mask:0xc
	v_mov_b32_dpp v5, v3 row_shr:8 row_mask:0xf bank_mask:0xc
	s_and_saveexec_b64 s[4:5], s[2:3]
	s_cbranch_execz .LBB25_103
; %bb.102:                              ;   in Loop: Header=BB25_3 Depth=1
	v_mov_b32_e32 v6, v8
	v_cmp_lt_f64_e32 vcc, v[3:4], v[5:6]
	v_cndmask_b32_e32 v4, v4, v8, vcc
	v_cndmask_b32_e32 v3, v3, v5, vcc
	ds_write_b64 v31, v[3:4]
.LBB25_103:                             ;   in Loop: Header=BB25_3 Depth=1
	s_or_b64 exec, exec, s[4:5]
	s_waitcnt vmcnt(0) lgkmcnt(0)
	s_barrier
	s_and_saveexec_b64 s[4:5], s[20:21]
	s_cbranch_execz .LBB25_105
; %bb.104:                              ;   in Loop: Header=BB25_3 Depth=1
	ds_read2_b64 v[3:6], v29 offset1:32
	s_waitcnt lgkmcnt(0)
	v_cmp_lt_f64_e32 vcc, v[3:4], v[5:6]
	v_cndmask_b32_e32 v4, v4, v6, vcc
	v_cndmask_b32_e32 v3, v3, v5, vcc
	ds_write_b64 v29, v[3:4]
.LBB25_105:                             ;   in Loop: Header=BB25_3 Depth=1
	s_or_b64 exec, exec, s[4:5]
	s_waitcnt lgkmcnt(0)
	s_barrier
	s_and_saveexec_b64 s[4:5], s[6:7]
	s_cbranch_execz .LBB25_107
; %bb.106:                              ;   in Loop: Header=BB25_3 Depth=1
	ds_read2_b64 v[3:6], v29 offset1:16
	s_waitcnt lgkmcnt(0)
	v_cmp_lt_f64_e32 vcc, v[3:4], v[5:6]
	v_cndmask_b32_e32 v4, v4, v6, vcc
	v_cndmask_b32_e32 v3, v3, v5, vcc
	ds_write_b64 v29, v[3:4]
.LBB25_107:                             ;   in Loop: Header=BB25_3 Depth=1
	s_or_b64 exec, exec, s[4:5]
	s_waitcnt lgkmcnt(0)
	;; [unrolled: 13-line block ×5, first 2 shown]
	s_barrier
	s_and_saveexec_b64 s[4:5], s[14:15]
	s_cbranch_execz .LBB25_115
; %bb.114:                              ;   in Loop: Header=BB25_3 Depth=1
	ds_read_b128 v[3:6], v7
	s_waitcnt lgkmcnt(0)
	v_cmp_lt_f64_e32 vcc, v[3:4], v[5:6]
	v_cndmask_b32_e32 v4, v4, v6, vcc
	v_cndmask_b32_e32 v3, v3, v5, vcc
	ds_write_b64 v7, v[3:4]
.LBB25_115:                             ;   in Loop: Header=BB25_3 Depth=1
	s_or_b64 exec, exec, s[4:5]
	v_readlane_b32 s4, v46, 10
	v_readlane_b32 s5, v46, 11
	s_waitcnt lgkmcnt(0)
	s_barrier
	ds_read_b64 v[3:4], v7
	s_load_dwordx2 s[4:5], s[4:5], 0x0
	s_waitcnt lgkmcnt(0)
	v_div_scale_f64 v[5:6], s[18:19], s[4:5], s[4:5], v[3:4]
	v_div_scale_f64 v[12:13], vcc, v[3:4], s[4:5], v[3:4]
	v_rcp_f64_e32 v[8:9], v[5:6]
	v_fma_f64 v[10:11], -v[5:6], v[8:9], 1.0
	v_fma_f64 v[8:9], v[8:9], v[10:11], v[8:9]
	v_fma_f64 v[10:11], -v[5:6], v[8:9], 1.0
	v_fma_f64 v[8:9], v[8:9], v[10:11], v[8:9]
	v_mul_f64 v[10:11], v[12:13], v[8:9]
	v_fma_f64 v[5:6], -v[5:6], v[10:11], v[12:13]
	v_div_fmas_f64 v[5:6], v[5:6], v[8:9], v[10:11]
	v_div_fixup_f64 v[4:5], v[5:6], s[4:5], v[3:4]
	s_and_saveexec_b64 s[4:5], s[0:1]
	s_cbranch_execz .LBB25_127
.LBB25_116:                             ;   in Loop: Header=BB25_3 Depth=1
	s_mov_b64 s[18:19], 0
	v_mov_b32_e32 v8, v28
	s_branch .LBB25_118
.LBB25_117:                             ;   in Loop: Header=BB25_118 Depth=2
	s_or_b64 exec, exec, s[82:83]
	v_add_u32_e32 v8, 64, v8
	v_cmp_le_u32_e32 vcc, s55, v8
	s_or_b64 s[18:19], vcc, s[18:19]
	s_andn2_b64 exec, exec, s[18:19]
	s_cbranch_execz .LBB25_127
.LBB25_118:                             ;   Parent Loop BB25_3 Depth=1
                                        ; =>  This Loop Header: Depth=2
                                        ;       Child Loop BB25_121 Depth 3
                                        ;       Child Loop BB25_124 Depth 3
	v_cmp_gt_i32_e32 vcc, s33, v8
	s_and_saveexec_b64 s[82:83], vcc
	s_cbranch_execz .LBB25_117
; %bb.119:                              ;   in Loop: Header=BB25_118 Depth=2
	v_ashrrev_i32_e32 v9, 31, v8
	v_lshlrev_b64 v[10:11], 2, v[8:9]
	v_mov_b32_e32 v3, s37
	v_add_co_u32_e32 v12, vcc, s36, v10
	v_addc_co_u32_e32 v13, vcc, v3, v11, vcc
	global_load_dword v3, v[12:13], off
	v_mov_b32_e32 v6, s39
	v_add_co_u32_e32 v12, vcc, s38, v10
	v_addc_co_u32_e32 v13, vcc, v6, v11, vcc
	global_load_dword v6, v[12:13], off
	s_waitcnt vmcnt(1)
	v_add_u32_e32 v12, v32, v3
	s_waitcnt vmcnt(0)
	v_subrev_u32_e32 v3, s53, v6
	v_cmp_lt_i32_e32 vcc, v12, v3
	s_and_saveexec_b64 s[56:57], vcc
	s_cbranch_execz .LBB25_122
; %bb.120:                              ;   in Loop: Header=BB25_118 Depth=2
	v_ashrrev_i32_e32 v13, 31, v12
	v_lshlrev_b64 v[15:16], 3, v[12:13]
	v_mov_b32_e32 v6, s75
	v_add_co_u32_e32 v13, vcc, s74, v15
	v_addc_co_u32_e32 v14, vcc, v6, v16, vcc
	v_mov_b32_e32 v6, s43
	v_add_co_u32_e32 v15, vcc, s42, v15
	v_addc_co_u32_e32 v16, vcc, v6, v16, vcc
	s_mov_b64 s[58:59], 0
.LBB25_121:                             ;   Parent Loop BB25_3 Depth=1
                                        ;     Parent Loop BB25_118 Depth=2
                                        ; =>    This Inner Loop Header: Depth=3
	global_load_dwordx2 v[17:18], v[13:14], off
	v_add_co_u32_e32 v13, vcc, 0x80, v13
	v_add_u32_e32 v12, 16, v12
	v_addc_co_u32_e32 v14, vcc, 0, v14, vcc
	v_cmp_ge_i32_e32 vcc, v12, v3
	s_or_b64 s[58:59], vcc, s[58:59]
	s_waitcnt vmcnt(0)
	global_store_dwordx2 v[15:16], v[17:18], off
	v_add_co_u32_e32 v15, vcc, 0x80, v15
	v_addc_co_u32_e32 v16, vcc, 0, v16, vcc
	s_andn2_b64 exec, exec, s[58:59]
	s_cbranch_execnz .LBB25_121
.LBB25_122:                             ;   in Loop: Header=BB25_118 Depth=2
	s_or_b64 exec, exec, s[56:57]
	v_mov_b32_e32 v3, s25
	v_add_co_u32_e32 v12, vcc, s24, v10
	v_addc_co_u32_e32 v13, vcc, v3, v11, vcc
	v_mov_b32_e32 v6, s27
	v_add_co_u32_e32 v10, vcc, s26, v10
	v_addc_co_u32_e32 v11, vcc, v6, v11, vcc
	global_load_dword v3, v[12:13], off
	global_load_dword v6, v[10:11], off
	s_waitcnt vmcnt(1)
	v_add_u32_e32 v10, v33, v3
	s_waitcnt vmcnt(0)
	v_subrev_u32_e32 v3, s54, v6
	v_cmp_lt_i32_e32 vcc, v10, v3
	s_and_saveexec_b64 s[56:57], vcc
	s_cbranch_execz .LBB25_125
; %bb.123:                              ;   in Loop: Header=BB25_118 Depth=2
	v_ashrrev_i32_e32 v11, 31, v10
	v_lshlrev_b64 v[13:14], 3, v[10:11]
	v_mov_b32_e32 v6, s77
	v_add_co_u32_e32 v11, vcc, s76, v13
	v_addc_co_u32_e32 v12, vcc, v6, v14, vcc
	v_mov_b32_e32 v6, s31
	v_add_co_u32_e32 v13, vcc, s30, v13
	v_addc_co_u32_e32 v14, vcc, v6, v14, vcc
	s_mov_b64 s[58:59], 0
.LBB25_124:                             ;   Parent Loop BB25_3 Depth=1
                                        ;     Parent Loop BB25_118 Depth=2
                                        ; =>    This Inner Loop Header: Depth=3
	global_load_dwordx2 v[15:16], v[11:12], off
	v_add_co_u32_e32 v11, vcc, 0x80, v11
	v_add_u32_e32 v10, 16, v10
	v_addc_co_u32_e32 v12, vcc, 0, v12, vcc
	v_cmp_ge_i32_e32 vcc, v10, v3
	s_or_b64 s[58:59], vcc, s[58:59]
	s_waitcnt vmcnt(0)
	global_store_dwordx2 v[13:14], v[15:16], off
	v_add_co_u32_e32 v13, vcc, 0x80, v13
	v_addc_co_u32_e32 v14, vcc, 0, v14, vcc
	s_andn2_b64 exec, exec, s[58:59]
	s_cbranch_execnz .LBB25_124
.LBB25_125:                             ;   in Loop: Header=BB25_118 Depth=2
	s_or_b64 exec, exec, s[56:57]
	s_and_b64 exec, exec, s[16:17]
	s_cbranch_execz .LBB25_117
; %bb.126:                              ;   in Loop: Header=BB25_118 Depth=2
	v_lshlrev_b64 v[9:10], 3, v[8:9]
	v_mov_b32_e32 v3, s63
	v_add_co_u32_e32 v11, vcc, s62, v9
	v_addc_co_u32_e32 v12, vcc, v3, v10, vcc
	global_load_dwordx2 v[11:12], v[11:12], off
	v_mov_b32_e32 v3, s61
	v_add_co_u32_e32 v9, vcc, s60, v9
	v_addc_co_u32_e32 v10, vcc, v3, v10, vcc
	s_waitcnt vmcnt(0)
	global_store_dwordx2 v[9:10], v[11:12], off
	s_branch .LBB25_117
.LBB25_127:                             ;   in Loop: Header=BB25_3 Depth=1
	s_or_b64 exec, exec, s[4:5]
	s_mov_b64 s[18:19], -1
	s_and_b64 vcc, exec, s[64:65]
	s_mov_b64 s[56:57], -1
	s_cbranch_vccz .LBB25_137
; %bb.128:                              ;   in Loop: Header=BB25_3 Depth=1
	v_readlane_b32 s56, v46, 14
	v_readlane_b32 s57, v46, 15
	s_mov_b64 s[4:5], -1
	s_and_b64 vcc, exec, s[56:57]
                                        ; implicit-def: $sgpr56_sgpr57
	s_cbranch_vccz .LBB25_134
; %bb.129:                              ;   in Loop: Header=BB25_3 Depth=1
	v_readlane_b32 s56, v46, 12
	v_readlane_b32 s57, v46, 13
	s_and_b64 vcc, exec, s[56:57]
                                        ; implicit-def: $sgpr56_sgpr57
	s_cbranch_vccz .LBB25_131
; %bb.130:                              ;   in Loop: Header=BB25_3 Depth=1
	v_readlane_b32 s56, v46, 0
	v_readlane_b32 s57, v46, 1
	;; [unrolled: 1-line block ×4, first 2 shown]
	v_cmp_ge_f64_e64 s[56:57], s[58:59], v[4:5]
	s_mov_b64 s[4:5], 0
.LBB25_131:                             ;   in Loop: Header=BB25_3 Depth=1
	s_andn2_b64 vcc, exec, s[4:5]
	s_cbranch_vccnz .LBB25_133
; %bb.132:                              ;   in Loop: Header=BB25_3 Depth=1
	v_readlane_b32 s84, v46, 0
	v_readlane_b32 s86, v46, 2
	;; [unrolled: 1-line block ×3, first 2 shown]
	v_cmp_ge_f64_e32 vcc, s[86:87], v[1:2]
	s_andn2_b64 s[4:5], s[56:57], exec
	v_readlane_b32 s85, v46, 1
	s_and_b64 s[56:57], vcc, exec
	s_or_b64 s[56:57], s[4:5], s[56:57]
.LBB25_133:                             ;   in Loop: Header=BB25_3 Depth=1
	s_mov_b64 s[4:5], 0
.LBB25_134:                             ;   in Loop: Header=BB25_3 Depth=1
	s_andn2_b64 vcc, exec, s[4:5]
	s_cbranch_vccnz .LBB25_136
; %bb.135:                              ;   in Loop: Header=BB25_3 Depth=1
	v_readlane_b32 s84, v46, 0
	v_readlane_b32 s86, v46, 2
	v_readlane_b32 s87, v46, 3
	v_cmp_ge_f64_e32 vcc, s[86:87], v[1:2]
	v_cmp_ge_f64_e64 s[4:5], s[86:87], v[4:5]
	s_andn2_b64 s[56:57], s[56:57], exec
	v_readlane_b32 s85, v46, 1
	s_and_b64 s[4:5], vcc, s[4:5]
	s_and_b64 s[4:5], s[4:5], exec
	s_or_b64 s[56:57], s[56:57], s[4:5]
.LBB25_136:                             ;   in Loop: Header=BB25_3 Depth=1
	s_xor_b64 s[56:57], s[56:57], -1
.LBB25_137:                             ;   in Loop: Header=BB25_3 Depth=1
	v_mov_b32_e32 v3, s66
	s_and_saveexec_b64 s[4:5], s[56:57]
	s_cbranch_execz .LBB25_2
; %bb.138:                              ;   in Loop: Header=BB25_3 Depth=1
	s_add_i32 s66, s66, 1
	s_cmp_eq_u32 s66, s67
	s_cselect_b64 s[18:19], -1, 0
	v_mov_b32_e32 v3, s67
	s_orn2_b64 s[18:19], s[18:19], exec
	s_branch .LBB25_2
.LBB25_139:
	s_or_b64 exec, exec, s[80:81]
	v_readlane_b32 s8, v46, 6
	v_readlane_b32 s9, v46, 7
	;; [unrolled: 1-line block ×4, first 2 shown]
.LBB25_140:
	v_readlane_b32 s0, v46, 4
	v_readlane_b32 s1, v46, 5
	s_or_b64 exec, exec, s[0:1]
	s_andn2_b64 vcc, exec, s[64:65]
	s_cbranch_vccnz .LBB25_159
; %bb.141:
	v_mov_b32_dpp v6, v3 row_shr:1 row_mask:0xf bank_mask:0xf
	v_max_i32_e32 v3, v3, v6
	v_cmp_eq_u32_e32 vcc, 15, v27
	s_nop 0
	v_mov_b32_dpp v6, v3 row_shr:2 row_mask:0xf bank_mask:0xf
	v_max_i32_e32 v3, v3, v6
	s_nop 1
	v_mov_b32_dpp v6, v3 row_shr:4 row_mask:0xf bank_mask:0xe
	v_max_i32_e32 v3, v3, v6
	s_nop 1
	v_mov_b32_dpp v6, v3 row_shr:8 row_mask:0xf bank_mask:0xc
	s_and_saveexec_b64 s[0:1], vcc
; %bb.142:
	v_lshlrev_b32_e32 v7, 2, v26
	v_max_i32_e32 v3, v3, v6
	ds_write_b32 v7, v3 offset:512
; %bb.143:
	s_or_b64 exec, exec, s[0:1]
	v_cmp_gt_u32_e32 vcc, 32, v0
	v_lshlrev_b32_e32 v3, 2, v0
	s_waitcnt vmcnt(0) lgkmcnt(0)
	s_barrier
	s_and_saveexec_b64 s[0:1], vcc
	s_cbranch_execz .LBB25_145
; %bb.144:
	ds_read2_b32 v[6:7], v3 offset0:128 offset1:160
	s_waitcnt lgkmcnt(0)
	v_max_i32_e32 v6, v6, v7
	ds_write_b32 v3, v6 offset:512
.LBB25_145:
	s_or_b64 exec, exec, s[0:1]
	v_cmp_gt_u32_e32 vcc, 16, v0
	s_waitcnt lgkmcnt(0)
	s_barrier
	s_and_saveexec_b64 s[0:1], vcc
	s_cbranch_execz .LBB25_147
; %bb.146:
	ds_read2_b32 v[6:7], v3 offset0:128 offset1:144
	s_waitcnt lgkmcnt(0)
	v_max_i32_e32 v6, v6, v7
	ds_write_b32 v3, v6 offset:512
.LBB25_147:
	s_or_b64 exec, exec, s[0:1]
	v_cmp_gt_u32_e32 vcc, 8, v0
	s_waitcnt lgkmcnt(0)
	;; [unrolled: 12-line block ×4, first 2 shown]
	s_barrier
	s_and_saveexec_b64 s[0:1], vcc
	s_cbranch_execz .LBB25_153
; %bb.152:
	ds_read2_b32 v[6:7], v3 offset0:128 offset1:130
	s_waitcnt lgkmcnt(0)
	v_max_i32_e32 v6, v6, v7
	ds_write_b32 v3, v6 offset:512
.LBB25_153:
	s_or_b64 exec, exec, s[0:1]
	v_cmp_eq_u32_e32 vcc, 0, v0
	s_waitcnt lgkmcnt(0)
	s_barrier
	s_and_saveexec_b64 s[0:1], vcc
	s_cbranch_execz .LBB25_155
; %bb.154:
	v_mov_b32_e32 v3, 0
	ds_read_b64 v[6:7], v3 offset:512
	s_waitcnt lgkmcnt(0)
	v_max_i32_e32 v6, v6, v7
	ds_write_b32 v3, v6 offset:512
.LBB25_155:
	s_or_b64 exec, exec, s[0:1]
	s_waitcnt lgkmcnt(0)
	s_barrier
	s_and_saveexec_b64 s[0:1], vcc
	s_cbranch_execz .LBB25_158
; %bb.156:
	v_mbcnt_lo_u32_b32 v3, exec_lo, 0
	v_mbcnt_hi_u32_b32 v3, exec_hi, v3
	v_cmp_eq_u32_e32 vcc, 0, v3
	s_and_b64 exec, exec, vcc
	s_cbranch_execz .LBB25_158
; %bb.157:
	v_mov_b32_e32 v3, 0
	ds_read_b32 v6, v3 offset:512
	v_readlane_b32 s4, v46, 0
	v_readlane_b32 s5, v46, 1
	v_readlane_b32 s6, v46, 2
	v_readlane_b32 s7, v46, 3
	s_waitcnt lgkmcnt(0)
	v_add_u32_e32 v6, 1, v6
	s_nop 0
	global_atomic_smax v3, v6, s[4:5]
.LBB25_158:
	s_or_b64 exec, exec, s[0:1]
.LBB25_159:
	v_cmp_eq_u32_e32 vcc, 0, v0
	s_and_b64 s[0:1], vcc, s[34:35]
	s_and_saveexec_b64 s[2:3], s[0:1]
	s_cbranch_execz .LBB25_166
; %bb.160:
	v_mov_b32_e32 v6, 0
	s_mov_b64 s[0:1], exec
	v_mov_b32_e32 v7, 0x7ff80000
.LBB25_161:                             ; =>This Inner Loop Header: Depth=1
	s_ff1_i32_b64 s6, s[0:1]
	v_readlane_b32 s5, v2, s6
	v_readlane_b32 s4, v1, s6
	v_max_f64 v[6:7], v[6:7], v[6:7]
	v_max_f64 v[8:9], s[4:5], s[4:5]
	s_lshl_b64 s[4:5], 1, s6
	s_andn2_b64 s[0:1], s[0:1], s[4:5]
	s_cmp_lg_u64 s[0:1], 0
	v_max_f64 v[6:7], v[6:7], v[8:9]
	s_cbranch_scc1 .LBB25_161
; %bb.162:
	v_mbcnt_lo_u32_b32 v0, exec_lo, 0
	v_mbcnt_hi_u32_b32 v0, exec_hi, v0
	v_cmp_eq_u32_e64 s[0:1], 0, v0
	s_and_saveexec_b64 s[4:5], s[0:1]
	s_xor_b64 s[4:5], exec, s[4:5]
	s_cbranch_execz .LBB25_166
; %bb.163:
	v_mov_b32_e32 v8, 0
	global_load_dwordx2 v[2:3], v8, s[8:9]
	v_max_f64 v[6:7], v[6:7], v[6:7]
	s_mov_b64 s[4:5], 0
.LBB25_164:                             ; =>This Inner Loop Header: Depth=1
	s_waitcnt vmcnt(0)
	v_max_f64 v[0:1], v[2:3], v[2:3]
	v_max_f64 v[0:1], v[0:1], v[6:7]
	global_atomic_cmpswap_x2 v[0:1], v8, v[0:3], s[8:9] glc
	s_waitcnt vmcnt(0)
	v_cmp_eq_u64_e64 s[0:1], v[0:1], v[2:3]
	v_mov_b32_e32 v3, v1
	s_or_b64 s[4:5], s[0:1], s[4:5]
	v_mov_b32_e32 v2, v0
	s_andn2_b64 exec, exec, s[4:5]
	s_cbranch_execnz .LBB25_164
; %bb.165:
	s_or_b64 exec, exec, s[4:5]
.LBB25_166:
	s_or_b64 exec, exec, s[2:3]
	s_and_b64 s[0:1], vcc, s[22:23]
	s_and_saveexec_b64 s[2:3], s[0:1]
	s_cbranch_execz .LBB25_172
; %bb.167:
	v_mov_b32_e32 v0, 0
	s_mov_b64 s[0:1], exec
	v_mov_b32_e32 v1, 0x7ff80000
.LBB25_168:                             ; =>This Inner Loop Header: Depth=1
	s_ff1_i32_b64 s4, s[0:1]
	v_readlane_b32 s3, v5, s4
	v_readlane_b32 s2, v4, s4
	v_max_f64 v[0:1], v[0:1], v[0:1]
	v_max_f64 v[2:3], s[2:3], s[2:3]
	s_lshl_b64 s[2:3], 1, s4
	s_andn2_b64 s[0:1], s[0:1], s[2:3]
	s_cmp_lg_u64 s[0:1], 0
	v_max_f64 v[0:1], v[0:1], v[2:3]
	s_cbranch_scc1 .LBB25_168
; %bb.169:
	v_mbcnt_lo_u32_b32 v2, exec_lo, 0
	v_mbcnt_hi_u32_b32 v2, exec_hi, v2
	v_cmp_eq_u32_e32 vcc, 0, v2
	s_and_saveexec_b64 s[0:1], vcc
	s_xor_b64 s[0:1], exec, s[0:1]
	s_cbranch_execz .LBB25_172
; %bb.170:
	v_mov_b32_e32 v6, 0
	global_load_dwordx2 v[2:3], v6, s[10:11]
	v_max_f64 v[4:5], v[0:1], v[0:1]
	s_mov_b64 s[0:1], 0
.LBB25_171:                             ; =>This Inner Loop Header: Depth=1
	s_waitcnt vmcnt(0)
	v_max_f64 v[0:1], v[2:3], v[2:3]
	v_max_f64 v[0:1], v[0:1], v[4:5]
	global_atomic_cmpswap_x2 v[0:1], v6, v[0:3], s[10:11] glc
	s_waitcnt vmcnt(0)
	v_cmp_eq_u64_e32 vcc, v[0:1], v[2:3]
	v_mov_b32_e32 v3, v1
	s_or_b64 s[0:1], vcc, s[0:1]
	v_mov_b32_e32 v2, v0
	s_andn2_b64 exec, exec, s[0:1]
	s_cbranch_execnz .LBB25_171
.LBB25_172:
	s_endpgm
	.section	.rodata,"a",@progbits
	.p2align	6, 0x0
	.amdhsa_kernel _ZN9rocsparseL6kernelILi1024ELi16EdiiEEvbbbT3_PS1_NS_15floating_traitsIT1_E6data_tES1_T2_PKS7_S9_PKS1_PKS4_21rocsparse_index_base_S9_S9_SB_PS4_SF_SE_S9_S9_SB_SF_SF_SE_SF_SF_PS6_SG_PKS6_
		.amdhsa_group_segment_fixed_size 768
		.amdhsa_private_segment_fixed_size 0
		.amdhsa_kernarg_size 208
		.amdhsa_user_sgpr_count 6
		.amdhsa_user_sgpr_private_segment_buffer 1
		.amdhsa_user_sgpr_dispatch_ptr 0
		.amdhsa_user_sgpr_queue_ptr 0
		.amdhsa_user_sgpr_kernarg_segment_ptr 1
		.amdhsa_user_sgpr_dispatch_id 0
		.amdhsa_user_sgpr_flat_scratch_init 0
		.amdhsa_user_sgpr_private_segment_size 0
		.amdhsa_uses_dynamic_stack 0
		.amdhsa_system_sgpr_private_segment_wavefront_offset 0
		.amdhsa_system_sgpr_workgroup_id_x 1
		.amdhsa_system_sgpr_workgroup_id_y 0
		.amdhsa_system_sgpr_workgroup_id_z 0
		.amdhsa_system_sgpr_workgroup_info 0
		.amdhsa_system_vgpr_workitem_id 0
		.amdhsa_next_free_vgpr 47
		.amdhsa_next_free_sgpr 96
		.amdhsa_reserve_vcc 1
		.amdhsa_reserve_flat_scratch 0
		.amdhsa_float_round_mode_32 0
		.amdhsa_float_round_mode_16_64 0
		.amdhsa_float_denorm_mode_32 3
		.amdhsa_float_denorm_mode_16_64 3
		.amdhsa_dx10_clamp 1
		.amdhsa_ieee_mode 1
		.amdhsa_fp16_overflow 0
		.amdhsa_exception_fp_ieee_invalid_op 0
		.amdhsa_exception_fp_denorm_src 0
		.amdhsa_exception_fp_ieee_div_zero 0
		.amdhsa_exception_fp_ieee_overflow 0
		.amdhsa_exception_fp_ieee_underflow 0
		.amdhsa_exception_fp_ieee_inexact 0
		.amdhsa_exception_int_div_zero 0
	.end_amdhsa_kernel
	.section	.text._ZN9rocsparseL6kernelILi1024ELi16EdiiEEvbbbT3_PS1_NS_15floating_traitsIT1_E6data_tES1_T2_PKS7_S9_PKS1_PKS4_21rocsparse_index_base_S9_S9_SB_PS4_SF_SE_S9_S9_SB_SF_SF_SE_SF_SF_PS6_SG_PKS6_,"axG",@progbits,_ZN9rocsparseL6kernelILi1024ELi16EdiiEEvbbbT3_PS1_NS_15floating_traitsIT1_E6data_tES1_T2_PKS7_S9_PKS1_PKS4_21rocsparse_index_base_S9_S9_SB_PS4_SF_SE_S9_S9_SB_SF_SF_SE_SF_SF_PS6_SG_PKS6_,comdat
.Lfunc_end25:
	.size	_ZN9rocsparseL6kernelILi1024ELi16EdiiEEvbbbT3_PS1_NS_15floating_traitsIT1_E6data_tES1_T2_PKS7_S9_PKS1_PKS4_21rocsparse_index_base_S9_S9_SB_PS4_SF_SE_S9_S9_SB_SF_SF_SE_SF_SF_PS6_SG_PKS6_, .Lfunc_end25-_ZN9rocsparseL6kernelILi1024ELi16EdiiEEvbbbT3_PS1_NS_15floating_traitsIT1_E6data_tES1_T2_PKS7_S9_PKS1_PKS4_21rocsparse_index_base_S9_S9_SB_PS4_SF_SE_S9_S9_SB_SF_SF_SE_SF_SF_PS6_SG_PKS6_
                                        ; -- End function
	.set _ZN9rocsparseL6kernelILi1024ELi16EdiiEEvbbbT3_PS1_NS_15floating_traitsIT1_E6data_tES1_T2_PKS7_S9_PKS1_PKS4_21rocsparse_index_base_S9_S9_SB_PS4_SF_SE_S9_S9_SB_SF_SF_SE_SF_SF_PS6_SG_PKS6_.num_vgpr, 47
	.set _ZN9rocsparseL6kernelILi1024ELi16EdiiEEvbbbT3_PS1_NS_15floating_traitsIT1_E6data_tES1_T2_PKS7_S9_PKS1_PKS4_21rocsparse_index_base_S9_S9_SB_PS4_SF_SE_S9_S9_SB_SF_SF_SE_SF_SF_PS6_SG_PKS6_.num_agpr, 0
	.set _ZN9rocsparseL6kernelILi1024ELi16EdiiEEvbbbT3_PS1_NS_15floating_traitsIT1_E6data_tES1_T2_PKS7_S9_PKS1_PKS4_21rocsparse_index_base_S9_S9_SB_PS4_SF_SE_S9_S9_SB_SF_SF_SE_SF_SF_PS6_SG_PKS6_.numbered_sgpr, 96
	.set _ZN9rocsparseL6kernelILi1024ELi16EdiiEEvbbbT3_PS1_NS_15floating_traitsIT1_E6data_tES1_T2_PKS7_S9_PKS1_PKS4_21rocsparse_index_base_S9_S9_SB_PS4_SF_SE_S9_S9_SB_SF_SF_SE_SF_SF_PS6_SG_PKS6_.num_named_barrier, 0
	.set _ZN9rocsparseL6kernelILi1024ELi16EdiiEEvbbbT3_PS1_NS_15floating_traitsIT1_E6data_tES1_T2_PKS7_S9_PKS1_PKS4_21rocsparse_index_base_S9_S9_SB_PS4_SF_SE_S9_S9_SB_SF_SF_SE_SF_SF_PS6_SG_PKS6_.private_seg_size, 0
	.set _ZN9rocsparseL6kernelILi1024ELi16EdiiEEvbbbT3_PS1_NS_15floating_traitsIT1_E6data_tES1_T2_PKS7_S9_PKS1_PKS4_21rocsparse_index_base_S9_S9_SB_PS4_SF_SE_S9_S9_SB_SF_SF_SE_SF_SF_PS6_SG_PKS6_.uses_vcc, 1
	.set _ZN9rocsparseL6kernelILi1024ELi16EdiiEEvbbbT3_PS1_NS_15floating_traitsIT1_E6data_tES1_T2_PKS7_S9_PKS1_PKS4_21rocsparse_index_base_S9_S9_SB_PS4_SF_SE_S9_S9_SB_SF_SF_SE_SF_SF_PS6_SG_PKS6_.uses_flat_scratch, 0
	.set _ZN9rocsparseL6kernelILi1024ELi16EdiiEEvbbbT3_PS1_NS_15floating_traitsIT1_E6data_tES1_T2_PKS7_S9_PKS1_PKS4_21rocsparse_index_base_S9_S9_SB_PS4_SF_SE_S9_S9_SB_SF_SF_SE_SF_SF_PS6_SG_PKS6_.has_dyn_sized_stack, 0
	.set _ZN9rocsparseL6kernelILi1024ELi16EdiiEEvbbbT3_PS1_NS_15floating_traitsIT1_E6data_tES1_T2_PKS7_S9_PKS1_PKS4_21rocsparse_index_base_S9_S9_SB_PS4_SF_SE_S9_S9_SB_SF_SF_SE_SF_SF_PS6_SG_PKS6_.has_recursion, 0
	.set _ZN9rocsparseL6kernelILi1024ELi16EdiiEEvbbbT3_PS1_NS_15floating_traitsIT1_E6data_tES1_T2_PKS7_S9_PKS1_PKS4_21rocsparse_index_base_S9_S9_SB_PS4_SF_SE_S9_S9_SB_SF_SF_SE_SF_SF_PS6_SG_PKS6_.has_indirect_call, 0
	.section	.AMDGPU.csdata,"",@progbits
; Kernel info:
; codeLenInByte = 5852
; TotalNumSgprs: 100
; NumVgprs: 47
; ScratchSize: 0
; MemoryBound: 1
; FloatMode: 240
; IeeeMode: 1
; LDSByteSize: 768 bytes/workgroup (compile time only)
; SGPRBlocks: 12
; VGPRBlocks: 11
; NumSGPRsForWavesPerEU: 100
; NumVGPRsForWavesPerEU: 47
; Occupancy: 5
; WaveLimiterHint : 1
; COMPUTE_PGM_RSRC2:SCRATCH_EN: 0
; COMPUTE_PGM_RSRC2:USER_SGPR: 6
; COMPUTE_PGM_RSRC2:TRAP_HANDLER: 0
; COMPUTE_PGM_RSRC2:TGID_X_EN: 1
; COMPUTE_PGM_RSRC2:TGID_Y_EN: 0
; COMPUTE_PGM_RSRC2:TGID_Z_EN: 0
; COMPUTE_PGM_RSRC2:TIDIG_COMP_CNT: 0
	.section	.text._ZN9rocsparseL6kernelILi1024ELi32EdiiEEvbbbT3_PS1_NS_15floating_traitsIT1_E6data_tES1_T2_PKS7_S9_PKS1_PKS4_21rocsparse_index_base_S9_S9_SB_PS4_SF_SE_S9_S9_SB_SF_SF_SE_SF_SF_PS6_SG_PKS6_,"axG",@progbits,_ZN9rocsparseL6kernelILi1024ELi32EdiiEEvbbbT3_PS1_NS_15floating_traitsIT1_E6data_tES1_T2_PKS7_S9_PKS1_PKS4_21rocsparse_index_base_S9_S9_SB_PS4_SF_SE_S9_S9_SB_SF_SF_SE_SF_SF_PS6_SG_PKS6_,comdat
	.globl	_ZN9rocsparseL6kernelILi1024ELi32EdiiEEvbbbT3_PS1_NS_15floating_traitsIT1_E6data_tES1_T2_PKS7_S9_PKS1_PKS4_21rocsparse_index_base_S9_S9_SB_PS4_SF_SE_S9_S9_SB_SF_SF_SE_SF_SF_PS6_SG_PKS6_ ; -- Begin function _ZN9rocsparseL6kernelILi1024ELi32EdiiEEvbbbT3_PS1_NS_15floating_traitsIT1_E6data_tES1_T2_PKS7_S9_PKS1_PKS4_21rocsparse_index_base_S9_S9_SB_PS4_SF_SE_S9_S9_SB_SF_SF_SE_SF_SF_PS6_SG_PKS6_
	.p2align	8
	.type	_ZN9rocsparseL6kernelILi1024ELi32EdiiEEvbbbT3_PS1_NS_15floating_traitsIT1_E6data_tES1_T2_PKS7_S9_PKS1_PKS4_21rocsparse_index_base_S9_S9_SB_PS4_SF_SE_S9_S9_SB_SF_SF_SE_SF_SF_PS6_SG_PKS6_,@function
_ZN9rocsparseL6kernelILi1024ELi32EdiiEEvbbbT3_PS1_NS_15floating_traitsIT1_E6data_tES1_T2_PKS7_S9_PKS1_PKS4_21rocsparse_index_base_S9_S9_SB_PS4_SF_SE_S9_S9_SB_SF_SF_SE_SF_SF_PS6_SG_PKS6_: ; @_ZN9rocsparseL6kernelILi1024ELi32EdiiEEvbbbT3_PS1_NS_15floating_traitsIT1_E6data_tES1_T2_PKS7_S9_PKS1_PKS4_21rocsparse_index_base_S9_S9_SB_PS4_SF_SE_S9_S9_SB_SF_SF_SE_SF_SF_PS6_SG_PKS6_
; %bb.0:
	s_load_dword s0, s[4:5], 0x0
	s_load_dwordx2 s[64:65], s[4:5], 0x0
	s_load_dwordx4 s[8:11], s[4:5], 0xb8
	s_load_dwordx4 s[12:15], s[4:5], 0x8
	s_load_dword s33, s[4:5], 0x18
	s_waitcnt lgkmcnt(0)
	s_bitcmp1_b32 s0, 0
	s_cselect_b64 s[62:63], -1, 0
	s_bitcmp1_b32 s0, 8
                                        ; implicit-def: $vgpr46 : SGPR spill to VGPR lane
	s_cselect_b64 s[60:61], -1, 0
	s_bitcmp1_b32 s64, 16
	v_mov_b32_e32 v3, 0
	v_writelane_b32 v46, s12, 0
	s_cselect_b64 s[34:35], -1, 0
	v_lshrrev_b32_e32 v26, 5, v0
	s_lshl_b32 s29, s6, 10
	v_lshlrev_b32_e32 v29, 3, v0
	v_mov_b32_e32 v4, v3
	v_writelane_b32 v46, s13, 1
	v_or_b32_e32 v28, s29, v26
	ds_write_b64 v29, v[3:4]
	s_cmp_gt_i32 s65, 0
	v_mov_b32_e32 v4, 0
	v_mov_b32_e32 v1, 0
	v_writelane_b32 v46, s14, 2
	v_and_b32_e32 v27, 31, v0
	s_mov_b32 s54, 0
	v_cmp_gt_i32_e32 vcc, s33, v28
	s_cselect_b64 s[0:1], -1, 0
	v_mov_b32_e32 v5, 0
	v_mov_b32_e32 v2, 0
	v_writelane_b32 v46, s15, 3
	s_waitcnt lgkmcnt(0)
	s_barrier
	s_and_b64 s[0:1], s[0:1], vcc
	s_mov_b64 s[2:3], exec
	v_writelane_b32 v46, s2, 4
	s_and_b64 s[0:1], s[2:3], s[0:1]
	v_writelane_b32 v46, s3, 5
	s_mov_b64 exec, s[0:1]
	s_cbranch_execz .LBB26_136
; %bb.1:
	v_writelane_b32 v46, s8, 6
	s_load_dwordx2 s[68:69], s[4:5], 0xc8
	s_load_dwordx4 s[56:59], s[4:5], 0xa8
	s_load_dwordx8 s[20:27], s[4:5], 0x78
	s_load_dwordx8 s[36:43], s[4:5], 0x48
	v_writelane_b32 v46, s9, 7
	s_load_dword s55, s[4:5], 0x40
	s_load_dwordx2 s[72:73], s[4:5], 0x68
	s_load_dword s64, s[4:5], 0x70
	s_load_dwordx2 s[74:75], s[4:5], 0x98
	s_load_dword s28, s[4:5], 0xa0
	v_writelane_b32 v46, s10, 8
	s_load_dwordx8 s[44:51], s[4:5], 0x20
	v_writelane_b32 v46, s11, 9
	s_xor_b64 s[0:1], s[60:61], -1
	v_writelane_b32 v46, s0, 10
	s_and_b64 s[16:17], s[60:61], s[34:35]
	v_writelane_b32 v46, s1, 11
	s_addk_i32 s29, 0x400
	s_xor_b64 s[16:17], s[16:17], -1
	v_mov_b32_e32 v1, 0
	v_mov_b32_e32 v4, 0
	s_waitcnt lgkmcnt(0)
	v_subrev_u32_e32 v30, s55, v27
	v_cmp_gt_u32_e64 s[0:1], s29, v28
	v_cmp_eq_u32_e64 s[2:3], 31, v27
	v_lshlrev_b32_e32 v31, 3, v26
	v_cmp_gt_u32_e64 s[18:19], 16, v0
	v_cmp_gt_u32_e64 s[6:7], 8, v0
	;; [unrolled: 1-line block ×4, first 2 shown]
	v_cmp_eq_u32_e64 s[12:13], 0, v0
	v_subrev_u32_e32 v32, s64, v27
	v_subrev_u32_e32 v33, s28, v27
	v_cmp_eq_u32_e64 s[14:15], 0, v27
	v_writelane_b32 v46, s16, 12
	v_mov_b32_e32 v2, 0
	s_mov_b64 s[78:79], 0
	v_mov_b32_e32 v7, 0
	v_mov_b32_e32 v5, 0
	s_movk_i32 s30, 0x1f8
	v_writelane_b32 v46, s17, 13
	s_branch .LBB26_3
.LBB26_2:                               ;   in Loop: Header=BB26_3 Depth=1
	s_or_b64 exec, exec, s[4:5]
	s_and_b64 s[4:5], exec, s[16:17]
	s_or_b64 s[78:79], s[4:5], s[78:79]
	s_andn2_b64 exec, exec, s[78:79]
	s_cbranch_execz .LBB26_135
.LBB26_3:                               ; =>This Loop Header: Depth=1
                                        ;     Child Loop BB26_7 Depth 2
                                        ;       Child Loop BB26_12 Depth 3
                                        ;         Child Loop BB26_16 Depth 4
                                        ;         Child Loop BB26_37 Depth 4
	;; [unrolled: 1-line block ×5, first 2 shown]
                                        ;     Child Loop BB26_114 Depth 2
                                        ;       Child Loop BB26_117 Depth 3
                                        ;       Child Loop BB26_120 Depth 3
	s_mov_b32 s31, 0
	v_cndmask_b32_e64 v2, v2, 0, s[60:61]
	v_cndmask_b32_e64 v1, v1, 0, s[60:61]
	;; [unrolled: 1-line block ×4, first 2 shown]
	s_branch .LBB26_7
.LBB26_4:                               ;   in Loop: Header=BB26_7 Depth=2
	s_or_b64 exec, exec, s[84:85]
.LBB26_5:                               ;   in Loop: Header=BB26_7 Depth=2
	s_or_b64 exec, exec, s[82:83]
.LBB26_6:                               ;   in Loop: Header=BB26_7 Depth=2
	s_or_b64 exec, exec, s[80:81]
	s_add_i32 s31, s31, 1
	s_cmp_eq_u32 s31, 32
	s_cbranch_scc1 .LBB26_83
.LBB26_7:                               ;   Parent Loop BB26_3 Depth=1
                                        ; =>  This Loop Header: Depth=2
                                        ;       Child Loop BB26_12 Depth 3
                                        ;         Child Loop BB26_16 Depth 4
                                        ;         Child Loop BB26_37 Depth 4
	;; [unrolled: 1-line block ×5, first 2 shown]
	v_lshl_add_u32 v8, s31, 5, v28
	v_cmp_gt_i32_e32 vcc, s33, v8
	s_and_saveexec_b64 s[80:81], vcc
	s_cbranch_execz .LBB26_6
; %bb.8:                                ;   in Loop: Header=BB26_7 Depth=2
	v_ashrrev_i32_e32 v9, 31, v8
	v_lshlrev_b64 v[10:11], 2, v[8:9]
	v_mov_b32_e32 v3, s45
	v_add_co_u32_e32 v12, vcc, s44, v10
	v_addc_co_u32_e32 v13, vcc, v3, v11, vcc
	global_load_dword v3, v[12:13], off
	v_mov_b32_e32 v6, s47
	v_add_co_u32_e32 v12, vcc, s46, v10
	v_addc_co_u32_e32 v13, vcc, v6, v11, vcc
	global_load_dword v6, v[12:13], off
	s_waitcnt vmcnt(1)
	v_add_u32_e32 v9, v30, v3
	s_waitcnt vmcnt(0)
	v_subrev_u32_e32 v3, s55, v6
	v_cmp_lt_i32_e32 vcc, v9, v3
	s_and_saveexec_b64 s[82:83], vcc
	s_cbranch_execz .LBB26_5
; %bb.9:                                ;   in Loop: Header=BB26_7 Depth=2
	v_mov_b32_e32 v6, s39
	v_add_co_u32_e32 v12, vcc, s38, v10
	v_addc_co_u32_e32 v13, vcc, v6, v11, vcc
	v_mov_b32_e32 v6, s37
	v_add_co_u32_e32 v10, vcc, s36, v10
	v_addc_co_u32_e32 v11, vcc, v6, v11, vcc
	global_load_dword v6, v[10:11], off
	s_nop 0
	global_load_dword v10, v[12:13], off
	v_mov_b32_e32 v17, s41
	v_mov_b32_e32 v18, s43
	s_mov_b64 s[84:85], 0
	s_waitcnt vmcnt(1)
	v_subrev_u32_e32 v11, s64, v6
	v_ashrrev_i32_e32 v12, 31, v11
	v_lshlrev_b64 v[13:14], 2, v[11:12]
	v_lshlrev_b64 v[15:16], 3, v[11:12]
	v_add_co_u32_e32 v35, vcc, s40, v13
	v_addc_co_u32_e32 v36, vcc, v17, v14, vcc
	s_waitcnt vmcnt(0)
	v_sub_u32_e32 v34, v10, v6
	v_add_co_u32_e32 v37, vcc, s42, v15
	v_cmp_lt_i32_e64 s[16:17], 0, v34
	v_addc_co_u32_e32 v38, vcc, v18, v16, vcc
	s_branch .LBB26_12
.LBB26_10:                              ;   in Loop: Header=BB26_12 Depth=3
	s_or_b64 exec, exec, s[52:53]
.LBB26_11:                              ;   in Loop: Header=BB26_12 Depth=3
	s_or_b64 exec, exec, s[4:5]
	v_add_u32_e32 v9, 32, v9
	v_cmp_ge_i32_e32 vcc, v9, v3
	s_or_b64 s[84:85], vcc, s[84:85]
	s_andn2_b64 exec, exec, s[84:85]
	s_cbranch_execz .LBB26_4
.LBB26_12:                              ;   Parent Loop BB26_3 Depth=1
                                        ;     Parent Loop BB26_7 Depth=2
                                        ; =>    This Loop Header: Depth=3
                                        ;         Child Loop BB26_16 Depth 4
                                        ;         Child Loop BB26_37 Depth 4
	;; [unrolled: 1-line block ×5, first 2 shown]
	v_ashrrev_i32_e32 v10, 31, v9
	v_lshlrev_b64 v[12:13], 2, v[9:10]
	v_mov_b32_e32 v6, s49
	v_add_co_u32_e32 v12, vcc, s48, v12
	v_addc_co_u32_e32 v13, vcc, v6, v13, vcc
	global_load_dword v6, v[12:13], off
	v_mov_b32_e32 v17, s21
	v_mov_b32_e32 v18, s23
	;; [unrolled: 1-line block ×3, first 2 shown]
	s_waitcnt vmcnt(0)
	v_subrev_u32_e32 v12, s55, v6
	v_ashrrev_i32_e32 v13, 31, v12
	v_lshlrev_b64 v[14:15], 2, v[12:13]
	v_add_co_u32_e32 v16, vcc, s20, v14
	v_addc_co_u32_e32 v17, vcc, v17, v15, vcc
	v_add_co_u32_e32 v14, vcc, s22, v14
	v_addc_co_u32_e32 v15, vcc, v18, v15, vcc
	global_load_dword v6, v[16:17], off
	s_nop 0
	global_load_dword v16, v[14:15], off
	v_mov_b32_e32 v14, 0
	v_mov_b32_e32 v15, 0
	s_waitcnt vmcnt(1)
	v_subrev_u32_e32 v18, s28, v6
	s_waitcnt vmcnt(0)
	v_sub_u32_e32 v39, v16, v6
	v_mov_b32_e32 v6, v19
	s_and_saveexec_b64 s[4:5], s[16:17]
	s_cbranch_execz .LBB26_20
; %bb.13:                               ;   in Loop: Header=BB26_12 Depth=3
	v_ashrrev_i32_e32 v19, 31, v18
	v_lshlrev_b64 v[14:15], 2, v[18:19]
	v_mov_b32_e32 v6, s25
	v_add_co_u32_e32 v16, vcc, s24, v14
	v_addc_co_u32_e32 v17, vcc, v6, v15, vcc
	v_lshlrev_b64 v[14:15], 3, v[18:19]
	v_mov_b32_e32 v6, s27
	v_add_co_u32_e32 v21, vcc, s26, v14
	v_addc_co_u32_e32 v22, vcc, v6, v15, vcc
	v_mov_b32_e32 v14, 0
	v_mov_b32_e32 v6, 0
	;; [unrolled: 1-line block ×3, first 2 shown]
	s_mov_b64 s[86:87], 0
	v_mov_b32_e32 v19, v6
                                        ; implicit-def: $sgpr88_sgpr89
	s_branch .LBB26_16
.LBB26_14:                              ;   in Loop: Header=BB26_16 Depth=4
	s_or_b64 exec, exec, s[70:71]
	v_cmp_le_i32_e32 vcc, v23, v24
	v_addc_co_u32_e32 v6, vcc, 0, v6, vcc
	v_cmp_ge_i32_e32 vcc, v23, v24
	v_addc_co_u32_e32 v19, vcc, 0, v19, vcc
	v_cmp_ge_i32_e32 vcc, v6, v34
	s_andn2_b64 s[52:53], s[88:89], exec
	s_and_b64 s[70:71], vcc, exec
	s_or_b64 s[88:89], s[52:53], s[70:71]
.LBB26_15:                              ;   in Loop: Header=BB26_16 Depth=4
	s_or_b64 exec, exec, s[66:67]
	s_and_b64 s[52:53], exec, s[88:89]
	s_or_b64 s[86:87], s[52:53], s[86:87]
	s_andn2_b64 exec, exec, s[86:87]
	s_cbranch_execz .LBB26_19
.LBB26_16:                              ;   Parent Loop BB26_3 Depth=1
                                        ;     Parent Loop BB26_7 Depth=2
                                        ;       Parent Loop BB26_12 Depth=3
                                        ; =>      This Inner Loop Header: Depth=4
	v_cmp_lt_i32_e32 vcc, v19, v39
	s_or_b64 s[88:89], s[88:89], exec
	s_and_saveexec_b64 s[66:67], vcc
	s_cbranch_execz .LBB26_15
; %bb.17:                               ;   in Loop: Header=BB26_16 Depth=4
	v_lshlrev_b64 v[23:24], 2, v[6:7]
	v_mov_b32_e32 v20, v7
	v_add_co_u32_e32 v23, vcc, v35, v23
	v_addc_co_u32_e32 v24, vcc, v36, v24, vcc
	global_load_dword v25, v[23:24], off
	v_lshlrev_b64 v[23:24], 2, v[19:20]
	v_add_co_u32_e32 v23, vcc, v16, v23
	v_addc_co_u32_e32 v24, vcc, v17, v24, vcc
	global_load_dword v24, v[23:24], off
	s_waitcnt vmcnt(1)
	v_subrev_u32_e32 v23, s64, v25
	s_waitcnt vmcnt(0)
	v_subrev_u32_e32 v24, s28, v24
	v_cmp_eq_u32_e32 vcc, v23, v24
	s_and_saveexec_b64 s[70:71], vcc
	s_cbranch_execz .LBB26_14
; %bb.18:                               ;   in Loop: Header=BB26_16 Depth=4
	v_lshlrev_b64 v[40:41], 3, v[6:7]
	v_lshlrev_b64 v[42:43], 3, v[19:20]
	v_add_co_u32_e32 v40, vcc, v37, v40
	v_addc_co_u32_e32 v41, vcc, v38, v41, vcc
	v_add_co_u32_e32 v42, vcc, v21, v42
	v_addc_co_u32_e32 v43, vcc, v22, v43, vcc
	global_load_dwordx2 v[40:41], v[40:41], off
	s_nop 0
	global_load_dwordx2 v[42:43], v[42:43], off
	s_waitcnt vmcnt(0)
	v_fma_f64 v[14:15], v[40:41], v[42:43], v[14:15]
	s_branch .LBB26_14
.LBB26_19:                              ;   in Loop: Header=BB26_12 Depth=3
	s_or_b64 exec, exec, s[86:87]
.LBB26_20:                              ;   in Loop: Header=BB26_12 Depth=3
	s_or_b64 exec, exec, s[4:5]
	v_lshlrev_b64 v[16:17], 3, v[9:10]
	v_mov_b32_e32 v10, s51
	v_add_co_u32_e32 v16, vcc, s50, v16
	v_addc_co_u32_e32 v17, vcc, v10, v17, vcc
	global_load_dwordx2 v[16:17], v[16:17], off
	v_cmp_le_i32_e64 s[4:5], v8, v12
	v_cmp_gt_i32_e32 vcc, v8, v12
	s_waitcnt vmcnt(0)
	v_add_f64 v[20:21], v[16:17], -v[14:15]
	s_and_saveexec_b64 s[66:67], vcc
	s_cbranch_execnz .LBB26_23
; %bb.21:                               ;   in Loop: Header=BB26_12 Depth=3
	s_or_b64 exec, exec, s[66:67]
	v_cmp_class_f64_e64 s[86:87], v[20:21], s30
	s_and_saveexec_b64 s[88:89], s[86:87]
	s_cbranch_execnz .LBB26_26
.LBB26_22:                              ;   in Loop: Header=BB26_12 Depth=3
	s_or_b64 exec, exec, s[88:89]
	s_and_b64 s[52:53], s[34:35], s[86:87]
	s_and_saveexec_b64 s[4:5], s[52:53]
	s_cbranch_execz .LBB26_11
	s_branch .LBB26_61
.LBB26_23:                              ;   in Loop: Header=BB26_12 Depth=3
	v_lshlrev_b64 v[22:23], 3, v[12:13]
	v_mov_b32_e32 v10, s57
	v_add_co_u32_e32 v22, vcc, s56, v22
	v_addc_co_u32_e32 v23, vcc, v10, v23, vcc
	global_load_dwordx2 v[22:23], v[22:23], off
	v_mov_b32_e32 v24, 0
	v_mov_b32_e32 v25, 0
	s_waitcnt vmcnt(0)
	v_cmp_lg_f64_e32 vcc, 0, v[22:23]
	s_and_saveexec_b64 s[70:71], vcc
	s_cbranch_execz .LBB26_25
; %bb.24:                               ;   in Loop: Header=BB26_12 Depth=3
	v_div_scale_f64 v[24:25], s[52:53], v[22:23], v[22:23], v[20:21]
	v_div_scale_f64 v[44:45], vcc, v[20:21], v[22:23], v[20:21]
	v_rcp_f64_e32 v[40:41], v[24:25]
	v_fma_f64 v[42:43], -v[24:25], v[40:41], 1.0
	v_fma_f64 v[40:41], v[40:41], v[42:43], v[40:41]
	v_fma_f64 v[42:43], -v[24:25], v[40:41], 1.0
	v_fma_f64 v[40:41], v[40:41], v[42:43], v[40:41]
	v_mul_f64 v[42:43], v[44:45], v[40:41]
	v_fma_f64 v[24:25], -v[24:25], v[42:43], v[44:45]
	v_div_fmas_f64 v[24:25], v[24:25], v[40:41], v[42:43]
	v_div_fixup_f64 v[24:25], v[24:25], v[22:23], v[20:21]
.LBB26_25:                              ;   in Loop: Header=BB26_12 Depth=3
	s_or_b64 exec, exec, s[70:71]
	v_mov_b32_e32 v20, v24
	v_mov_b32_e32 v21, v25
	s_or_b64 exec, exec, s[66:67]
	v_cmp_class_f64_e64 s[86:87], v[20:21], s30
	s_and_saveexec_b64 s[88:89], s[86:87]
	s_cbranch_execz .LBB26_22
.LBB26_26:                              ;   in Loop: Header=BB26_12 Depth=3
	s_and_saveexec_b64 s[52:53], s[4:5]
	s_xor_b64 s[4:5], exec, s[52:53]
	s_cbranch_execz .LBB26_47
; %bb.27:                               ;   in Loop: Header=BB26_12 Depth=3
	v_cmp_ge_i32_e32 vcc, v8, v12
	s_and_saveexec_b64 s[52:53], vcc
	s_xor_b64 s[66:67], exec, s[52:53]
	s_cbranch_execz .LBB26_33
; %bb.28:                               ;   in Loop: Header=BB26_12 Depth=3
	v_lshlrev_b64 v[22:23], 3, v[12:13]
	v_mov_b32_e32 v10, s59
	v_add_co_u32_e32 v24, vcc, s58, v22
	v_addc_co_u32_e32 v25, vcc, v10, v23, vcc
	s_andn2_b64 vcc, exec, s[60:61]
	global_store_dwordx2 v[24:25], v[20:21], off
	s_cbranch_vccnz .LBB26_32
; %bb.29:                               ;   in Loop: Header=BB26_12 Depth=3
	v_mov_b32_e32 v10, s57
	v_add_co_u32_e32 v22, vcc, s56, v22
	v_addc_co_u32_e32 v23, vcc, v10, v23, vcc
	global_load_dwordx2 v[22:23], v[22:23], off
	s_waitcnt vmcnt(0)
	v_add_f64 v[20:21], v[22:23], -v[20:21]
	v_cmp_class_f64_e64 s[70:71], v[20:21], s30
	s_and_saveexec_b64 s[52:53], s[70:71]
	s_cbranch_execz .LBB26_31
; %bb.30:                               ;   in Loop: Header=BB26_12 Depth=3
	v_cmp_lt_f64_e64 vcc, v[1:2], |v[20:21]|
	v_and_b32_e32 v10, 0x7fffffff, v21
	v_cndmask_b32_e32 v2, v2, v10, vcc
	v_cndmask_b32_e32 v1, v1, v20, vcc
.LBB26_31:                              ;   in Loop: Header=BB26_12 Depth=3
	s_or_b64 exec, exec, s[52:53]
.LBB26_32:                              ;   in Loop: Header=BB26_12 Depth=3
                                        ; implicit-def: $vgpr20_vgpr21
.LBB26_33:                              ;   in Loop: Header=BB26_12 Depth=3
	s_andn2_saveexec_b64 s[90:91], s[66:67]
	s_cbranch_execz .LBB26_46
; %bb.34:                               ;   in Loop: Header=BB26_12 Depth=3
	v_cmp_lt_i32_e32 vcc, v19, v39
	s_and_saveexec_b64 s[92:93], vcc
	s_cbranch_execz .LBB26_45
; %bb.35:                               ;   in Loop: Header=BB26_12 Depth=3
	s_mov_b64 s[94:95], 0
	v_mov_b32_e32 v10, v19
                                        ; implicit-def: $sgpr66_sgpr67
                                        ; implicit-def: $sgpr76_sgpr77
                                        ; implicit-def: $sgpr70_sgpr71
	s_branch .LBB26_37
.LBB26_36:                              ;   in Loop: Header=BB26_37 Depth=4
	s_or_b64 exec, exec, s[52:53]
	s_and_b64 s[52:53], exec, s[76:77]
	s_or_b64 s[94:95], s[52:53], s[94:95]
	s_andn2_b64 s[52:53], s[66:67], exec
	s_and_b64 s[66:67], s[70:71], exec
	s_or_b64 s[66:67], s[52:53], s[66:67]
	s_andn2_b64 exec, exec, s[94:95]
	s_cbranch_execz .LBB26_39
.LBB26_37:                              ;   Parent Loop BB26_3 Depth=1
                                        ;     Parent Loop BB26_7 Depth=2
                                        ;       Parent Loop BB26_12 Depth=3
                                        ; =>      This Inner Loop Header: Depth=4
	v_add_u32_e32 v22, v18, v10
	v_ashrrev_i32_e32 v23, 31, v22
	v_lshlrev_b64 v[24:25], 2, v[22:23]
	v_mov_b32_e32 v40, s25
	v_add_co_u32_e32 v24, vcc, s24, v24
	v_addc_co_u32_e32 v25, vcc, v40, v25, vcc
	global_load_dword v24, v[24:25], off
	s_or_b64 s[70:71], s[70:71], exec
	s_or_b64 s[76:77], s[76:77], exec
	s_waitcnt vmcnt(0)
	v_subrev_u32_e32 v24, s28, v24
	v_cmp_ne_u32_e32 vcc, v24, v8
	s_and_saveexec_b64 s[52:53], vcc
	s_cbranch_execz .LBB26_36
; %bb.38:                               ;   in Loop: Header=BB26_37 Depth=4
	v_add_u32_e32 v10, 1, v10
	v_cmp_ge_i32_e32 vcc, v10, v39
	s_andn2_b64 s[76:77], s[76:77], exec
	s_and_b64 vcc, vcc, exec
	s_andn2_b64 s[70:71], s[70:71], exec
	s_or_b64 s[76:77], s[76:77], vcc
	s_branch .LBB26_36
.LBB26_39:                              ;   in Loop: Header=BB26_12 Depth=3
	s_or_b64 exec, exec, s[94:95]
	s_and_saveexec_b64 s[52:53], s[66:67]
	s_xor_b64 s[66:67], exec, s[52:53]
	s_cbranch_execz .LBB26_44
; %bb.40:                               ;   in Loop: Header=BB26_12 Depth=3
	v_lshlrev_b64 v[22:23], 3, v[22:23]
	v_mov_b32_e32 v10, s75
	v_add_co_u32_e32 v24, vcc, s74, v22
	v_addc_co_u32_e32 v25, vcc, v10, v23, vcc
	s_andn2_b64 vcc, exec, s[60:61]
	global_store_dwordx2 v[24:25], v[20:21], off
	s_cbranch_vccnz .LBB26_44
; %bb.41:                               ;   in Loop: Header=BB26_12 Depth=3
	v_mov_b32_e32 v10, s27
	v_add_co_u32_e32 v22, vcc, s26, v22
	v_addc_co_u32_e32 v23, vcc, v10, v23, vcc
	global_load_dwordx2 v[22:23], v[22:23], off
	s_waitcnt vmcnt(0)
	v_add_f64 v[20:21], v[22:23], -v[20:21]
	v_cmp_class_f64_e64 s[70:71], v[20:21], s30
	s_and_saveexec_b64 s[52:53], s[70:71]
	s_cbranch_execz .LBB26_43
; %bb.42:                               ;   in Loop: Header=BB26_12 Depth=3
	v_cmp_lt_f64_e64 vcc, v[1:2], |v[20:21]|
	v_and_b32_e32 v10, 0x7fffffff, v21
	v_cndmask_b32_e32 v2, v2, v10, vcc
	v_cndmask_b32_e32 v1, v1, v20, vcc
.LBB26_43:                              ;   in Loop: Header=BB26_12 Depth=3
	s_or_b64 exec, exec, s[52:53]
.LBB26_44:                              ;   in Loop: Header=BB26_12 Depth=3
	s_or_b64 exec, exec, s[66:67]
.LBB26_45:                              ;   in Loop: Header=BB26_12 Depth=3
	s_or_b64 exec, exec, s[92:93]
.LBB26_46:                              ;   in Loop: Header=BB26_12 Depth=3
	s_or_b64 exec, exec, s[90:91]
                                        ; implicit-def: $vgpr20_vgpr21
.LBB26_47:                              ;   in Loop: Header=BB26_12 Depth=3
	s_andn2_saveexec_b64 s[4:5], s[4:5]
	s_cbranch_execz .LBB26_60
; %bb.48:                               ;   in Loop: Header=BB26_12 Depth=3
	v_cmp_lt_i32_e32 vcc, v6, v34
	s_and_saveexec_b64 s[90:91], vcc
	s_cbranch_execz .LBB26_59
; %bb.49:                               ;   in Loop: Header=BB26_12 Depth=3
	s_mov_b64 s[92:93], 0
	v_mov_b32_e32 v10, v6
                                        ; implicit-def: $sgpr66_sgpr67
                                        ; implicit-def: $sgpr76_sgpr77
                                        ; implicit-def: $sgpr70_sgpr71
	s_branch .LBB26_51
.LBB26_50:                              ;   in Loop: Header=BB26_51 Depth=4
	s_or_b64 exec, exec, s[94:95]
	s_and_b64 s[52:53], exec, s[76:77]
	s_or_b64 s[92:93], s[52:53], s[92:93]
	s_andn2_b64 s[52:53], s[66:67], exec
	s_and_b64 s[66:67], s[70:71], exec
	s_or_b64 s[66:67], s[52:53], s[66:67]
	s_andn2_b64 exec, exec, s[92:93]
	s_cbranch_execz .LBB26_53
.LBB26_51:                              ;   Parent Loop BB26_3 Depth=1
                                        ;     Parent Loop BB26_7 Depth=2
                                        ;       Parent Loop BB26_12 Depth=3
                                        ; =>      This Inner Loop Header: Depth=4
	v_add_u32_e32 v22, v11, v10
	v_ashrrev_i32_e32 v23, 31, v22
	v_lshlrev_b64 v[24:25], 2, v[22:23]
	v_mov_b32_e32 v40, s41
	v_add_co_u32_e32 v24, vcc, s40, v24
	v_addc_co_u32_e32 v25, vcc, v40, v25, vcc
	global_load_dword v24, v[24:25], off
	s_or_b64 s[70:71], s[70:71], exec
	s_or_b64 s[76:77], s[76:77], exec
	s_waitcnt vmcnt(0)
	v_subrev_u32_e32 v24, s64, v24
	v_cmp_ne_u32_e32 vcc, v24, v12
	s_and_saveexec_b64 s[94:95], vcc
	s_cbranch_execz .LBB26_50
; %bb.52:                               ;   in Loop: Header=BB26_51 Depth=4
	v_add_u32_e32 v10, 1, v10
	v_cmp_ge_i32_e32 vcc, v10, v34
	s_andn2_b64 s[52:53], s[76:77], exec
	s_and_b64 s[76:77], vcc, exec
	s_andn2_b64 s[70:71], s[70:71], exec
	s_or_b64 s[76:77], s[52:53], s[76:77]
	s_branch .LBB26_50
.LBB26_53:                              ;   in Loop: Header=BB26_12 Depth=3
	s_or_b64 exec, exec, s[92:93]
	s_and_saveexec_b64 s[52:53], s[66:67]
	s_xor_b64 s[66:67], exec, s[52:53]
	s_cbranch_execz .LBB26_58
; %bb.54:                               ;   in Loop: Header=BB26_12 Depth=3
	v_lshlrev_b64 v[22:23], 3, v[22:23]
	v_mov_b32_e32 v10, s73
	v_add_co_u32_e32 v24, vcc, s72, v22
	v_addc_co_u32_e32 v25, vcc, v10, v23, vcc
	s_andn2_b64 vcc, exec, s[60:61]
	global_store_dwordx2 v[24:25], v[20:21], off
	s_cbranch_vccnz .LBB26_58
; %bb.55:                               ;   in Loop: Header=BB26_12 Depth=3
	v_mov_b32_e32 v10, s43
	v_add_co_u32_e32 v22, vcc, s42, v22
	v_addc_co_u32_e32 v23, vcc, v10, v23, vcc
	global_load_dwordx2 v[22:23], v[22:23], off
	s_waitcnt vmcnt(0)
	v_add_f64 v[20:21], v[22:23], -v[20:21]
	v_cmp_class_f64_e64 s[52:53], v[20:21], s30
	s_and_saveexec_b64 s[70:71], s[52:53]
	s_cbranch_execz .LBB26_57
; %bb.56:                               ;   in Loop: Header=BB26_12 Depth=3
	v_cmp_lt_f64_e64 vcc, v[1:2], |v[20:21]|
	v_and_b32_e32 v10, 0x7fffffff, v21
	v_cndmask_b32_e32 v2, v2, v10, vcc
	v_cndmask_b32_e32 v1, v1, v20, vcc
.LBB26_57:                              ;   in Loop: Header=BB26_12 Depth=3
	s_or_b64 exec, exec, s[70:71]
.LBB26_58:                              ;   in Loop: Header=BB26_12 Depth=3
	s_or_b64 exec, exec, s[66:67]
.LBB26_59:                              ;   in Loop: Header=BB26_12 Depth=3
	s_or_b64 exec, exec, s[90:91]
.LBB26_60:                              ;   in Loop: Header=BB26_12 Depth=3
	s_or_b64 exec, exec, s[4:5]
	s_or_b64 exec, exec, s[88:89]
	s_and_b64 s[52:53], s[34:35], s[86:87]
	s_and_saveexec_b64 s[4:5], s[52:53]
	s_cbranch_execz .LBB26_11
.LBB26_61:                              ;   in Loop: Header=BB26_12 Depth=3
	v_cmp_ge_i32_e32 vcc, v19, v39
	s_and_saveexec_b64 s[52:53], vcc
	s_xor_b64 s[86:87], exec, s[52:53]
	s_cbranch_execnz .LBB26_67
; %bb.62:                               ;   in Loop: Header=BB26_12 Depth=3
	s_andn2_saveexec_b64 s[86:87], s[86:87]
	s_cbranch_execnz .LBB26_76
.LBB26_63:                              ;   in Loop: Header=BB26_12 Depth=3
	s_or_b64 exec, exec, s[86:87]
	v_cmp_eq_u32_e32 vcc, v8, v12
	s_and_saveexec_b64 s[52:53], vcc
	s_cbranch_execz .LBB26_65
.LBB26_64:                              ;   in Loop: Header=BB26_12 Depth=3
	v_lshlrev_b64 v[12:13], 3, v[12:13]
	v_mov_b32_e32 v6, s57
	v_add_co_u32_e32 v12, vcc, s56, v12
	v_addc_co_u32_e32 v13, vcc, v6, v13, vcc
	global_load_dwordx2 v[12:13], v[12:13], off
	s_waitcnt vmcnt(0)
	v_add_f64 v[14:15], v[14:15], v[12:13]
.LBB26_65:                              ;   in Loop: Header=BB26_12 Depth=3
	s_or_b64 exec, exec, s[52:53]
	v_add_f64 v[12:13], v[16:17], -v[14:15]
	v_cmp_class_f64_e64 s[66:67], v[12:13], s30
	s_and_saveexec_b64 s[52:53], s[66:67]
	s_cbranch_execz .LBB26_10
; %bb.66:                               ;   in Loop: Header=BB26_12 Depth=3
	v_cmp_lt_f64_e64 vcc, v[4:5], |v[12:13]|
	v_and_b32_e32 v6, 0x7fffffff, v13
	v_cndmask_b32_e32 v5, v5, v6, vcc
	v_cndmask_b32_e32 v4, v4, v12, vcc
	s_branch .LBB26_10
.LBB26_67:                              ;   in Loop: Header=BB26_12 Depth=3
	v_cmp_lt_i32_e32 vcc, v6, v34
	s_and_saveexec_b64 s[88:89], vcc
	s_cbranch_execz .LBB26_75
; %bb.68:                               ;   in Loop: Header=BB26_12 Depth=3
	s_mov_b64 s[90:91], 0
                                        ; implicit-def: $sgpr66_sgpr67
                                        ; implicit-def: $sgpr76_sgpr77
                                        ; implicit-def: $sgpr70_sgpr71
	s_branch .LBB26_70
.LBB26_69:                              ;   in Loop: Header=BB26_70 Depth=4
	s_or_b64 exec, exec, s[52:53]
	s_and_b64 s[52:53], exec, s[76:77]
	s_or_b64 s[90:91], s[52:53], s[90:91]
	s_andn2_b64 s[52:53], s[66:67], exec
	s_and_b64 s[66:67], s[70:71], exec
	s_or_b64 s[66:67], s[52:53], s[66:67]
	s_andn2_b64 exec, exec, s[90:91]
	s_cbranch_execz .LBB26_72
.LBB26_70:                              ;   Parent Loop BB26_3 Depth=1
                                        ;     Parent Loop BB26_7 Depth=2
                                        ;       Parent Loop BB26_12 Depth=3
                                        ; =>      This Inner Loop Header: Depth=4
	v_add_u32_e32 v18, v11, v6
	v_ashrrev_i32_e32 v19, 31, v18
	v_lshlrev_b64 v[20:21], 2, v[18:19]
	v_mov_b32_e32 v10, s41
	v_add_co_u32_e32 v20, vcc, s40, v20
	v_addc_co_u32_e32 v21, vcc, v10, v21, vcc
	global_load_dword v10, v[20:21], off
	s_or_b64 s[70:71], s[70:71], exec
	s_or_b64 s[76:77], s[76:77], exec
	s_waitcnt vmcnt(0)
	v_subrev_u32_e32 v10, s64, v10
	v_cmp_ne_u32_e32 vcc, v10, v12
	s_and_saveexec_b64 s[52:53], vcc
	s_cbranch_execz .LBB26_69
; %bb.71:                               ;   in Loop: Header=BB26_70 Depth=4
	v_add_u32_e32 v6, 1, v6
	v_cmp_ge_i32_e32 vcc, v6, v34
	s_andn2_b64 s[76:77], s[76:77], exec
	s_and_b64 s[92:93], vcc, exec
	s_andn2_b64 s[70:71], s[70:71], exec
	s_or_b64 s[76:77], s[76:77], s[92:93]
	s_branch .LBB26_69
.LBB26_72:                              ;   in Loop: Header=BB26_12 Depth=3
	s_or_b64 exec, exec, s[90:91]
	s_and_saveexec_b64 s[52:53], s[66:67]
	s_xor_b64 s[66:67], exec, s[52:53]
	s_cbranch_execz .LBB26_74
; %bb.73:                               ;   in Loop: Header=BB26_12 Depth=3
	v_lshlrev_b64 v[18:19], 3, v[18:19]
	v_mov_b32_e32 v6, s43
	v_add_co_u32_e32 v18, vcc, s42, v18
	v_lshlrev_b64 v[20:21], 3, v[12:13]
	v_addc_co_u32_e32 v19, vcc, v6, v19, vcc
	v_mov_b32_e32 v6, s57
	v_add_co_u32_e32 v20, vcc, s56, v20
	v_addc_co_u32_e32 v21, vcc, v6, v21, vcc
	global_load_dwordx2 v[18:19], v[18:19], off
	s_nop 0
	global_load_dwordx2 v[20:21], v[20:21], off
	s_waitcnt vmcnt(0)
	v_fma_f64 v[14:15], v[18:19], v[20:21], v[14:15]
.LBB26_74:                              ;   in Loop: Header=BB26_12 Depth=3
	s_or_b64 exec, exec, s[66:67]
.LBB26_75:                              ;   in Loop: Header=BB26_12 Depth=3
	s_or_b64 exec, exec, s[88:89]
                                        ; implicit-def: $vgpr19
                                        ; implicit-def: $vgpr18
                                        ; implicit-def: $vgpr39
	s_andn2_saveexec_b64 s[86:87], s[86:87]
	s_cbranch_execz .LBB26_63
.LBB26_76:                              ;   in Loop: Header=BB26_12 Depth=3
	s_mov_b64 s[88:89], 0
                                        ; implicit-def: $sgpr66_sgpr67
                                        ; implicit-def: $sgpr76_sgpr77
                                        ; implicit-def: $sgpr70_sgpr71
	s_branch .LBB26_78
.LBB26_77:                              ;   in Loop: Header=BB26_78 Depth=4
	s_or_b64 exec, exec, s[52:53]
	s_and_b64 s[52:53], exec, s[76:77]
	s_or_b64 s[88:89], s[52:53], s[88:89]
	s_andn2_b64 s[52:53], s[66:67], exec
	s_and_b64 s[66:67], s[70:71], exec
	s_or_b64 s[66:67], s[52:53], s[66:67]
	s_andn2_b64 exec, exec, s[88:89]
	s_cbranch_execz .LBB26_80
.LBB26_78:                              ;   Parent Loop BB26_3 Depth=1
                                        ;     Parent Loop BB26_7 Depth=2
                                        ;       Parent Loop BB26_12 Depth=3
                                        ; =>      This Inner Loop Header: Depth=4
	v_add_u32_e32 v20, v18, v19
	v_ashrrev_i32_e32 v21, 31, v20
	v_lshlrev_b64 v[22:23], 2, v[20:21]
	v_mov_b32_e32 v6, s25
	v_add_co_u32_e32 v22, vcc, s24, v22
	v_addc_co_u32_e32 v23, vcc, v6, v23, vcc
	global_load_dword v6, v[22:23], off
	s_or_b64 s[70:71], s[70:71], exec
	s_or_b64 s[76:77], s[76:77], exec
	s_waitcnt vmcnt(0)
	v_subrev_u32_e32 v6, s28, v6
	v_cmp_ne_u32_e32 vcc, v6, v8
	s_and_saveexec_b64 s[52:53], vcc
	s_cbranch_execz .LBB26_77
; %bb.79:                               ;   in Loop: Header=BB26_78 Depth=4
	v_add_u32_e32 v19, 1, v19
	v_cmp_ge_i32_e32 vcc, v19, v39
	s_andn2_b64 s[76:77], s[76:77], exec
	s_and_b64 s[90:91], vcc, exec
	s_andn2_b64 s[70:71], s[70:71], exec
	s_or_b64 s[76:77], s[76:77], s[90:91]
	s_branch .LBB26_77
.LBB26_80:                              ;   in Loop: Header=BB26_12 Depth=3
	s_or_b64 exec, exec, s[88:89]
	s_and_saveexec_b64 s[52:53], s[66:67]
	s_xor_b64 s[52:53], exec, s[52:53]
	s_cbranch_execz .LBB26_82
; %bb.81:                               ;   in Loop: Header=BB26_12 Depth=3
	v_lshlrev_b64 v[18:19], 3, v[20:21]
	v_mov_b32_e32 v6, s27
	v_add_co_u32_e32 v18, vcc, s26, v18
	v_addc_co_u32_e32 v19, vcc, v6, v19, vcc
	global_load_dwordx2 v[18:19], v[18:19], off
	s_waitcnt vmcnt(0)
	v_add_f64 v[14:15], v[14:15], v[18:19]
.LBB26_82:                              ;   in Loop: Header=BB26_12 Depth=3
	s_or_b64 exec, exec, s[52:53]
	s_or_b64 exec, exec, s[86:87]
	v_cmp_eq_u32_e32 vcc, v8, v12
	s_and_saveexec_b64 s[52:53], vcc
	s_cbranch_execnz .LBB26_64
	s_branch .LBB26_65
.LBB26_83:                              ;   in Loop: Header=BB26_3 Depth=1
	s_and_b64 vcc, exec, s[60:61]
	s_cbranch_vccnz .LBB26_86
; %bb.84:                               ;   in Loop: Header=BB26_3 Depth=1
	s_andn2_b64 vcc, exec, s[34:35]
	s_cbranch_vccz .LBB26_99
.LBB26_85:                              ;   in Loop: Header=BB26_3 Depth=1
	s_and_saveexec_b64 s[4:5], s[0:1]
	s_cbranch_execnz .LBB26_112
	s_branch .LBB26_123
.LBB26_86:                              ;   in Loop: Header=BB26_3 Depth=1
	v_mov_b32_dpp v8, v1 row_shr:1 row_mask:0xf bank_mask:0xf
	v_mov_b32_dpp v9, v2 row_shr:1 row_mask:0xf bank_mask:0xf
	v_cmp_lt_f64_e32 vcc, v[1:2], v[8:9]
	v_cndmask_b32_e32 v2, v2, v9, vcc
	v_cndmask_b32_e32 v1, v1, v8, vcc
	s_nop 0
	v_mov_b32_dpp v9, v2 row_shr:2 row_mask:0xf bank_mask:0xf
	v_mov_b32_dpp v8, v1 row_shr:2 row_mask:0xf bank_mask:0xf
	v_cmp_lt_f64_e32 vcc, v[1:2], v[8:9]
	v_cndmask_b32_e32 v2, v2, v9, vcc
	v_cndmask_b32_e32 v1, v1, v8, vcc
	s_nop 0
	;; [unrolled: 6-line block ×4, first 2 shown]
	v_mov_b32_dpp v3, v2 row_bcast:15 row_mask:0xa bank_mask:0xf
	v_mov_b32_dpp v8, v1 row_bcast:15 row_mask:0xa bank_mask:0xf
	s_and_saveexec_b64 s[4:5], s[2:3]
	s_cbranch_execz .LBB26_88
; %bb.87:                               ;   in Loop: Header=BB26_3 Depth=1
	v_mov_b32_e32 v9, v3
	v_cmp_lt_f64_e32 vcc, v[1:2], v[8:9]
	v_cndmask_b32_e32 v2, v2, v3, vcc
	v_cndmask_b32_e32 v1, v1, v8, vcc
	ds_write_b64 v31, v[1:2]
.LBB26_88:                              ;   in Loop: Header=BB26_3 Depth=1
	s_or_b64 exec, exec, s[4:5]
	s_waitcnt vmcnt(0) lgkmcnt(0)
	s_barrier
	s_and_saveexec_b64 s[4:5], s[18:19]
	s_cbranch_execz .LBB26_90
; %bb.89:                               ;   in Loop: Header=BB26_3 Depth=1
	ds_read2_b64 v[8:11], v29 offset1:16
	s_waitcnt lgkmcnt(0)
	v_cmp_lt_f64_e32 vcc, v[8:9], v[10:11]
	v_cndmask_b32_e32 v2, v9, v11, vcc
	v_cndmask_b32_e32 v1, v8, v10, vcc
	ds_write_b64 v29, v[1:2]
.LBB26_90:                              ;   in Loop: Header=BB26_3 Depth=1
	s_or_b64 exec, exec, s[4:5]
	s_waitcnt lgkmcnt(0)
	s_barrier
	s_and_saveexec_b64 s[4:5], s[6:7]
	s_cbranch_execz .LBB26_92
; %bb.91:                               ;   in Loop: Header=BB26_3 Depth=1
	ds_read2_b64 v[8:11], v29 offset1:8
	s_waitcnt lgkmcnt(0)
	v_cmp_lt_f64_e32 vcc, v[8:9], v[10:11]
	v_cndmask_b32_e32 v2, v9, v11, vcc
	v_cndmask_b32_e32 v1, v8, v10, vcc
	ds_write_b64 v29, v[1:2]
.LBB26_92:                              ;   in Loop: Header=BB26_3 Depth=1
	s_or_b64 exec, exec, s[4:5]
	s_waitcnt lgkmcnt(0)
	;; [unrolled: 13-line block ×4, first 2 shown]
	s_barrier
	s_and_saveexec_b64 s[4:5], s[12:13]
	s_cbranch_execz .LBB26_98
; %bb.97:                               ;   in Loop: Header=BB26_3 Depth=1
	ds_read_b128 v[8:11], v7
	s_waitcnt lgkmcnt(0)
	v_cmp_lt_f64_e32 vcc, v[8:9], v[10:11]
	v_cndmask_b32_e32 v2, v9, v11, vcc
	v_cndmask_b32_e32 v1, v8, v10, vcc
	ds_write_b64 v7, v[1:2]
.LBB26_98:                              ;   in Loop: Header=BB26_3 Depth=1
	s_or_b64 exec, exec, s[4:5]
	s_waitcnt lgkmcnt(0)
	s_barrier
	ds_read_b64 v[1:2], v7
	s_load_dwordx2 s[4:5], s[68:69], 0x0
	s_waitcnt lgkmcnt(0)
	v_div_scale_f64 v[8:9], s[16:17], s[4:5], s[4:5], v[1:2]
	v_div_scale_f64 v[14:15], vcc, v[1:2], s[4:5], v[1:2]
	v_rcp_f64_e32 v[10:11], v[8:9]
	v_fma_f64 v[12:13], -v[8:9], v[10:11], 1.0
	v_fma_f64 v[10:11], v[10:11], v[12:13], v[10:11]
	v_fma_f64 v[12:13], -v[8:9], v[10:11], 1.0
	v_fma_f64 v[10:11], v[10:11], v[12:13], v[10:11]
	v_mul_f64 v[12:13], v[14:15], v[10:11]
	v_fma_f64 v[8:9], -v[8:9], v[12:13], v[14:15]
	v_div_fmas_f64 v[8:9], v[8:9], v[10:11], v[12:13]
	v_div_fixup_f64 v[1:2], v[8:9], s[4:5], v[1:2]
	s_andn2_b64 vcc, exec, s[34:35]
	s_cbranch_vccnz .LBB26_85
.LBB26_99:                              ;   in Loop: Header=BB26_3 Depth=1
	v_mov_b32_dpp v8, v4 row_shr:1 row_mask:0xf bank_mask:0xf
	v_mov_b32_dpp v9, v5 row_shr:1 row_mask:0xf bank_mask:0xf
	v_cmp_lt_f64_e32 vcc, v[4:5], v[8:9]
	v_cndmask_b32_e32 v5, v5, v9, vcc
	v_cndmask_b32_e32 v4, v4, v8, vcc
	s_nop 0
	v_mov_b32_dpp v9, v5 row_shr:2 row_mask:0xf bank_mask:0xf
	v_mov_b32_dpp v8, v4 row_shr:2 row_mask:0xf bank_mask:0xf
	v_cmp_lt_f64_e32 vcc, v[4:5], v[8:9]
	v_cndmask_b32_e32 v5, v5, v9, vcc
	v_cndmask_b32_e32 v4, v4, v8, vcc
	s_nop 0
	;; [unrolled: 6-line block ×4, first 2 shown]
	v_mov_b32_dpp v8, v4 row_bcast:15 row_mask:0xa bank_mask:0xf
	v_mov_b32_dpp v5, v3 row_bcast:15 row_mask:0xa bank_mask:0xf
	s_and_saveexec_b64 s[4:5], s[2:3]
	s_cbranch_execz .LBB26_101
; %bb.100:                              ;   in Loop: Header=BB26_3 Depth=1
	v_mov_b32_e32 v6, v8
	v_cmp_lt_f64_e32 vcc, v[3:4], v[5:6]
	v_cndmask_b32_e32 v4, v4, v8, vcc
	v_cndmask_b32_e32 v3, v3, v5, vcc
	ds_write_b64 v31, v[3:4]
.LBB26_101:                             ;   in Loop: Header=BB26_3 Depth=1
	s_or_b64 exec, exec, s[4:5]
	s_waitcnt vmcnt(0) lgkmcnt(0)
	s_barrier
	s_and_saveexec_b64 s[4:5], s[18:19]
	s_cbranch_execz .LBB26_103
; %bb.102:                              ;   in Loop: Header=BB26_3 Depth=1
	ds_read2_b64 v[3:6], v29 offset1:16
	s_waitcnt lgkmcnt(0)
	v_cmp_lt_f64_e32 vcc, v[3:4], v[5:6]
	v_cndmask_b32_e32 v4, v4, v6, vcc
	v_cndmask_b32_e32 v3, v3, v5, vcc
	ds_write_b64 v29, v[3:4]
.LBB26_103:                             ;   in Loop: Header=BB26_3 Depth=1
	s_or_b64 exec, exec, s[4:5]
	s_waitcnt lgkmcnt(0)
	s_barrier
	s_and_saveexec_b64 s[4:5], s[6:7]
	s_cbranch_execz .LBB26_105
; %bb.104:                              ;   in Loop: Header=BB26_3 Depth=1
	ds_read2_b64 v[3:6], v29 offset1:8
	s_waitcnt lgkmcnt(0)
	v_cmp_lt_f64_e32 vcc, v[3:4], v[5:6]
	v_cndmask_b32_e32 v4, v4, v6, vcc
	v_cndmask_b32_e32 v3, v3, v5, vcc
	ds_write_b64 v29, v[3:4]
.LBB26_105:                             ;   in Loop: Header=BB26_3 Depth=1
	s_or_b64 exec, exec, s[4:5]
	s_waitcnt lgkmcnt(0)
	;; [unrolled: 13-line block ×4, first 2 shown]
	s_barrier
	s_and_saveexec_b64 s[4:5], s[12:13]
	s_cbranch_execz .LBB26_111
; %bb.110:                              ;   in Loop: Header=BB26_3 Depth=1
	ds_read_b128 v[3:6], v7
	s_waitcnt lgkmcnt(0)
	v_cmp_lt_f64_e32 vcc, v[3:4], v[5:6]
	v_cndmask_b32_e32 v4, v4, v6, vcc
	v_cndmask_b32_e32 v3, v3, v5, vcc
	ds_write_b64 v7, v[3:4]
.LBB26_111:                             ;   in Loop: Header=BB26_3 Depth=1
	s_or_b64 exec, exec, s[4:5]
	s_waitcnt lgkmcnt(0)
	s_barrier
	ds_read_b64 v[3:4], v7
	s_load_dwordx2 s[4:5], s[68:69], 0x0
	s_waitcnt lgkmcnt(0)
	v_div_scale_f64 v[5:6], s[16:17], s[4:5], s[4:5], v[3:4]
	v_div_scale_f64 v[12:13], vcc, v[3:4], s[4:5], v[3:4]
	v_rcp_f64_e32 v[8:9], v[5:6]
	v_fma_f64 v[10:11], -v[5:6], v[8:9], 1.0
	v_fma_f64 v[8:9], v[8:9], v[10:11], v[8:9]
	v_fma_f64 v[10:11], -v[5:6], v[8:9], 1.0
	v_fma_f64 v[8:9], v[8:9], v[10:11], v[8:9]
	v_mul_f64 v[10:11], v[12:13], v[8:9]
	v_fma_f64 v[5:6], -v[5:6], v[10:11], v[12:13]
	v_div_fmas_f64 v[5:6], v[5:6], v[8:9], v[10:11]
	v_div_fixup_f64 v[4:5], v[5:6], s[4:5], v[3:4]
	s_and_saveexec_b64 s[4:5], s[0:1]
	s_cbranch_execz .LBB26_123
.LBB26_112:                             ;   in Loop: Header=BB26_3 Depth=1
	s_mov_b64 s[16:17], 0
	v_mov_b32_e32 v8, v28
	s_branch .LBB26_114
.LBB26_113:                             ;   in Loop: Header=BB26_114 Depth=2
	s_or_b64 exec, exec, s[80:81]
	v_add_u32_e32 v8, 32, v8
	v_cmp_le_u32_e32 vcc, s29, v8
	s_or_b64 s[16:17], vcc, s[16:17]
	s_andn2_b64 exec, exec, s[16:17]
	s_cbranch_execz .LBB26_123
.LBB26_114:                             ;   Parent Loop BB26_3 Depth=1
                                        ; =>  This Loop Header: Depth=2
                                        ;       Child Loop BB26_117 Depth 3
                                        ;       Child Loop BB26_120 Depth 3
	v_cmp_gt_i32_e32 vcc, s33, v8
	s_and_saveexec_b64 s[80:81], vcc
	s_cbranch_execz .LBB26_113
; %bb.115:                              ;   in Loop: Header=BB26_114 Depth=2
	v_ashrrev_i32_e32 v9, 31, v8
	v_lshlrev_b64 v[10:11], 2, v[8:9]
	v_mov_b32_e32 v3, s37
	v_add_co_u32_e32 v12, vcc, s36, v10
	v_addc_co_u32_e32 v13, vcc, v3, v11, vcc
	global_load_dword v3, v[12:13], off
	v_mov_b32_e32 v6, s39
	v_add_co_u32_e32 v12, vcc, s38, v10
	v_addc_co_u32_e32 v13, vcc, v6, v11, vcc
	global_load_dword v6, v[12:13], off
	s_waitcnt vmcnt(1)
	v_add_u32_e32 v12, v32, v3
	s_waitcnt vmcnt(0)
	v_subrev_u32_e32 v3, s64, v6
	v_cmp_lt_i32_e32 vcc, v12, v3
	s_and_saveexec_b64 s[66:67], vcc
	s_cbranch_execz .LBB26_118
; %bb.116:                              ;   in Loop: Header=BB26_114 Depth=2
	v_ashrrev_i32_e32 v13, 31, v12
	v_lshlrev_b64 v[15:16], 3, v[12:13]
	v_mov_b32_e32 v6, s73
	v_add_co_u32_e32 v13, vcc, s72, v15
	v_addc_co_u32_e32 v14, vcc, v6, v16, vcc
	v_mov_b32_e32 v6, s43
	v_add_co_u32_e32 v15, vcc, s42, v15
	v_addc_co_u32_e32 v16, vcc, v6, v16, vcc
	s_mov_b64 s[70:71], 0
.LBB26_117:                             ;   Parent Loop BB26_3 Depth=1
                                        ;     Parent Loop BB26_114 Depth=2
                                        ; =>    This Inner Loop Header: Depth=3
	global_load_dwordx2 v[17:18], v[13:14], off
	v_add_co_u32_e32 v13, vcc, 0x100, v13
	v_add_u32_e32 v12, 32, v12
	v_addc_co_u32_e32 v14, vcc, 0, v14, vcc
	v_cmp_ge_i32_e32 vcc, v12, v3
	s_or_b64 s[70:71], vcc, s[70:71]
	s_waitcnt vmcnt(0)
	global_store_dwordx2 v[15:16], v[17:18], off
	v_add_co_u32_e32 v15, vcc, 0x100, v15
	v_addc_co_u32_e32 v16, vcc, 0, v16, vcc
	s_andn2_b64 exec, exec, s[70:71]
	s_cbranch_execnz .LBB26_117
.LBB26_118:                             ;   in Loop: Header=BB26_114 Depth=2
	s_or_b64 exec, exec, s[66:67]
	v_mov_b32_e32 v3, s21
	v_add_co_u32_e32 v12, vcc, s20, v10
	v_addc_co_u32_e32 v13, vcc, v3, v11, vcc
	v_mov_b32_e32 v6, s23
	v_add_co_u32_e32 v10, vcc, s22, v10
	v_addc_co_u32_e32 v11, vcc, v6, v11, vcc
	global_load_dword v3, v[12:13], off
	global_load_dword v6, v[10:11], off
	s_waitcnt vmcnt(1)
	v_add_u32_e32 v10, v33, v3
	s_waitcnt vmcnt(0)
	v_subrev_u32_e32 v3, s28, v6
	v_cmp_lt_i32_e32 vcc, v10, v3
	s_and_saveexec_b64 s[66:67], vcc
	s_cbranch_execz .LBB26_121
; %bb.119:                              ;   in Loop: Header=BB26_114 Depth=2
	v_ashrrev_i32_e32 v11, 31, v10
	v_lshlrev_b64 v[13:14], 3, v[10:11]
	v_mov_b32_e32 v6, s75
	v_add_co_u32_e32 v11, vcc, s74, v13
	v_addc_co_u32_e32 v12, vcc, v6, v14, vcc
	v_mov_b32_e32 v6, s27
	v_add_co_u32_e32 v13, vcc, s26, v13
	v_addc_co_u32_e32 v14, vcc, v6, v14, vcc
	s_mov_b64 s[70:71], 0
.LBB26_120:                             ;   Parent Loop BB26_3 Depth=1
                                        ;     Parent Loop BB26_114 Depth=2
                                        ; =>    This Inner Loop Header: Depth=3
	global_load_dwordx2 v[15:16], v[11:12], off
	v_add_co_u32_e32 v11, vcc, 0x100, v11
	v_add_u32_e32 v10, 32, v10
	v_addc_co_u32_e32 v12, vcc, 0, v12, vcc
	v_cmp_ge_i32_e32 vcc, v10, v3
	s_or_b64 s[70:71], vcc, s[70:71]
	s_waitcnt vmcnt(0)
	global_store_dwordx2 v[13:14], v[15:16], off
	v_add_co_u32_e32 v13, vcc, 0x100, v13
	v_addc_co_u32_e32 v14, vcc, 0, v14, vcc
	s_andn2_b64 exec, exec, s[70:71]
	s_cbranch_execnz .LBB26_120
.LBB26_121:                             ;   in Loop: Header=BB26_114 Depth=2
	s_or_b64 exec, exec, s[66:67]
	s_and_b64 exec, exec, s[14:15]
	s_cbranch_execz .LBB26_113
; %bb.122:                              ;   in Loop: Header=BB26_114 Depth=2
	v_lshlrev_b64 v[9:10], 3, v[8:9]
	v_mov_b32_e32 v3, s59
	v_add_co_u32_e32 v11, vcc, s58, v9
	v_addc_co_u32_e32 v12, vcc, v3, v10, vcc
	global_load_dwordx2 v[11:12], v[11:12], off
	v_mov_b32_e32 v3, s57
	v_add_co_u32_e32 v9, vcc, s56, v9
	v_addc_co_u32_e32 v10, vcc, v3, v10, vcc
	s_waitcnt vmcnt(0)
	global_store_dwordx2 v[9:10], v[11:12], off
	s_branch .LBB26_113
.LBB26_123:                             ;   in Loop: Header=BB26_3 Depth=1
	s_or_b64 exec, exec, s[4:5]
	s_mov_b64 s[16:17], -1
	s_and_b64 vcc, exec, s[62:63]
	s_mov_b64 s[52:53], -1
	s_cbranch_vccz .LBB26_133
; %bb.124:                              ;   in Loop: Header=BB26_3 Depth=1
	v_readlane_b32 s52, v46, 12
	v_readlane_b32 s53, v46, 13
	s_mov_b64 s[4:5], -1
	s_and_b64 vcc, exec, s[52:53]
                                        ; implicit-def: $sgpr66_sgpr67
	s_cbranch_vccz .LBB26_130
; %bb.125:                              ;   in Loop: Header=BB26_3 Depth=1
	v_readlane_b32 s52, v46, 10
	v_readlane_b32 s53, v46, 11
	s_and_b64 vcc, exec, s[52:53]
                                        ; implicit-def: $sgpr66_sgpr67
	s_cbranch_vccz .LBB26_127
; %bb.126:                              ;   in Loop: Header=BB26_3 Depth=1
	v_readlane_b32 s80, v46, 0
	v_readlane_b32 s82, v46, 2
	;; [unrolled: 1-line block ×4, first 2 shown]
	v_cmp_ge_f64_e64 s[66:67], s[82:83], v[4:5]
	s_mov_b64 s[4:5], 0
.LBB26_127:                             ;   in Loop: Header=BB26_3 Depth=1
	s_andn2_b64 vcc, exec, s[4:5]
	s_cbranch_vccnz .LBB26_129
; %bb.128:                              ;   in Loop: Header=BB26_3 Depth=1
	v_readlane_b32 s80, v46, 0
	v_readlane_b32 s82, v46, 2
	;; [unrolled: 1-line block ×3, first 2 shown]
	v_cmp_ge_f64_e32 vcc, s[82:83], v[1:2]
	s_andn2_b64 s[4:5], s[66:67], exec
	v_readlane_b32 s81, v46, 1
	s_and_b64 s[52:53], vcc, exec
	s_or_b64 s[66:67], s[4:5], s[52:53]
.LBB26_129:                             ;   in Loop: Header=BB26_3 Depth=1
	s_mov_b64 s[4:5], 0
.LBB26_130:                             ;   in Loop: Header=BB26_3 Depth=1
	s_andn2_b64 vcc, exec, s[4:5]
	s_cbranch_vccnz .LBB26_132
; %bb.131:                              ;   in Loop: Header=BB26_3 Depth=1
	v_readlane_b32 s80, v46, 0
	v_readlane_b32 s82, v46, 2
	;; [unrolled: 1-line block ×3, first 2 shown]
	v_cmp_ge_f64_e32 vcc, s[82:83], v[1:2]
	v_cmp_ge_f64_e64 s[4:5], s[82:83], v[4:5]
	s_andn2_b64 s[52:53], s[66:67], exec
	v_readlane_b32 s81, v46, 1
	s_and_b64 s[4:5], vcc, s[4:5]
	s_and_b64 s[4:5], s[4:5], exec
	s_or_b64 s[66:67], s[52:53], s[4:5]
.LBB26_132:                             ;   in Loop: Header=BB26_3 Depth=1
	s_xor_b64 s[52:53], s[66:67], -1
.LBB26_133:                             ;   in Loop: Header=BB26_3 Depth=1
	v_mov_b32_e32 v3, s54
	s_and_saveexec_b64 s[4:5], s[52:53]
	s_cbranch_execz .LBB26_2
; %bb.134:                              ;   in Loop: Header=BB26_3 Depth=1
	s_add_i32 s54, s54, 1
	s_cmp_eq_u32 s54, s65
	s_cselect_b64 s[16:17], -1, 0
	v_mov_b32_e32 v3, s65
	s_orn2_b64 s[16:17], s[16:17], exec
	s_branch .LBB26_2
.LBB26_135:
	s_or_b64 exec, exec, s[78:79]
	v_readlane_b32 s8, v46, 6
	v_readlane_b32 s9, v46, 7
	;; [unrolled: 1-line block ×4, first 2 shown]
.LBB26_136:
	v_readlane_b32 s0, v46, 4
	v_readlane_b32 s1, v46, 5
	s_or_b64 exec, exec, s[0:1]
	s_andn2_b64 vcc, exec, s[62:63]
	s_cbranch_vccnz .LBB26_153
; %bb.137:
	v_mov_b32_dpp v6, v3 row_shr:1 row_mask:0xf bank_mask:0xf
	v_max_i32_e32 v3, v3, v6
	v_cmp_eq_u32_e32 vcc, 31, v27
	s_nop 0
	v_mov_b32_dpp v6, v3 row_shr:2 row_mask:0xf bank_mask:0xf
	v_max_i32_e32 v3, v3, v6
	s_nop 1
	v_mov_b32_dpp v6, v3 row_shr:4 row_mask:0xf bank_mask:0xe
	v_max_i32_e32 v3, v3, v6
	;; [unrolled: 3-line block ×3, first 2 shown]
	s_nop 1
	v_mov_b32_dpp v6, v3 row_bcast:15 row_mask:0xa bank_mask:0xf
	s_and_saveexec_b64 s[0:1], vcc
; %bb.138:
	v_lshlrev_b32_e32 v7, 2, v26
	v_max_i32_e32 v3, v3, v6
	ds_write_b32 v7, v3 offset:256
; %bb.139:
	s_or_b64 exec, exec, s[0:1]
	v_cmp_gt_u32_e32 vcc, 16, v0
	v_lshlrev_b32_e32 v3, 2, v0
	s_waitcnt vmcnt(0) lgkmcnt(0)
	s_barrier
	s_and_saveexec_b64 s[0:1], vcc
	s_cbranch_execz .LBB26_141
; %bb.140:
	ds_read2_b32 v[6:7], v3 offset0:64 offset1:80
	s_waitcnt lgkmcnt(0)
	v_max_i32_e32 v6, v6, v7
	ds_write_b32 v3, v6 offset:256
.LBB26_141:
	s_or_b64 exec, exec, s[0:1]
	v_cmp_gt_u32_e32 vcc, 8, v0
	s_waitcnt lgkmcnt(0)
	s_barrier
	s_and_saveexec_b64 s[0:1], vcc
	s_cbranch_execz .LBB26_143
; %bb.142:
	ds_read2_b32 v[6:7], v3 offset0:64 offset1:72
	s_waitcnt lgkmcnt(0)
	v_max_i32_e32 v6, v6, v7
	ds_write_b32 v3, v6 offset:256
.LBB26_143:
	s_or_b64 exec, exec, s[0:1]
	v_cmp_gt_u32_e32 vcc, 4, v0
	s_waitcnt lgkmcnt(0)
	;; [unrolled: 12-line block ×3, first 2 shown]
	s_barrier
	s_and_saveexec_b64 s[0:1], vcc
	s_cbranch_execz .LBB26_147
; %bb.146:
	ds_read2_b32 v[6:7], v3 offset0:64 offset1:66
	s_waitcnt lgkmcnt(0)
	v_max_i32_e32 v6, v6, v7
	ds_write_b32 v3, v6 offset:256
.LBB26_147:
	s_or_b64 exec, exec, s[0:1]
	v_cmp_eq_u32_e32 vcc, 0, v0
	s_waitcnt lgkmcnt(0)
	s_barrier
	s_and_saveexec_b64 s[0:1], vcc
	s_cbranch_execz .LBB26_149
; %bb.148:
	v_mov_b32_e32 v3, 0
	ds_read_b64 v[6:7], v3 offset:256
	s_waitcnt lgkmcnt(0)
	v_max_i32_e32 v6, v6, v7
	ds_write_b32 v3, v6 offset:256
.LBB26_149:
	s_or_b64 exec, exec, s[0:1]
	s_waitcnt lgkmcnt(0)
	s_barrier
	s_and_saveexec_b64 s[0:1], vcc
	s_cbranch_execz .LBB26_152
; %bb.150:
	v_mbcnt_lo_u32_b32 v3, exec_lo, 0
	v_mbcnt_hi_u32_b32 v3, exec_hi, v3
	v_cmp_eq_u32_e32 vcc, 0, v3
	s_and_b64 exec, exec, vcc
	s_cbranch_execz .LBB26_152
; %bb.151:
	v_mov_b32_e32 v3, 0
	ds_read_b32 v6, v3 offset:256
	v_readlane_b32 s4, v46, 0
	v_readlane_b32 s5, v46, 1
	;; [unrolled: 1-line block ×4, first 2 shown]
	s_waitcnt lgkmcnt(0)
	v_add_u32_e32 v6, 1, v6
	s_nop 0
	global_atomic_smax v3, v6, s[4:5]
.LBB26_152:
	s_or_b64 exec, exec, s[0:1]
.LBB26_153:
	v_cmp_eq_u32_e32 vcc, 0, v0
	s_and_b64 s[0:1], vcc, s[60:61]
	s_and_saveexec_b64 s[2:3], s[0:1]
	s_cbranch_execz .LBB26_160
; %bb.154:
	v_mov_b32_e32 v6, 0
	s_mov_b64 s[0:1], exec
	v_mov_b32_e32 v7, 0x7ff80000
.LBB26_155:                             ; =>This Inner Loop Header: Depth=1
	s_ff1_i32_b64 s6, s[0:1]
	v_readlane_b32 s5, v2, s6
	v_readlane_b32 s4, v1, s6
	v_max_f64 v[6:7], v[6:7], v[6:7]
	v_max_f64 v[8:9], s[4:5], s[4:5]
	s_lshl_b64 s[4:5], 1, s6
	s_andn2_b64 s[0:1], s[0:1], s[4:5]
	s_cmp_lg_u64 s[0:1], 0
	v_max_f64 v[6:7], v[6:7], v[8:9]
	s_cbranch_scc1 .LBB26_155
; %bb.156:
	v_mbcnt_lo_u32_b32 v0, exec_lo, 0
	v_mbcnt_hi_u32_b32 v0, exec_hi, v0
	v_cmp_eq_u32_e64 s[0:1], 0, v0
	s_and_saveexec_b64 s[4:5], s[0:1]
	s_xor_b64 s[4:5], exec, s[4:5]
	s_cbranch_execz .LBB26_160
; %bb.157:
	v_mov_b32_e32 v8, 0
	global_load_dwordx2 v[2:3], v8, s[8:9]
	v_max_f64 v[6:7], v[6:7], v[6:7]
	s_mov_b64 s[4:5], 0
.LBB26_158:                             ; =>This Inner Loop Header: Depth=1
	s_waitcnt vmcnt(0)
	v_max_f64 v[0:1], v[2:3], v[2:3]
	v_max_f64 v[0:1], v[0:1], v[6:7]
	global_atomic_cmpswap_x2 v[0:1], v8, v[0:3], s[8:9] glc
	s_waitcnt vmcnt(0)
	v_cmp_eq_u64_e64 s[0:1], v[0:1], v[2:3]
	v_mov_b32_e32 v3, v1
	s_or_b64 s[4:5], s[0:1], s[4:5]
	v_mov_b32_e32 v2, v0
	s_andn2_b64 exec, exec, s[4:5]
	s_cbranch_execnz .LBB26_158
; %bb.159:
	s_or_b64 exec, exec, s[4:5]
.LBB26_160:
	s_or_b64 exec, exec, s[2:3]
	s_and_b64 s[0:1], vcc, s[34:35]
	s_and_saveexec_b64 s[2:3], s[0:1]
	s_cbranch_execz .LBB26_166
; %bb.161:
	v_mov_b32_e32 v0, 0
	s_mov_b64 s[0:1], exec
	v_mov_b32_e32 v1, 0x7ff80000
.LBB26_162:                             ; =>This Inner Loop Header: Depth=1
	s_ff1_i32_b64 s4, s[0:1]
	v_readlane_b32 s3, v5, s4
	v_readlane_b32 s2, v4, s4
	v_max_f64 v[0:1], v[0:1], v[0:1]
	v_max_f64 v[2:3], s[2:3], s[2:3]
	s_lshl_b64 s[2:3], 1, s4
	s_andn2_b64 s[0:1], s[0:1], s[2:3]
	s_cmp_lg_u64 s[0:1], 0
	v_max_f64 v[0:1], v[0:1], v[2:3]
	s_cbranch_scc1 .LBB26_162
; %bb.163:
	v_mbcnt_lo_u32_b32 v2, exec_lo, 0
	v_mbcnt_hi_u32_b32 v2, exec_hi, v2
	v_cmp_eq_u32_e32 vcc, 0, v2
	s_and_saveexec_b64 s[0:1], vcc
	s_xor_b64 s[0:1], exec, s[0:1]
	s_cbranch_execz .LBB26_166
; %bb.164:
	v_mov_b32_e32 v6, 0
	global_load_dwordx2 v[2:3], v6, s[10:11]
	v_max_f64 v[4:5], v[0:1], v[0:1]
	s_mov_b64 s[0:1], 0
.LBB26_165:                             ; =>This Inner Loop Header: Depth=1
	s_waitcnt vmcnt(0)
	v_max_f64 v[0:1], v[2:3], v[2:3]
	v_max_f64 v[0:1], v[0:1], v[4:5]
	global_atomic_cmpswap_x2 v[0:1], v6, v[0:3], s[10:11] glc
	s_waitcnt vmcnt(0)
	v_cmp_eq_u64_e32 vcc, v[0:1], v[2:3]
	v_mov_b32_e32 v3, v1
	s_or_b64 s[0:1], vcc, s[0:1]
	v_mov_b32_e32 v2, v0
	s_andn2_b64 exec, exec, s[0:1]
	s_cbranch_execnz .LBB26_165
.LBB26_166:
	s_endpgm
	.section	.rodata,"a",@progbits
	.p2align	6, 0x0
	.amdhsa_kernel _ZN9rocsparseL6kernelILi1024ELi32EdiiEEvbbbT3_PS1_NS_15floating_traitsIT1_E6data_tES1_T2_PKS7_S9_PKS1_PKS4_21rocsparse_index_base_S9_S9_SB_PS4_SF_SE_S9_S9_SB_SF_SF_SE_SF_SF_PS6_SG_PKS6_
		.amdhsa_group_segment_fixed_size 384
		.amdhsa_private_segment_fixed_size 0
		.amdhsa_kernarg_size 208
		.amdhsa_user_sgpr_count 6
		.amdhsa_user_sgpr_private_segment_buffer 1
		.amdhsa_user_sgpr_dispatch_ptr 0
		.amdhsa_user_sgpr_queue_ptr 0
		.amdhsa_user_sgpr_kernarg_segment_ptr 1
		.amdhsa_user_sgpr_dispatch_id 0
		.amdhsa_user_sgpr_flat_scratch_init 0
		.amdhsa_user_sgpr_private_segment_size 0
		.amdhsa_uses_dynamic_stack 0
		.amdhsa_system_sgpr_private_segment_wavefront_offset 0
		.amdhsa_system_sgpr_workgroup_id_x 1
		.amdhsa_system_sgpr_workgroup_id_y 0
		.amdhsa_system_sgpr_workgroup_id_z 0
		.amdhsa_system_sgpr_workgroup_info 0
		.amdhsa_system_vgpr_workitem_id 0
		.amdhsa_next_free_vgpr 47
		.amdhsa_next_free_sgpr 96
		.amdhsa_reserve_vcc 1
		.amdhsa_reserve_flat_scratch 0
		.amdhsa_float_round_mode_32 0
		.amdhsa_float_round_mode_16_64 0
		.amdhsa_float_denorm_mode_32 3
		.amdhsa_float_denorm_mode_16_64 3
		.amdhsa_dx10_clamp 1
		.amdhsa_ieee_mode 1
		.amdhsa_fp16_overflow 0
		.amdhsa_exception_fp_ieee_invalid_op 0
		.amdhsa_exception_fp_denorm_src 0
		.amdhsa_exception_fp_ieee_div_zero 0
		.amdhsa_exception_fp_ieee_overflow 0
		.amdhsa_exception_fp_ieee_underflow 0
		.amdhsa_exception_fp_ieee_inexact 0
		.amdhsa_exception_int_div_zero 0
	.end_amdhsa_kernel
	.section	.text._ZN9rocsparseL6kernelILi1024ELi32EdiiEEvbbbT3_PS1_NS_15floating_traitsIT1_E6data_tES1_T2_PKS7_S9_PKS1_PKS4_21rocsparse_index_base_S9_S9_SB_PS4_SF_SE_S9_S9_SB_SF_SF_SE_SF_SF_PS6_SG_PKS6_,"axG",@progbits,_ZN9rocsparseL6kernelILi1024ELi32EdiiEEvbbbT3_PS1_NS_15floating_traitsIT1_E6data_tES1_T2_PKS7_S9_PKS1_PKS4_21rocsparse_index_base_S9_S9_SB_PS4_SF_SE_S9_S9_SB_SF_SF_SE_SF_SF_PS6_SG_PKS6_,comdat
.Lfunc_end26:
	.size	_ZN9rocsparseL6kernelILi1024ELi32EdiiEEvbbbT3_PS1_NS_15floating_traitsIT1_E6data_tES1_T2_PKS7_S9_PKS1_PKS4_21rocsparse_index_base_S9_S9_SB_PS4_SF_SE_S9_S9_SB_SF_SF_SE_SF_SF_PS6_SG_PKS6_, .Lfunc_end26-_ZN9rocsparseL6kernelILi1024ELi32EdiiEEvbbbT3_PS1_NS_15floating_traitsIT1_E6data_tES1_T2_PKS7_S9_PKS1_PKS4_21rocsparse_index_base_S9_S9_SB_PS4_SF_SE_S9_S9_SB_SF_SF_SE_SF_SF_PS6_SG_PKS6_
                                        ; -- End function
	.set _ZN9rocsparseL6kernelILi1024ELi32EdiiEEvbbbT3_PS1_NS_15floating_traitsIT1_E6data_tES1_T2_PKS7_S9_PKS1_PKS4_21rocsparse_index_base_S9_S9_SB_PS4_SF_SE_S9_S9_SB_SF_SF_SE_SF_SF_PS6_SG_PKS6_.num_vgpr, 47
	.set _ZN9rocsparseL6kernelILi1024ELi32EdiiEEvbbbT3_PS1_NS_15floating_traitsIT1_E6data_tES1_T2_PKS7_S9_PKS1_PKS4_21rocsparse_index_base_S9_S9_SB_PS4_SF_SE_S9_S9_SB_SF_SF_SE_SF_SF_PS6_SG_PKS6_.num_agpr, 0
	.set _ZN9rocsparseL6kernelILi1024ELi32EdiiEEvbbbT3_PS1_NS_15floating_traitsIT1_E6data_tES1_T2_PKS7_S9_PKS1_PKS4_21rocsparse_index_base_S9_S9_SB_PS4_SF_SE_S9_S9_SB_SF_SF_SE_SF_SF_PS6_SG_PKS6_.numbered_sgpr, 96
	.set _ZN9rocsparseL6kernelILi1024ELi32EdiiEEvbbbT3_PS1_NS_15floating_traitsIT1_E6data_tES1_T2_PKS7_S9_PKS1_PKS4_21rocsparse_index_base_S9_S9_SB_PS4_SF_SE_S9_S9_SB_SF_SF_SE_SF_SF_PS6_SG_PKS6_.num_named_barrier, 0
	.set _ZN9rocsparseL6kernelILi1024ELi32EdiiEEvbbbT3_PS1_NS_15floating_traitsIT1_E6data_tES1_T2_PKS7_S9_PKS1_PKS4_21rocsparse_index_base_S9_S9_SB_PS4_SF_SE_S9_S9_SB_SF_SF_SE_SF_SF_PS6_SG_PKS6_.private_seg_size, 0
	.set _ZN9rocsparseL6kernelILi1024ELi32EdiiEEvbbbT3_PS1_NS_15floating_traitsIT1_E6data_tES1_T2_PKS7_S9_PKS1_PKS4_21rocsparse_index_base_S9_S9_SB_PS4_SF_SE_S9_S9_SB_SF_SF_SE_SF_SF_PS6_SG_PKS6_.uses_vcc, 1
	.set _ZN9rocsparseL6kernelILi1024ELi32EdiiEEvbbbT3_PS1_NS_15floating_traitsIT1_E6data_tES1_T2_PKS7_S9_PKS1_PKS4_21rocsparse_index_base_S9_S9_SB_PS4_SF_SE_S9_S9_SB_SF_SF_SE_SF_SF_PS6_SG_PKS6_.uses_flat_scratch, 0
	.set _ZN9rocsparseL6kernelILi1024ELi32EdiiEEvbbbT3_PS1_NS_15floating_traitsIT1_E6data_tES1_T2_PKS7_S9_PKS1_PKS4_21rocsparse_index_base_S9_S9_SB_PS4_SF_SE_S9_S9_SB_SF_SF_SE_SF_SF_PS6_SG_PKS6_.has_dyn_sized_stack, 0
	.set _ZN9rocsparseL6kernelILi1024ELi32EdiiEEvbbbT3_PS1_NS_15floating_traitsIT1_E6data_tES1_T2_PKS7_S9_PKS1_PKS4_21rocsparse_index_base_S9_S9_SB_PS4_SF_SE_S9_S9_SB_SF_SF_SE_SF_SF_PS6_SG_PKS6_.has_recursion, 0
	.set _ZN9rocsparseL6kernelILi1024ELi32EdiiEEvbbbT3_PS1_NS_15floating_traitsIT1_E6data_tES1_T2_PKS7_S9_PKS1_PKS4_21rocsparse_index_base_S9_S9_SB_PS4_SF_SE_S9_S9_SB_SF_SF_SE_SF_SF_PS6_SG_PKS6_.has_indirect_call, 0
	.section	.AMDGPU.csdata,"",@progbits
; Kernel info:
; codeLenInByte = 5720
; TotalNumSgprs: 100
; NumVgprs: 47
; ScratchSize: 0
; MemoryBound: 1
; FloatMode: 240
; IeeeMode: 1
; LDSByteSize: 384 bytes/workgroup (compile time only)
; SGPRBlocks: 12
; VGPRBlocks: 11
; NumSGPRsForWavesPerEU: 100
; NumVGPRsForWavesPerEU: 47
; Occupancy: 5
; WaveLimiterHint : 1
; COMPUTE_PGM_RSRC2:SCRATCH_EN: 0
; COMPUTE_PGM_RSRC2:USER_SGPR: 6
; COMPUTE_PGM_RSRC2:TRAP_HANDLER: 0
; COMPUTE_PGM_RSRC2:TGID_X_EN: 1
; COMPUTE_PGM_RSRC2:TGID_Y_EN: 0
; COMPUTE_PGM_RSRC2:TGID_Z_EN: 0
; COMPUTE_PGM_RSRC2:TIDIG_COMP_CNT: 0
	.section	.text._ZN9rocsparseL6kernelILi1024ELi64EdiiEEvbbbT3_PS1_NS_15floating_traitsIT1_E6data_tES1_T2_PKS7_S9_PKS1_PKS4_21rocsparse_index_base_S9_S9_SB_PS4_SF_SE_S9_S9_SB_SF_SF_SE_SF_SF_PS6_SG_PKS6_,"axG",@progbits,_ZN9rocsparseL6kernelILi1024ELi64EdiiEEvbbbT3_PS1_NS_15floating_traitsIT1_E6data_tES1_T2_PKS7_S9_PKS1_PKS4_21rocsparse_index_base_S9_S9_SB_PS4_SF_SE_S9_S9_SB_SF_SF_SE_SF_SF_PS6_SG_PKS6_,comdat
	.globl	_ZN9rocsparseL6kernelILi1024ELi64EdiiEEvbbbT3_PS1_NS_15floating_traitsIT1_E6data_tES1_T2_PKS7_S9_PKS1_PKS4_21rocsparse_index_base_S9_S9_SB_PS4_SF_SE_S9_S9_SB_SF_SF_SE_SF_SF_PS6_SG_PKS6_ ; -- Begin function _ZN9rocsparseL6kernelILi1024ELi64EdiiEEvbbbT3_PS1_NS_15floating_traitsIT1_E6data_tES1_T2_PKS7_S9_PKS1_PKS4_21rocsparse_index_base_S9_S9_SB_PS4_SF_SE_S9_S9_SB_SF_SF_SE_SF_SF_PS6_SG_PKS6_
	.p2align	8
	.type	_ZN9rocsparseL6kernelILi1024ELi64EdiiEEvbbbT3_PS1_NS_15floating_traitsIT1_E6data_tES1_T2_PKS7_S9_PKS1_PKS4_21rocsparse_index_base_S9_S9_SB_PS4_SF_SE_S9_S9_SB_SF_SF_SE_SF_SF_PS6_SG_PKS6_,@function
_ZN9rocsparseL6kernelILi1024ELi64EdiiEEvbbbT3_PS1_NS_15floating_traitsIT1_E6data_tES1_T2_PKS7_S9_PKS1_PKS4_21rocsparse_index_base_S9_S9_SB_PS4_SF_SE_S9_S9_SB_SF_SF_SE_SF_SF_PS6_SG_PKS6_: ; @_ZN9rocsparseL6kernelILi1024ELi64EdiiEEvbbbT3_PS1_NS_15floating_traitsIT1_E6data_tES1_T2_PKS7_S9_PKS1_PKS4_21rocsparse_index_base_S9_S9_SB_PS4_SF_SE_S9_S9_SB_SF_SF_SE_SF_SF_PS6_SG_PKS6_
; %bb.0:
	s_load_dword s0, s[4:5], 0x0
	s_load_dwordx2 s[62:63], s[4:5], 0x0
	s_load_dwordx4 s[8:11], s[4:5], 0xb8
	s_load_dwordx4 s[12:15], s[4:5], 0x8
	s_load_dword s33, s[4:5], 0x18
	s_waitcnt lgkmcnt(0)
	s_bitcmp1_b32 s0, 0
	s_cselect_b64 s[60:61], -1, 0
	s_bitcmp1_b32 s0, 8
                                        ; implicit-def: $vgpr46 : SGPR spill to VGPR lane
	s_cselect_b64 s[34:35], -1, 0
	s_bitcmp1_b32 s62, 16
	v_mov_b32_e32 v3, 0
	v_writelane_b32 v46, s12, 0
	s_cselect_b64 s[18:19], -1, 0
	v_lshrrev_b32_e32 v26, 6, v0
	s_lshl_b32 s55, s6, 10
	v_lshlrev_b32_e32 v29, 3, v0
	v_mov_b32_e32 v4, v3
	v_writelane_b32 v46, s13, 1
	v_or_b32_e32 v28, s55, v26
	ds_write_b64 v29, v[3:4]
	s_cmp_gt_i32 s63, 0
	v_mov_b32_e32 v4, 0
	v_mov_b32_e32 v1, 0
	v_writelane_b32 v46, s14, 2
	v_and_b32_e32 v27, 63, v0
	s_mov_b32 s62, 0
	v_cmp_gt_i32_e32 vcc, s33, v28
	s_cselect_b64 s[0:1], -1, 0
	v_mov_b32_e32 v5, 0
	v_mov_b32_e32 v2, 0
	v_writelane_b32 v46, s15, 3
	s_waitcnt lgkmcnt(0)
	s_barrier
	s_and_b64 s[0:1], s[0:1], vcc
	s_mov_b64 s[2:3], exec
	v_writelane_b32 v46, s2, 4
	s_and_b64 s[0:1], s[2:3], s[0:1]
	v_writelane_b32 v46, s3, 5
	s_mov_b64 exec, s[0:1]
	s_cbranch_execz .LBB27_132
; %bb.1:
	v_writelane_b32 v46, s8, 6
	s_load_dwordx2 s[66:67], s[4:5], 0xc8
	s_load_dwordx4 s[56:59], s[4:5], 0xa8
	s_load_dwordx8 s[20:27], s[4:5], 0x78
	s_load_dwordx8 s[36:43], s[4:5], 0x48
	v_writelane_b32 v46, s9, 7
	s_load_dword s52, s[4:5], 0x40
	s_load_dwordx2 s[70:71], s[4:5], 0x68
	s_load_dword s53, s[4:5], 0x70
	s_load_dwordx2 s[72:73], s[4:5], 0x98
	s_load_dword s54, s[4:5], 0xa0
	v_writelane_b32 v46, s10, 8
	s_load_dwordx8 s[44:51], s[4:5], 0x20
	v_writelane_b32 v46, s11, 9
	s_xor_b64 s[0:1], s[34:35], -1
	v_writelane_b32 v46, s0, 10
	s_and_b64 s[14:15], s[34:35], s[18:19]
	v_writelane_b32 v46, s1, 11
	s_addk_i32 s55, 0x400
	s_xor_b64 s[14:15], s[14:15], -1
	v_mov_b32_e32 v1, 0
	v_mov_b32_e32 v4, 0
	s_waitcnt lgkmcnt(0)
	v_subrev_u32_e32 v30, s52, v27
	v_cmp_gt_u32_e64 s[0:1], s55, v28
	v_cmp_eq_u32_e64 s[2:3], 63, v27
	v_lshlrev_b32_e32 v31, 3, v26
	v_cmp_gt_u32_e64 s[16:17], 8, v0
	v_cmp_gt_u32_e64 s[6:7], 4, v0
	v_cmp_gt_u32_e64 s[8:9], 2, v0
	v_cmp_eq_u32_e64 s[10:11], 0, v0
	v_subrev_u32_e32 v32, s53, v27
	v_subrev_u32_e32 v33, s54, v27
	v_cmp_eq_u32_e64 s[12:13], 0, v27
	v_writelane_b32 v46, s14, 12
	v_mov_b32_e32 v2, 0
	s_mov_b64 s[76:77], 0
	v_mov_b32_e32 v7, 0
	v_mov_b32_e32 v5, 0
	s_movk_i32 s28, 0x1f8
	v_writelane_b32 v46, s15, 13
	s_branch .LBB27_3
.LBB27_2:                               ;   in Loop: Header=BB27_3 Depth=1
	s_or_b64 exec, exec, s[4:5]
	s_and_b64 s[4:5], exec, s[14:15]
	s_or_b64 s[76:77], s[4:5], s[76:77]
	s_andn2_b64 exec, exec, s[76:77]
	s_cbranch_execz .LBB27_131
.LBB27_3:                               ; =>This Loop Header: Depth=1
                                        ;     Child Loop BB27_7 Depth 2
                                        ;       Child Loop BB27_12 Depth 3
                                        ;         Child Loop BB27_16 Depth 4
                                        ;         Child Loop BB27_37 Depth 4
	;; [unrolled: 1-line block ×5, first 2 shown]
                                        ;     Child Loop BB27_110 Depth 2
                                        ;       Child Loop BB27_113 Depth 3
                                        ;       Child Loop BB27_116 Depth 3
	s_mov_b32 s29, 0
	v_cndmask_b32_e64 v2, v2, 0, s[34:35]
	v_cndmask_b32_e64 v1, v1, 0, s[34:35]
	;; [unrolled: 1-line block ×4, first 2 shown]
	s_branch .LBB27_7
.LBB27_4:                               ;   in Loop: Header=BB27_7 Depth=2
	s_or_b64 exec, exec, s[82:83]
.LBB27_5:                               ;   in Loop: Header=BB27_7 Depth=2
	s_or_b64 exec, exec, s[80:81]
.LBB27_6:                               ;   in Loop: Header=BB27_7 Depth=2
	s_or_b64 exec, exec, s[78:79]
	s_add_i32 s29, s29, 1
	s_cmp_eq_u32 s29, 64
	s_cbranch_scc1 .LBB27_83
.LBB27_7:                               ;   Parent Loop BB27_3 Depth=1
                                        ; =>  This Loop Header: Depth=2
                                        ;       Child Loop BB27_12 Depth 3
                                        ;         Child Loop BB27_16 Depth 4
                                        ;         Child Loop BB27_37 Depth 4
	;; [unrolled: 1-line block ×5, first 2 shown]
	v_lshl_add_u32 v8, s29, 4, v28
	v_cmp_gt_i32_e32 vcc, s33, v8
	s_and_saveexec_b64 s[78:79], vcc
	s_cbranch_execz .LBB27_6
; %bb.8:                                ;   in Loop: Header=BB27_7 Depth=2
	v_ashrrev_i32_e32 v9, 31, v8
	v_lshlrev_b64 v[10:11], 2, v[8:9]
	v_mov_b32_e32 v3, s45
	v_add_co_u32_e32 v12, vcc, s44, v10
	v_addc_co_u32_e32 v13, vcc, v3, v11, vcc
	global_load_dword v3, v[12:13], off
	v_mov_b32_e32 v6, s47
	v_add_co_u32_e32 v12, vcc, s46, v10
	v_addc_co_u32_e32 v13, vcc, v6, v11, vcc
	global_load_dword v6, v[12:13], off
	s_waitcnt vmcnt(1)
	v_add_u32_e32 v9, v30, v3
	s_waitcnt vmcnt(0)
	v_subrev_u32_e32 v3, s52, v6
	v_cmp_lt_i32_e32 vcc, v9, v3
	s_and_saveexec_b64 s[80:81], vcc
	s_cbranch_execz .LBB27_5
; %bb.9:                                ;   in Loop: Header=BB27_7 Depth=2
	v_mov_b32_e32 v6, s39
	v_add_co_u32_e32 v12, vcc, s38, v10
	v_addc_co_u32_e32 v13, vcc, v6, v11, vcc
	v_mov_b32_e32 v6, s37
	v_add_co_u32_e32 v10, vcc, s36, v10
	v_addc_co_u32_e32 v11, vcc, v6, v11, vcc
	global_load_dword v6, v[10:11], off
	s_nop 0
	global_load_dword v10, v[12:13], off
	v_mov_b32_e32 v17, s41
	v_mov_b32_e32 v18, s43
	s_mov_b64 s[82:83], 0
	s_waitcnt vmcnt(1)
	v_subrev_u32_e32 v11, s53, v6
	v_ashrrev_i32_e32 v12, 31, v11
	v_lshlrev_b64 v[13:14], 2, v[11:12]
	v_lshlrev_b64 v[15:16], 3, v[11:12]
	v_add_co_u32_e32 v35, vcc, s40, v13
	v_addc_co_u32_e32 v36, vcc, v17, v14, vcc
	s_waitcnt vmcnt(0)
	v_sub_u32_e32 v34, v10, v6
	v_add_co_u32_e32 v37, vcc, s42, v15
	v_cmp_lt_i32_e64 s[14:15], 0, v34
	v_addc_co_u32_e32 v38, vcc, v18, v16, vcc
	s_branch .LBB27_12
.LBB27_10:                              ;   in Loop: Header=BB27_12 Depth=3
	s_or_b64 exec, exec, s[64:65]
.LBB27_11:                              ;   in Loop: Header=BB27_12 Depth=3
	s_or_b64 exec, exec, s[4:5]
	v_add_u32_e32 v9, 64, v9
	v_cmp_ge_i32_e32 vcc, v9, v3
	s_or_b64 s[82:83], vcc, s[82:83]
	s_andn2_b64 exec, exec, s[82:83]
	s_cbranch_execz .LBB27_4
.LBB27_12:                              ;   Parent Loop BB27_3 Depth=1
                                        ;     Parent Loop BB27_7 Depth=2
                                        ; =>    This Loop Header: Depth=3
                                        ;         Child Loop BB27_16 Depth 4
                                        ;         Child Loop BB27_37 Depth 4
	;; [unrolled: 1-line block ×5, first 2 shown]
	v_ashrrev_i32_e32 v10, 31, v9
	v_lshlrev_b64 v[12:13], 2, v[9:10]
	v_mov_b32_e32 v6, s49
	v_add_co_u32_e32 v12, vcc, s48, v12
	v_addc_co_u32_e32 v13, vcc, v6, v13, vcc
	global_load_dword v6, v[12:13], off
	v_mov_b32_e32 v17, s21
	v_mov_b32_e32 v18, s23
	;; [unrolled: 1-line block ×3, first 2 shown]
	s_waitcnt vmcnt(0)
	v_subrev_u32_e32 v12, s52, v6
	v_ashrrev_i32_e32 v13, 31, v12
	v_lshlrev_b64 v[14:15], 2, v[12:13]
	v_add_co_u32_e32 v16, vcc, s20, v14
	v_addc_co_u32_e32 v17, vcc, v17, v15, vcc
	v_add_co_u32_e32 v14, vcc, s22, v14
	v_addc_co_u32_e32 v15, vcc, v18, v15, vcc
	global_load_dword v6, v[16:17], off
	s_nop 0
	global_load_dword v16, v[14:15], off
	v_mov_b32_e32 v14, 0
	v_mov_b32_e32 v15, 0
	s_waitcnt vmcnt(1)
	v_subrev_u32_e32 v18, s54, v6
	s_waitcnt vmcnt(0)
	v_sub_u32_e32 v39, v16, v6
	v_mov_b32_e32 v6, v19
	s_and_saveexec_b64 s[4:5], s[14:15]
	s_cbranch_execz .LBB27_20
; %bb.13:                               ;   in Loop: Header=BB27_12 Depth=3
	v_ashrrev_i32_e32 v19, 31, v18
	v_lshlrev_b64 v[14:15], 2, v[18:19]
	v_mov_b32_e32 v6, s25
	v_add_co_u32_e32 v16, vcc, s24, v14
	v_addc_co_u32_e32 v17, vcc, v6, v15, vcc
	v_lshlrev_b64 v[14:15], 3, v[18:19]
	v_mov_b32_e32 v6, s27
	v_add_co_u32_e32 v21, vcc, s26, v14
	v_addc_co_u32_e32 v22, vcc, v6, v15, vcc
	v_mov_b32_e32 v14, 0
	v_mov_b32_e32 v6, 0
	;; [unrolled: 1-line block ×3, first 2 shown]
	s_mov_b64 s[84:85], 0
	v_mov_b32_e32 v19, v6
                                        ; implicit-def: $sgpr86_sgpr87
	s_branch .LBB27_16
.LBB27_14:                              ;   in Loop: Header=BB27_16 Depth=4
	s_or_b64 exec, exec, s[68:69]
	v_cmp_le_i32_e32 vcc, v23, v24
	v_addc_co_u32_e32 v6, vcc, 0, v6, vcc
	v_cmp_ge_i32_e32 vcc, v23, v24
	v_addc_co_u32_e32 v19, vcc, 0, v19, vcc
	v_cmp_ge_i32_e32 vcc, v6, v34
	s_andn2_b64 s[30:31], s[86:87], exec
	s_and_b64 s[68:69], vcc, exec
	s_or_b64 s[86:87], s[30:31], s[68:69]
.LBB27_15:                              ;   in Loop: Header=BB27_16 Depth=4
	s_or_b64 exec, exec, s[64:65]
	s_and_b64 s[30:31], exec, s[86:87]
	s_or_b64 s[84:85], s[30:31], s[84:85]
	s_andn2_b64 exec, exec, s[84:85]
	s_cbranch_execz .LBB27_19
.LBB27_16:                              ;   Parent Loop BB27_3 Depth=1
                                        ;     Parent Loop BB27_7 Depth=2
                                        ;       Parent Loop BB27_12 Depth=3
                                        ; =>      This Inner Loop Header: Depth=4
	v_cmp_lt_i32_e32 vcc, v19, v39
	s_or_b64 s[86:87], s[86:87], exec
	s_and_saveexec_b64 s[64:65], vcc
	s_cbranch_execz .LBB27_15
; %bb.17:                               ;   in Loop: Header=BB27_16 Depth=4
	v_lshlrev_b64 v[23:24], 2, v[6:7]
	v_mov_b32_e32 v20, v7
	v_add_co_u32_e32 v23, vcc, v35, v23
	v_addc_co_u32_e32 v24, vcc, v36, v24, vcc
	global_load_dword v25, v[23:24], off
	v_lshlrev_b64 v[23:24], 2, v[19:20]
	v_add_co_u32_e32 v23, vcc, v16, v23
	v_addc_co_u32_e32 v24, vcc, v17, v24, vcc
	global_load_dword v24, v[23:24], off
	s_waitcnt vmcnt(1)
	v_subrev_u32_e32 v23, s53, v25
	s_waitcnt vmcnt(0)
	v_subrev_u32_e32 v24, s54, v24
	v_cmp_eq_u32_e32 vcc, v23, v24
	s_and_saveexec_b64 s[68:69], vcc
	s_cbranch_execz .LBB27_14
; %bb.18:                               ;   in Loop: Header=BB27_16 Depth=4
	v_lshlrev_b64 v[40:41], 3, v[6:7]
	v_lshlrev_b64 v[42:43], 3, v[19:20]
	v_add_co_u32_e32 v40, vcc, v37, v40
	v_addc_co_u32_e32 v41, vcc, v38, v41, vcc
	v_add_co_u32_e32 v42, vcc, v21, v42
	v_addc_co_u32_e32 v43, vcc, v22, v43, vcc
	global_load_dwordx2 v[40:41], v[40:41], off
	s_nop 0
	global_load_dwordx2 v[42:43], v[42:43], off
	s_waitcnt vmcnt(0)
	v_fma_f64 v[14:15], v[40:41], v[42:43], v[14:15]
	s_branch .LBB27_14
.LBB27_19:                              ;   in Loop: Header=BB27_12 Depth=3
	s_or_b64 exec, exec, s[84:85]
.LBB27_20:                              ;   in Loop: Header=BB27_12 Depth=3
	s_or_b64 exec, exec, s[4:5]
	v_lshlrev_b64 v[16:17], 3, v[9:10]
	v_mov_b32_e32 v10, s51
	v_add_co_u32_e32 v16, vcc, s50, v16
	v_addc_co_u32_e32 v17, vcc, v10, v17, vcc
	global_load_dwordx2 v[16:17], v[16:17], off
	v_cmp_le_i32_e64 s[4:5], v8, v12
	v_cmp_gt_i32_e32 vcc, v8, v12
	s_waitcnt vmcnt(0)
	v_add_f64 v[20:21], v[16:17], -v[14:15]
	s_and_saveexec_b64 s[64:65], vcc
	s_cbranch_execnz .LBB27_23
; %bb.21:                               ;   in Loop: Header=BB27_12 Depth=3
	s_or_b64 exec, exec, s[64:65]
	v_cmp_class_f64_e64 s[84:85], v[20:21], s28
	s_and_saveexec_b64 s[86:87], s[84:85]
	s_cbranch_execnz .LBB27_26
.LBB27_22:                              ;   in Loop: Header=BB27_12 Depth=3
	s_or_b64 exec, exec, s[86:87]
	s_and_b64 s[30:31], s[18:19], s[84:85]
	s_and_saveexec_b64 s[4:5], s[30:31]
	s_cbranch_execz .LBB27_11
	s_branch .LBB27_61
.LBB27_23:                              ;   in Loop: Header=BB27_12 Depth=3
	v_lshlrev_b64 v[22:23], 3, v[12:13]
	v_mov_b32_e32 v10, s57
	v_add_co_u32_e32 v22, vcc, s56, v22
	v_addc_co_u32_e32 v23, vcc, v10, v23, vcc
	global_load_dwordx2 v[22:23], v[22:23], off
	v_mov_b32_e32 v24, 0
	v_mov_b32_e32 v25, 0
	s_waitcnt vmcnt(0)
	v_cmp_lg_f64_e32 vcc, 0, v[22:23]
	s_and_saveexec_b64 s[68:69], vcc
	s_cbranch_execz .LBB27_25
; %bb.24:                               ;   in Loop: Header=BB27_12 Depth=3
	v_div_scale_f64 v[24:25], s[30:31], v[22:23], v[22:23], v[20:21]
	v_div_scale_f64 v[44:45], vcc, v[20:21], v[22:23], v[20:21]
	v_rcp_f64_e32 v[40:41], v[24:25]
	v_fma_f64 v[42:43], -v[24:25], v[40:41], 1.0
	v_fma_f64 v[40:41], v[40:41], v[42:43], v[40:41]
	v_fma_f64 v[42:43], -v[24:25], v[40:41], 1.0
	v_fma_f64 v[40:41], v[40:41], v[42:43], v[40:41]
	v_mul_f64 v[42:43], v[44:45], v[40:41]
	v_fma_f64 v[24:25], -v[24:25], v[42:43], v[44:45]
	v_div_fmas_f64 v[24:25], v[24:25], v[40:41], v[42:43]
	v_div_fixup_f64 v[24:25], v[24:25], v[22:23], v[20:21]
.LBB27_25:                              ;   in Loop: Header=BB27_12 Depth=3
	s_or_b64 exec, exec, s[68:69]
	v_mov_b32_e32 v20, v24
	v_mov_b32_e32 v21, v25
	s_or_b64 exec, exec, s[64:65]
	v_cmp_class_f64_e64 s[84:85], v[20:21], s28
	s_and_saveexec_b64 s[86:87], s[84:85]
	s_cbranch_execz .LBB27_22
.LBB27_26:                              ;   in Loop: Header=BB27_12 Depth=3
	s_and_saveexec_b64 s[30:31], s[4:5]
	s_xor_b64 s[4:5], exec, s[30:31]
	s_cbranch_execz .LBB27_47
; %bb.27:                               ;   in Loop: Header=BB27_12 Depth=3
	v_cmp_ge_i32_e32 vcc, v8, v12
	s_and_saveexec_b64 s[30:31], vcc
	s_xor_b64 s[64:65], exec, s[30:31]
	s_cbranch_execz .LBB27_33
; %bb.28:                               ;   in Loop: Header=BB27_12 Depth=3
	v_lshlrev_b64 v[22:23], 3, v[12:13]
	v_mov_b32_e32 v10, s59
	v_add_co_u32_e32 v24, vcc, s58, v22
	v_addc_co_u32_e32 v25, vcc, v10, v23, vcc
	s_andn2_b64 vcc, exec, s[34:35]
	global_store_dwordx2 v[24:25], v[20:21], off
	s_cbranch_vccnz .LBB27_32
; %bb.29:                               ;   in Loop: Header=BB27_12 Depth=3
	v_mov_b32_e32 v10, s57
	v_add_co_u32_e32 v22, vcc, s56, v22
	v_addc_co_u32_e32 v23, vcc, v10, v23, vcc
	global_load_dwordx2 v[22:23], v[22:23], off
	s_waitcnt vmcnt(0)
	v_add_f64 v[20:21], v[22:23], -v[20:21]
	v_cmp_class_f64_e64 s[30:31], v[20:21], s28
	s_and_saveexec_b64 s[68:69], s[30:31]
	s_cbranch_execz .LBB27_31
; %bb.30:                               ;   in Loop: Header=BB27_12 Depth=3
	v_cmp_lt_f64_e64 vcc, v[1:2], |v[20:21]|
	v_and_b32_e32 v10, 0x7fffffff, v21
	v_cndmask_b32_e32 v2, v2, v10, vcc
	v_cndmask_b32_e32 v1, v1, v20, vcc
.LBB27_31:                              ;   in Loop: Header=BB27_12 Depth=3
	s_or_b64 exec, exec, s[68:69]
.LBB27_32:                              ;   in Loop: Header=BB27_12 Depth=3
                                        ; implicit-def: $vgpr20_vgpr21
.LBB27_33:                              ;   in Loop: Header=BB27_12 Depth=3
	s_andn2_saveexec_b64 s[88:89], s[64:65]
	s_cbranch_execz .LBB27_46
; %bb.34:                               ;   in Loop: Header=BB27_12 Depth=3
	v_cmp_lt_i32_e32 vcc, v19, v39
	s_and_saveexec_b64 s[90:91], vcc
	s_cbranch_execz .LBB27_45
; %bb.35:                               ;   in Loop: Header=BB27_12 Depth=3
	s_mov_b64 s[92:93], 0
	v_mov_b32_e32 v10, v19
                                        ; implicit-def: $sgpr94_sgpr95
                                        ; implicit-def: $sgpr68_sgpr69
                                        ; implicit-def: $sgpr64_sgpr65
	s_branch .LBB27_37
.LBB27_36:                              ;   in Loop: Header=BB27_37 Depth=4
	s_or_b64 exec, exec, s[74:75]
	s_and_b64 s[30:31], exec, s[68:69]
	s_or_b64 s[92:93], s[30:31], s[92:93]
	s_andn2_b64 s[30:31], s[94:95], exec
	s_and_b64 s[74:75], s[64:65], exec
	s_or_b64 s[94:95], s[30:31], s[74:75]
	s_andn2_b64 exec, exec, s[92:93]
	s_cbranch_execz .LBB27_39
.LBB27_37:                              ;   Parent Loop BB27_3 Depth=1
                                        ;     Parent Loop BB27_7 Depth=2
                                        ;       Parent Loop BB27_12 Depth=3
                                        ; =>      This Inner Loop Header: Depth=4
	v_add_u32_e32 v22, v18, v10
	v_ashrrev_i32_e32 v23, 31, v22
	v_lshlrev_b64 v[24:25], 2, v[22:23]
	v_mov_b32_e32 v40, s25
	v_add_co_u32_e32 v24, vcc, s24, v24
	v_addc_co_u32_e32 v25, vcc, v40, v25, vcc
	global_load_dword v24, v[24:25], off
	s_or_b64 s[64:65], s[64:65], exec
	s_or_b64 s[68:69], s[68:69], exec
	s_waitcnt vmcnt(0)
	v_subrev_u32_e32 v24, s54, v24
	v_cmp_ne_u32_e32 vcc, v24, v8
	s_and_saveexec_b64 s[74:75], vcc
	s_cbranch_execz .LBB27_36
; %bb.38:                               ;   in Loop: Header=BB27_37 Depth=4
	v_add_u32_e32 v10, 1, v10
	v_cmp_ge_i32_e32 vcc, v10, v39
	s_andn2_b64 s[30:31], s[68:69], exec
	s_and_b64 s[68:69], vcc, exec
	s_andn2_b64 s[64:65], s[64:65], exec
	s_or_b64 s[68:69], s[30:31], s[68:69]
	s_branch .LBB27_36
.LBB27_39:                              ;   in Loop: Header=BB27_12 Depth=3
	s_or_b64 exec, exec, s[92:93]
	s_and_saveexec_b64 s[30:31], s[94:95]
	s_xor_b64 s[64:65], exec, s[30:31]
	s_cbranch_execz .LBB27_44
; %bb.40:                               ;   in Loop: Header=BB27_12 Depth=3
	v_lshlrev_b64 v[22:23], 3, v[22:23]
	v_mov_b32_e32 v10, s73
	v_add_co_u32_e32 v24, vcc, s72, v22
	v_addc_co_u32_e32 v25, vcc, v10, v23, vcc
	s_andn2_b64 vcc, exec, s[34:35]
	global_store_dwordx2 v[24:25], v[20:21], off
	s_cbranch_vccnz .LBB27_44
; %bb.41:                               ;   in Loop: Header=BB27_12 Depth=3
	v_mov_b32_e32 v10, s27
	v_add_co_u32_e32 v22, vcc, s26, v22
	v_addc_co_u32_e32 v23, vcc, v10, v23, vcc
	global_load_dwordx2 v[22:23], v[22:23], off
	s_waitcnt vmcnt(0)
	v_add_f64 v[20:21], v[22:23], -v[20:21]
	v_cmp_class_f64_e64 s[30:31], v[20:21], s28
	s_and_saveexec_b64 s[68:69], s[30:31]
	s_cbranch_execz .LBB27_43
; %bb.42:                               ;   in Loop: Header=BB27_12 Depth=3
	v_cmp_lt_f64_e64 vcc, v[1:2], |v[20:21]|
	v_and_b32_e32 v10, 0x7fffffff, v21
	v_cndmask_b32_e32 v2, v2, v10, vcc
	v_cndmask_b32_e32 v1, v1, v20, vcc
.LBB27_43:                              ;   in Loop: Header=BB27_12 Depth=3
	s_or_b64 exec, exec, s[68:69]
.LBB27_44:                              ;   in Loop: Header=BB27_12 Depth=3
	s_or_b64 exec, exec, s[64:65]
.LBB27_45:                              ;   in Loop: Header=BB27_12 Depth=3
	s_or_b64 exec, exec, s[90:91]
.LBB27_46:                              ;   in Loop: Header=BB27_12 Depth=3
	s_or_b64 exec, exec, s[88:89]
                                        ; implicit-def: $vgpr20_vgpr21
.LBB27_47:                              ;   in Loop: Header=BB27_12 Depth=3
	s_andn2_saveexec_b64 s[4:5], s[4:5]
	s_cbranch_execz .LBB27_60
; %bb.48:                               ;   in Loop: Header=BB27_12 Depth=3
	v_cmp_lt_i32_e32 vcc, v6, v34
	s_and_saveexec_b64 s[88:89], vcc
	s_cbranch_execz .LBB27_59
; %bb.49:                               ;   in Loop: Header=BB27_12 Depth=3
	s_mov_b64 s[90:91], 0
	v_mov_b32_e32 v10, v6
                                        ; implicit-def: $sgpr92_sgpr93
                                        ; implicit-def: $sgpr68_sgpr69
                                        ; implicit-def: $sgpr64_sgpr65
	s_branch .LBB27_51
.LBB27_50:                              ;   in Loop: Header=BB27_51 Depth=4
	s_or_b64 exec, exec, s[94:95]
	s_and_b64 s[30:31], exec, s[68:69]
	s_or_b64 s[90:91], s[30:31], s[90:91]
	s_andn2_b64 s[30:31], s[92:93], exec
	s_and_b64 s[74:75], s[64:65], exec
	s_or_b64 s[92:93], s[30:31], s[74:75]
	s_andn2_b64 exec, exec, s[90:91]
	s_cbranch_execz .LBB27_53
.LBB27_51:                              ;   Parent Loop BB27_3 Depth=1
                                        ;     Parent Loop BB27_7 Depth=2
                                        ;       Parent Loop BB27_12 Depth=3
                                        ; =>      This Inner Loop Header: Depth=4
	v_add_u32_e32 v22, v11, v10
	v_ashrrev_i32_e32 v23, 31, v22
	v_lshlrev_b64 v[24:25], 2, v[22:23]
	v_mov_b32_e32 v40, s41
	v_add_co_u32_e32 v24, vcc, s40, v24
	v_addc_co_u32_e32 v25, vcc, v40, v25, vcc
	global_load_dword v24, v[24:25], off
	s_or_b64 s[64:65], s[64:65], exec
	s_or_b64 s[68:69], s[68:69], exec
	s_waitcnt vmcnt(0)
	v_subrev_u32_e32 v24, s53, v24
	v_cmp_ne_u32_e32 vcc, v24, v12
	s_and_saveexec_b64 s[94:95], vcc
	s_cbranch_execz .LBB27_50
; %bb.52:                               ;   in Loop: Header=BB27_51 Depth=4
	v_add_u32_e32 v10, 1, v10
	v_cmp_ge_i32_e32 vcc, v10, v34
	s_andn2_b64 s[30:31], s[68:69], exec
	s_and_b64 s[68:69], vcc, exec
	s_andn2_b64 s[64:65], s[64:65], exec
	s_or_b64 s[68:69], s[30:31], s[68:69]
	s_branch .LBB27_50
.LBB27_53:                              ;   in Loop: Header=BB27_12 Depth=3
	s_or_b64 exec, exec, s[90:91]
	s_and_saveexec_b64 s[30:31], s[92:93]
	s_xor_b64 s[64:65], exec, s[30:31]
	s_cbranch_execz .LBB27_58
; %bb.54:                               ;   in Loop: Header=BB27_12 Depth=3
	v_lshlrev_b64 v[22:23], 3, v[22:23]
	v_mov_b32_e32 v10, s71
	v_add_co_u32_e32 v24, vcc, s70, v22
	v_addc_co_u32_e32 v25, vcc, v10, v23, vcc
	s_andn2_b64 vcc, exec, s[34:35]
	global_store_dwordx2 v[24:25], v[20:21], off
	s_cbranch_vccnz .LBB27_58
; %bb.55:                               ;   in Loop: Header=BB27_12 Depth=3
	v_mov_b32_e32 v10, s43
	v_add_co_u32_e32 v22, vcc, s42, v22
	v_addc_co_u32_e32 v23, vcc, v10, v23, vcc
	global_load_dwordx2 v[22:23], v[22:23], off
	s_waitcnt vmcnt(0)
	v_add_f64 v[20:21], v[22:23], -v[20:21]
	v_cmp_class_f64_e64 s[30:31], v[20:21], s28
	s_and_saveexec_b64 s[68:69], s[30:31]
	s_cbranch_execz .LBB27_57
; %bb.56:                               ;   in Loop: Header=BB27_12 Depth=3
	v_cmp_lt_f64_e64 vcc, v[1:2], |v[20:21]|
	v_and_b32_e32 v10, 0x7fffffff, v21
	v_cndmask_b32_e32 v2, v2, v10, vcc
	v_cndmask_b32_e32 v1, v1, v20, vcc
.LBB27_57:                              ;   in Loop: Header=BB27_12 Depth=3
	s_or_b64 exec, exec, s[68:69]
.LBB27_58:                              ;   in Loop: Header=BB27_12 Depth=3
	s_or_b64 exec, exec, s[64:65]
.LBB27_59:                              ;   in Loop: Header=BB27_12 Depth=3
	s_or_b64 exec, exec, s[88:89]
.LBB27_60:                              ;   in Loop: Header=BB27_12 Depth=3
	s_or_b64 exec, exec, s[4:5]
	s_or_b64 exec, exec, s[86:87]
	s_and_b64 s[30:31], s[18:19], s[84:85]
	s_and_saveexec_b64 s[4:5], s[30:31]
	s_cbranch_execz .LBB27_11
.LBB27_61:                              ;   in Loop: Header=BB27_12 Depth=3
	v_cmp_ge_i32_e32 vcc, v19, v39
	s_and_saveexec_b64 s[30:31], vcc
	s_xor_b64 s[84:85], exec, s[30:31]
	s_cbranch_execnz .LBB27_67
; %bb.62:                               ;   in Loop: Header=BB27_12 Depth=3
	s_andn2_saveexec_b64 s[84:85], s[84:85]
	s_cbranch_execnz .LBB27_76
.LBB27_63:                              ;   in Loop: Header=BB27_12 Depth=3
	s_or_b64 exec, exec, s[84:85]
	v_cmp_eq_u32_e32 vcc, v8, v12
	s_and_saveexec_b64 s[64:65], vcc
	s_cbranch_execz .LBB27_65
.LBB27_64:                              ;   in Loop: Header=BB27_12 Depth=3
	v_lshlrev_b64 v[12:13], 3, v[12:13]
	v_mov_b32_e32 v6, s57
	v_add_co_u32_e32 v12, vcc, s56, v12
	v_addc_co_u32_e32 v13, vcc, v6, v13, vcc
	global_load_dwordx2 v[12:13], v[12:13], off
	s_waitcnt vmcnt(0)
	v_add_f64 v[14:15], v[14:15], v[12:13]
.LBB27_65:                              ;   in Loop: Header=BB27_12 Depth=3
	s_or_b64 exec, exec, s[64:65]
	v_add_f64 v[12:13], v[16:17], -v[14:15]
	v_cmp_class_f64_e64 s[30:31], v[12:13], s28
	s_and_saveexec_b64 s[64:65], s[30:31]
	s_cbranch_execz .LBB27_10
; %bb.66:                               ;   in Loop: Header=BB27_12 Depth=3
	v_cmp_lt_f64_e64 vcc, v[4:5], |v[12:13]|
	v_and_b32_e32 v6, 0x7fffffff, v13
	v_cndmask_b32_e32 v5, v5, v6, vcc
	v_cndmask_b32_e32 v4, v4, v12, vcc
	s_branch .LBB27_10
.LBB27_67:                              ;   in Loop: Header=BB27_12 Depth=3
	v_cmp_lt_i32_e32 vcc, v6, v34
	s_and_saveexec_b64 s[86:87], vcc
	s_cbranch_execz .LBB27_75
; %bb.68:                               ;   in Loop: Header=BB27_12 Depth=3
	s_mov_b64 s[88:89], 0
                                        ; implicit-def: $sgpr90_sgpr91
                                        ; implicit-def: $sgpr68_sgpr69
                                        ; implicit-def: $sgpr64_sgpr65
	s_branch .LBB27_70
.LBB27_69:                              ;   in Loop: Header=BB27_70 Depth=4
	s_or_b64 exec, exec, s[74:75]
	s_and_b64 s[30:31], exec, s[68:69]
	s_or_b64 s[88:89], s[30:31], s[88:89]
	s_andn2_b64 s[30:31], s[90:91], exec
	s_and_b64 s[74:75], s[64:65], exec
	s_or_b64 s[90:91], s[30:31], s[74:75]
	s_andn2_b64 exec, exec, s[88:89]
	s_cbranch_execz .LBB27_72
.LBB27_70:                              ;   Parent Loop BB27_3 Depth=1
                                        ;     Parent Loop BB27_7 Depth=2
                                        ;       Parent Loop BB27_12 Depth=3
                                        ; =>      This Inner Loop Header: Depth=4
	v_add_u32_e32 v18, v11, v6
	v_ashrrev_i32_e32 v19, 31, v18
	v_lshlrev_b64 v[20:21], 2, v[18:19]
	v_mov_b32_e32 v10, s41
	v_add_co_u32_e32 v20, vcc, s40, v20
	v_addc_co_u32_e32 v21, vcc, v10, v21, vcc
	global_load_dword v10, v[20:21], off
	s_or_b64 s[64:65], s[64:65], exec
	s_or_b64 s[68:69], s[68:69], exec
	s_waitcnt vmcnt(0)
	v_subrev_u32_e32 v10, s53, v10
	v_cmp_ne_u32_e32 vcc, v10, v12
	s_and_saveexec_b64 s[74:75], vcc
	s_cbranch_execz .LBB27_69
; %bb.71:                               ;   in Loop: Header=BB27_70 Depth=4
	v_add_u32_e32 v6, 1, v6
	v_cmp_ge_i32_e32 vcc, v6, v34
	s_andn2_b64 s[30:31], s[68:69], exec
	s_and_b64 s[68:69], vcc, exec
	s_andn2_b64 s[64:65], s[64:65], exec
	s_or_b64 s[68:69], s[30:31], s[68:69]
	s_branch .LBB27_69
.LBB27_72:                              ;   in Loop: Header=BB27_12 Depth=3
	s_or_b64 exec, exec, s[88:89]
	s_and_saveexec_b64 s[30:31], s[90:91]
	s_xor_b64 s[64:65], exec, s[30:31]
	s_cbranch_execz .LBB27_74
; %bb.73:                               ;   in Loop: Header=BB27_12 Depth=3
	v_lshlrev_b64 v[18:19], 3, v[18:19]
	v_mov_b32_e32 v6, s43
	v_add_co_u32_e32 v18, vcc, s42, v18
	v_lshlrev_b64 v[20:21], 3, v[12:13]
	v_addc_co_u32_e32 v19, vcc, v6, v19, vcc
	v_mov_b32_e32 v6, s57
	v_add_co_u32_e32 v20, vcc, s56, v20
	v_addc_co_u32_e32 v21, vcc, v6, v21, vcc
	global_load_dwordx2 v[18:19], v[18:19], off
	s_nop 0
	global_load_dwordx2 v[20:21], v[20:21], off
	s_waitcnt vmcnt(0)
	v_fma_f64 v[14:15], v[18:19], v[20:21], v[14:15]
.LBB27_74:                              ;   in Loop: Header=BB27_12 Depth=3
	s_or_b64 exec, exec, s[64:65]
.LBB27_75:                              ;   in Loop: Header=BB27_12 Depth=3
	s_or_b64 exec, exec, s[86:87]
                                        ; implicit-def: $vgpr19
                                        ; implicit-def: $vgpr18
                                        ; implicit-def: $vgpr39
	s_andn2_saveexec_b64 s[84:85], s[84:85]
	s_cbranch_execz .LBB27_63
.LBB27_76:                              ;   in Loop: Header=BB27_12 Depth=3
	s_mov_b64 s[86:87], 0
                                        ; implicit-def: $sgpr88_sgpr89
                                        ; implicit-def: $sgpr68_sgpr69
                                        ; implicit-def: $sgpr64_sgpr65
	s_branch .LBB27_78
.LBB27_77:                              ;   in Loop: Header=BB27_78 Depth=4
	s_or_b64 exec, exec, s[74:75]
	s_and_b64 s[30:31], exec, s[68:69]
	s_or_b64 s[86:87], s[30:31], s[86:87]
	s_andn2_b64 s[30:31], s[88:89], exec
	s_and_b64 s[74:75], s[64:65], exec
	s_or_b64 s[88:89], s[30:31], s[74:75]
	s_andn2_b64 exec, exec, s[86:87]
	s_cbranch_execz .LBB27_80
.LBB27_78:                              ;   Parent Loop BB27_3 Depth=1
                                        ;     Parent Loop BB27_7 Depth=2
                                        ;       Parent Loop BB27_12 Depth=3
                                        ; =>      This Inner Loop Header: Depth=4
	v_add_u32_e32 v20, v18, v19
	v_ashrrev_i32_e32 v21, 31, v20
	v_lshlrev_b64 v[22:23], 2, v[20:21]
	v_mov_b32_e32 v6, s25
	v_add_co_u32_e32 v22, vcc, s24, v22
	v_addc_co_u32_e32 v23, vcc, v6, v23, vcc
	global_load_dword v6, v[22:23], off
	s_or_b64 s[64:65], s[64:65], exec
	s_or_b64 s[68:69], s[68:69], exec
	s_waitcnt vmcnt(0)
	v_subrev_u32_e32 v6, s54, v6
	v_cmp_ne_u32_e32 vcc, v6, v8
	s_and_saveexec_b64 s[74:75], vcc
	s_cbranch_execz .LBB27_77
; %bb.79:                               ;   in Loop: Header=BB27_78 Depth=4
	v_add_u32_e32 v19, 1, v19
	v_cmp_ge_i32_e32 vcc, v19, v39
	s_andn2_b64 s[30:31], s[68:69], exec
	s_and_b64 s[68:69], vcc, exec
	s_andn2_b64 s[64:65], s[64:65], exec
	s_or_b64 s[68:69], s[30:31], s[68:69]
	s_branch .LBB27_77
.LBB27_80:                              ;   in Loop: Header=BB27_12 Depth=3
	s_or_b64 exec, exec, s[86:87]
	s_and_saveexec_b64 s[30:31], s[88:89]
	s_xor_b64 s[64:65], exec, s[30:31]
	s_cbranch_execz .LBB27_82
; %bb.81:                               ;   in Loop: Header=BB27_12 Depth=3
	v_lshlrev_b64 v[18:19], 3, v[20:21]
	v_mov_b32_e32 v6, s27
	v_add_co_u32_e32 v18, vcc, s26, v18
	v_addc_co_u32_e32 v19, vcc, v6, v19, vcc
	global_load_dwordx2 v[18:19], v[18:19], off
	s_waitcnt vmcnt(0)
	v_add_f64 v[14:15], v[14:15], v[18:19]
.LBB27_82:                              ;   in Loop: Header=BB27_12 Depth=3
	s_or_b64 exec, exec, s[64:65]
	s_or_b64 exec, exec, s[84:85]
	v_cmp_eq_u32_e32 vcc, v8, v12
	s_and_saveexec_b64 s[64:65], vcc
	s_cbranch_execnz .LBB27_64
	s_branch .LBB27_65
.LBB27_83:                              ;   in Loop: Header=BB27_3 Depth=1
	s_and_b64 vcc, exec, s[34:35]
	s_cbranch_vccnz .LBB27_86
; %bb.84:                               ;   in Loop: Header=BB27_3 Depth=1
	s_andn2_b64 vcc, exec, s[18:19]
	s_cbranch_vccz .LBB27_97
.LBB27_85:                              ;   in Loop: Header=BB27_3 Depth=1
	s_and_saveexec_b64 s[4:5], s[0:1]
	s_cbranch_execnz .LBB27_108
	s_branch .LBB27_119
.LBB27_86:                              ;   in Loop: Header=BB27_3 Depth=1
	v_mov_b32_dpp v8, v1 row_shr:1 row_mask:0xf bank_mask:0xf
	v_mov_b32_dpp v9, v2 row_shr:1 row_mask:0xf bank_mask:0xf
	v_cmp_lt_f64_e32 vcc, v[1:2], v[8:9]
	v_cndmask_b32_e32 v2, v2, v9, vcc
	v_cndmask_b32_e32 v1, v1, v8, vcc
	s_nop 0
	v_mov_b32_dpp v9, v2 row_shr:2 row_mask:0xf bank_mask:0xf
	v_mov_b32_dpp v8, v1 row_shr:2 row_mask:0xf bank_mask:0xf
	v_cmp_lt_f64_e32 vcc, v[1:2], v[8:9]
	v_cndmask_b32_e32 v2, v2, v9, vcc
	v_cndmask_b32_e32 v1, v1, v8, vcc
	s_nop 0
	;; [unrolled: 6-line block ×4, first 2 shown]
	v_mov_b32_dpp v9, v2 row_bcast:15 row_mask:0xa bank_mask:0xf
	v_mov_b32_dpp v8, v1 row_bcast:15 row_mask:0xa bank_mask:0xf
	v_cmp_lt_f64_e32 vcc, v[1:2], v[8:9]
	v_cndmask_b32_e32 v2, v2, v9, vcc
	v_cndmask_b32_e32 v1, v1, v8, vcc
	s_nop 0
	v_mov_b32_dpp v3, v2 row_bcast:31 row_mask:0xc bank_mask:0xf
	v_mov_b32_dpp v8, v1 row_bcast:31 row_mask:0xc bank_mask:0xf
	s_and_saveexec_b64 s[4:5], s[2:3]
	s_cbranch_execz .LBB27_88
; %bb.87:                               ;   in Loop: Header=BB27_3 Depth=1
	v_mov_b32_e32 v9, v3
	v_cmp_lt_f64_e32 vcc, v[1:2], v[8:9]
	v_cndmask_b32_e32 v2, v2, v3, vcc
	v_cndmask_b32_e32 v1, v1, v8, vcc
	ds_write_b64 v31, v[1:2]
.LBB27_88:                              ;   in Loop: Header=BB27_3 Depth=1
	s_or_b64 exec, exec, s[4:5]
	s_waitcnt vmcnt(0) lgkmcnt(0)
	s_barrier
	s_and_saveexec_b64 s[4:5], s[16:17]
	s_cbranch_execz .LBB27_90
; %bb.89:                               ;   in Loop: Header=BB27_3 Depth=1
	ds_read2_b64 v[8:11], v29 offset1:8
	s_waitcnt lgkmcnt(0)
	v_cmp_lt_f64_e32 vcc, v[8:9], v[10:11]
	v_cndmask_b32_e32 v2, v9, v11, vcc
	v_cndmask_b32_e32 v1, v8, v10, vcc
	ds_write_b64 v29, v[1:2]
.LBB27_90:                              ;   in Loop: Header=BB27_3 Depth=1
	s_or_b64 exec, exec, s[4:5]
	s_waitcnt lgkmcnt(0)
	s_barrier
	s_and_saveexec_b64 s[4:5], s[6:7]
	s_cbranch_execz .LBB27_92
; %bb.91:                               ;   in Loop: Header=BB27_3 Depth=1
	ds_read2_b64 v[8:11], v29 offset1:4
	s_waitcnt lgkmcnt(0)
	v_cmp_lt_f64_e32 vcc, v[8:9], v[10:11]
	v_cndmask_b32_e32 v2, v9, v11, vcc
	v_cndmask_b32_e32 v1, v8, v10, vcc
	ds_write_b64 v29, v[1:2]
.LBB27_92:                              ;   in Loop: Header=BB27_3 Depth=1
	s_or_b64 exec, exec, s[4:5]
	s_waitcnt lgkmcnt(0)
	;; [unrolled: 13-line block ×3, first 2 shown]
	s_barrier
	s_and_saveexec_b64 s[4:5], s[10:11]
	s_cbranch_execz .LBB27_96
; %bb.95:                               ;   in Loop: Header=BB27_3 Depth=1
	ds_read_b128 v[8:11], v7
	s_waitcnt lgkmcnt(0)
	v_cmp_lt_f64_e32 vcc, v[8:9], v[10:11]
	v_cndmask_b32_e32 v2, v9, v11, vcc
	v_cndmask_b32_e32 v1, v8, v10, vcc
	ds_write_b64 v7, v[1:2]
.LBB27_96:                              ;   in Loop: Header=BB27_3 Depth=1
	s_or_b64 exec, exec, s[4:5]
	s_waitcnt lgkmcnt(0)
	s_barrier
	ds_read_b64 v[1:2], v7
	s_load_dwordx2 s[4:5], s[66:67], 0x0
	s_waitcnt lgkmcnt(0)
	v_div_scale_f64 v[8:9], s[14:15], s[4:5], s[4:5], v[1:2]
	v_div_scale_f64 v[14:15], vcc, v[1:2], s[4:5], v[1:2]
	v_rcp_f64_e32 v[10:11], v[8:9]
	v_fma_f64 v[12:13], -v[8:9], v[10:11], 1.0
	v_fma_f64 v[10:11], v[10:11], v[12:13], v[10:11]
	v_fma_f64 v[12:13], -v[8:9], v[10:11], 1.0
	v_fma_f64 v[10:11], v[10:11], v[12:13], v[10:11]
	v_mul_f64 v[12:13], v[14:15], v[10:11]
	v_fma_f64 v[8:9], -v[8:9], v[12:13], v[14:15]
	v_div_fmas_f64 v[8:9], v[8:9], v[10:11], v[12:13]
	v_div_fixup_f64 v[1:2], v[8:9], s[4:5], v[1:2]
	s_andn2_b64 vcc, exec, s[18:19]
	s_cbranch_vccnz .LBB27_85
.LBB27_97:                              ;   in Loop: Header=BB27_3 Depth=1
	v_mov_b32_dpp v8, v4 row_shr:1 row_mask:0xf bank_mask:0xf
	v_mov_b32_dpp v9, v5 row_shr:1 row_mask:0xf bank_mask:0xf
	v_cmp_lt_f64_e32 vcc, v[4:5], v[8:9]
	v_cndmask_b32_e32 v5, v5, v9, vcc
	v_cndmask_b32_e32 v4, v4, v8, vcc
	s_nop 0
	v_mov_b32_dpp v9, v5 row_shr:2 row_mask:0xf bank_mask:0xf
	v_mov_b32_dpp v8, v4 row_shr:2 row_mask:0xf bank_mask:0xf
	v_cmp_lt_f64_e32 vcc, v[4:5], v[8:9]
	v_cndmask_b32_e32 v5, v5, v9, vcc
	v_cndmask_b32_e32 v4, v4, v8, vcc
	s_nop 0
	;; [unrolled: 6-line block ×4, first 2 shown]
	v_mov_b32_dpp v9, v6 row_bcast:15 row_mask:0xa bank_mask:0xf
	v_mov_b32_dpp v8, v5 row_bcast:15 row_mask:0xa bank_mask:0xf
	v_cmp_lt_f64_e32 vcc, v[5:6], v[8:9]
	v_cndmask_b32_e32 v4, v6, v9, vcc
	v_cndmask_b32_e32 v3, v5, v8, vcc
	s_nop 0
	v_mov_b32_dpp v8, v4 row_bcast:31 row_mask:0xc bank_mask:0xf
	v_mov_b32_dpp v5, v3 row_bcast:31 row_mask:0xc bank_mask:0xf
	s_and_saveexec_b64 s[4:5], s[2:3]
	s_cbranch_execz .LBB27_99
; %bb.98:                               ;   in Loop: Header=BB27_3 Depth=1
	v_mov_b32_e32 v6, v8
	v_cmp_lt_f64_e32 vcc, v[3:4], v[5:6]
	v_cndmask_b32_e32 v4, v4, v8, vcc
	v_cndmask_b32_e32 v3, v3, v5, vcc
	ds_write_b64 v31, v[3:4]
.LBB27_99:                              ;   in Loop: Header=BB27_3 Depth=1
	s_or_b64 exec, exec, s[4:5]
	s_waitcnt vmcnt(0) lgkmcnt(0)
	s_barrier
	s_and_saveexec_b64 s[4:5], s[16:17]
	s_cbranch_execz .LBB27_101
; %bb.100:                              ;   in Loop: Header=BB27_3 Depth=1
	ds_read2_b64 v[3:6], v29 offset1:8
	s_waitcnt lgkmcnt(0)
	v_cmp_lt_f64_e32 vcc, v[3:4], v[5:6]
	v_cndmask_b32_e32 v4, v4, v6, vcc
	v_cndmask_b32_e32 v3, v3, v5, vcc
	ds_write_b64 v29, v[3:4]
.LBB27_101:                             ;   in Loop: Header=BB27_3 Depth=1
	s_or_b64 exec, exec, s[4:5]
	s_waitcnt lgkmcnt(0)
	s_barrier
	s_and_saveexec_b64 s[4:5], s[6:7]
	s_cbranch_execz .LBB27_103
; %bb.102:                              ;   in Loop: Header=BB27_3 Depth=1
	ds_read2_b64 v[3:6], v29 offset1:4
	s_waitcnt lgkmcnt(0)
	v_cmp_lt_f64_e32 vcc, v[3:4], v[5:6]
	v_cndmask_b32_e32 v4, v4, v6, vcc
	v_cndmask_b32_e32 v3, v3, v5, vcc
	ds_write_b64 v29, v[3:4]
.LBB27_103:                             ;   in Loop: Header=BB27_3 Depth=1
	s_or_b64 exec, exec, s[4:5]
	s_waitcnt lgkmcnt(0)
	;; [unrolled: 13-line block ×3, first 2 shown]
	s_barrier
	s_and_saveexec_b64 s[4:5], s[10:11]
	s_cbranch_execz .LBB27_107
; %bb.106:                              ;   in Loop: Header=BB27_3 Depth=1
	ds_read_b128 v[3:6], v7
	s_waitcnt lgkmcnt(0)
	v_cmp_lt_f64_e32 vcc, v[3:4], v[5:6]
	v_cndmask_b32_e32 v4, v4, v6, vcc
	v_cndmask_b32_e32 v3, v3, v5, vcc
	ds_write_b64 v7, v[3:4]
.LBB27_107:                             ;   in Loop: Header=BB27_3 Depth=1
	s_or_b64 exec, exec, s[4:5]
	s_waitcnt lgkmcnt(0)
	s_barrier
	ds_read_b64 v[3:4], v7
	s_load_dwordx2 s[4:5], s[66:67], 0x0
	s_waitcnt lgkmcnt(0)
	v_div_scale_f64 v[5:6], s[14:15], s[4:5], s[4:5], v[3:4]
	v_div_scale_f64 v[12:13], vcc, v[3:4], s[4:5], v[3:4]
	v_rcp_f64_e32 v[8:9], v[5:6]
	v_fma_f64 v[10:11], -v[5:6], v[8:9], 1.0
	v_fma_f64 v[8:9], v[8:9], v[10:11], v[8:9]
	v_fma_f64 v[10:11], -v[5:6], v[8:9], 1.0
	v_fma_f64 v[8:9], v[8:9], v[10:11], v[8:9]
	v_mul_f64 v[10:11], v[12:13], v[8:9]
	v_fma_f64 v[5:6], -v[5:6], v[10:11], v[12:13]
	v_div_fmas_f64 v[5:6], v[5:6], v[8:9], v[10:11]
	v_div_fixup_f64 v[4:5], v[5:6], s[4:5], v[3:4]
	s_and_saveexec_b64 s[4:5], s[0:1]
	s_cbranch_execz .LBB27_119
.LBB27_108:                             ;   in Loop: Header=BB27_3 Depth=1
	s_mov_b64 s[14:15], 0
	v_mov_b32_e32 v8, v28
	s_branch .LBB27_110
.LBB27_109:                             ;   in Loop: Header=BB27_110 Depth=2
	s_or_b64 exec, exec, s[78:79]
	v_add_u32_e32 v8, 16, v8
	v_cmp_le_u32_e32 vcc, s55, v8
	s_or_b64 s[14:15], vcc, s[14:15]
	s_andn2_b64 exec, exec, s[14:15]
	s_cbranch_execz .LBB27_119
.LBB27_110:                             ;   Parent Loop BB27_3 Depth=1
                                        ; =>  This Loop Header: Depth=2
                                        ;       Child Loop BB27_113 Depth 3
                                        ;       Child Loop BB27_116 Depth 3
	v_cmp_gt_i32_e32 vcc, s33, v8
	s_and_saveexec_b64 s[78:79], vcc
	s_cbranch_execz .LBB27_109
; %bb.111:                              ;   in Loop: Header=BB27_110 Depth=2
	v_ashrrev_i32_e32 v9, 31, v8
	v_lshlrev_b64 v[10:11], 2, v[8:9]
	v_mov_b32_e32 v3, s37
	v_add_co_u32_e32 v12, vcc, s36, v10
	v_addc_co_u32_e32 v13, vcc, v3, v11, vcc
	global_load_dword v3, v[12:13], off
	v_mov_b32_e32 v6, s39
	v_add_co_u32_e32 v12, vcc, s38, v10
	v_addc_co_u32_e32 v13, vcc, v6, v11, vcc
	global_load_dword v6, v[12:13], off
	s_waitcnt vmcnt(1)
	v_add_u32_e32 v12, v32, v3
	s_waitcnt vmcnt(0)
	v_subrev_u32_e32 v3, s53, v6
	v_cmp_lt_i32_e32 vcc, v12, v3
	s_and_saveexec_b64 s[64:65], vcc
	s_cbranch_execz .LBB27_114
; %bb.112:                              ;   in Loop: Header=BB27_110 Depth=2
	v_ashrrev_i32_e32 v13, 31, v12
	v_lshlrev_b64 v[15:16], 3, v[12:13]
	v_mov_b32_e32 v6, s71
	v_add_co_u32_e32 v13, vcc, s70, v15
	v_addc_co_u32_e32 v14, vcc, v6, v16, vcc
	v_mov_b32_e32 v6, s43
	v_add_co_u32_e32 v15, vcc, s42, v15
	v_addc_co_u32_e32 v16, vcc, v6, v16, vcc
	s_mov_b64 s[68:69], 0
.LBB27_113:                             ;   Parent Loop BB27_3 Depth=1
                                        ;     Parent Loop BB27_110 Depth=2
                                        ; =>    This Inner Loop Header: Depth=3
	global_load_dwordx2 v[17:18], v[13:14], off
	v_add_co_u32_e32 v13, vcc, 0x200, v13
	v_add_u32_e32 v12, 64, v12
	v_addc_co_u32_e32 v14, vcc, 0, v14, vcc
	v_cmp_ge_i32_e32 vcc, v12, v3
	s_or_b64 s[68:69], vcc, s[68:69]
	s_waitcnt vmcnt(0)
	global_store_dwordx2 v[15:16], v[17:18], off
	v_add_co_u32_e32 v15, vcc, 0x200, v15
	v_addc_co_u32_e32 v16, vcc, 0, v16, vcc
	s_andn2_b64 exec, exec, s[68:69]
	s_cbranch_execnz .LBB27_113
.LBB27_114:                             ;   in Loop: Header=BB27_110 Depth=2
	s_or_b64 exec, exec, s[64:65]
	v_mov_b32_e32 v3, s21
	v_add_co_u32_e32 v12, vcc, s20, v10
	v_addc_co_u32_e32 v13, vcc, v3, v11, vcc
	v_mov_b32_e32 v6, s23
	v_add_co_u32_e32 v10, vcc, s22, v10
	v_addc_co_u32_e32 v11, vcc, v6, v11, vcc
	global_load_dword v3, v[12:13], off
	global_load_dword v6, v[10:11], off
	s_waitcnt vmcnt(1)
	v_add_u32_e32 v10, v33, v3
	s_waitcnt vmcnt(0)
	v_subrev_u32_e32 v3, s54, v6
	v_cmp_lt_i32_e32 vcc, v10, v3
	s_and_saveexec_b64 s[64:65], vcc
	s_cbranch_execz .LBB27_117
; %bb.115:                              ;   in Loop: Header=BB27_110 Depth=2
	v_ashrrev_i32_e32 v11, 31, v10
	v_lshlrev_b64 v[13:14], 3, v[10:11]
	v_mov_b32_e32 v6, s73
	v_add_co_u32_e32 v11, vcc, s72, v13
	v_addc_co_u32_e32 v12, vcc, v6, v14, vcc
	v_mov_b32_e32 v6, s27
	v_add_co_u32_e32 v13, vcc, s26, v13
	v_addc_co_u32_e32 v14, vcc, v6, v14, vcc
	s_mov_b64 s[68:69], 0
.LBB27_116:                             ;   Parent Loop BB27_3 Depth=1
                                        ;     Parent Loop BB27_110 Depth=2
                                        ; =>    This Inner Loop Header: Depth=3
	global_load_dwordx2 v[15:16], v[11:12], off
	v_add_co_u32_e32 v11, vcc, 0x200, v11
	v_add_u32_e32 v10, 64, v10
	v_addc_co_u32_e32 v12, vcc, 0, v12, vcc
	v_cmp_ge_i32_e32 vcc, v10, v3
	s_or_b64 s[68:69], vcc, s[68:69]
	s_waitcnt vmcnt(0)
	global_store_dwordx2 v[13:14], v[15:16], off
	v_add_co_u32_e32 v13, vcc, 0x200, v13
	v_addc_co_u32_e32 v14, vcc, 0, v14, vcc
	s_andn2_b64 exec, exec, s[68:69]
	s_cbranch_execnz .LBB27_116
.LBB27_117:                             ;   in Loop: Header=BB27_110 Depth=2
	s_or_b64 exec, exec, s[64:65]
	s_and_b64 exec, exec, s[12:13]
	s_cbranch_execz .LBB27_109
; %bb.118:                              ;   in Loop: Header=BB27_110 Depth=2
	v_lshlrev_b64 v[9:10], 3, v[8:9]
	v_mov_b32_e32 v3, s59
	v_add_co_u32_e32 v11, vcc, s58, v9
	v_addc_co_u32_e32 v12, vcc, v3, v10, vcc
	global_load_dwordx2 v[11:12], v[11:12], off
	v_mov_b32_e32 v3, s57
	v_add_co_u32_e32 v9, vcc, s56, v9
	v_addc_co_u32_e32 v10, vcc, v3, v10, vcc
	s_waitcnt vmcnt(0)
	global_store_dwordx2 v[9:10], v[11:12], off
	s_branch .LBB27_109
.LBB27_119:                             ;   in Loop: Header=BB27_3 Depth=1
	s_or_b64 exec, exec, s[4:5]
	s_mov_b64 s[14:15], -1
	s_and_b64 vcc, exec, s[60:61]
	s_mov_b64 s[64:65], -1
	s_cbranch_vccz .LBB27_129
; %bb.120:                              ;   in Loop: Header=BB27_3 Depth=1
	v_readlane_b32 s30, v46, 12
	v_readlane_b32 s31, v46, 13
	s_mov_b64 s[4:5], -1
	s_and_b64 vcc, exec, s[30:31]
                                        ; implicit-def: $sgpr64_sgpr65
	s_cbranch_vccz .LBB27_126
; %bb.121:                              ;   in Loop: Header=BB27_3 Depth=1
	v_readlane_b32 s30, v46, 10
	v_readlane_b32 s31, v46, 11
	s_and_b64 vcc, exec, s[30:31]
                                        ; implicit-def: $sgpr64_sgpr65
	s_cbranch_vccz .LBB27_123
; %bb.122:                              ;   in Loop: Header=BB27_3 Depth=1
	v_readlane_b32 s80, v46, 0
	v_readlane_b32 s82, v46, 2
	;; [unrolled: 1-line block ×4, first 2 shown]
	v_cmp_ge_f64_e64 s[64:65], s[82:83], v[4:5]
	s_mov_b64 s[4:5], 0
.LBB27_123:                             ;   in Loop: Header=BB27_3 Depth=1
	s_andn2_b64 vcc, exec, s[4:5]
	s_cbranch_vccnz .LBB27_125
; %bb.124:                              ;   in Loop: Header=BB27_3 Depth=1
	v_readlane_b32 s80, v46, 0
	v_readlane_b32 s82, v46, 2
	;; [unrolled: 1-line block ×3, first 2 shown]
	v_cmp_ge_f64_e32 vcc, s[82:83], v[1:2]
	s_andn2_b64 s[4:5], s[64:65], exec
	v_readlane_b32 s81, v46, 1
	s_and_b64 s[30:31], vcc, exec
	s_or_b64 s[64:65], s[4:5], s[30:31]
.LBB27_125:                             ;   in Loop: Header=BB27_3 Depth=1
	s_mov_b64 s[4:5], 0
.LBB27_126:                             ;   in Loop: Header=BB27_3 Depth=1
	s_andn2_b64 vcc, exec, s[4:5]
	s_cbranch_vccnz .LBB27_128
; %bb.127:                              ;   in Loop: Header=BB27_3 Depth=1
	v_readlane_b32 s80, v46, 0
	v_readlane_b32 s82, v46, 2
	v_readlane_b32 s83, v46, 3
	v_cmp_ge_f64_e32 vcc, s[82:83], v[1:2]
	v_cmp_ge_f64_e64 s[4:5], s[82:83], v[4:5]
	s_andn2_b64 s[30:31], s[64:65], exec
	v_readlane_b32 s81, v46, 1
	s_and_b64 s[4:5], vcc, s[4:5]
	s_and_b64 s[4:5], s[4:5], exec
	s_or_b64 s[64:65], s[30:31], s[4:5]
.LBB27_128:                             ;   in Loop: Header=BB27_3 Depth=1
	s_xor_b64 s[64:65], s[64:65], -1
.LBB27_129:                             ;   in Loop: Header=BB27_3 Depth=1
	v_mov_b32_e32 v3, s62
	s_and_saveexec_b64 s[4:5], s[64:65]
	s_cbranch_execz .LBB27_2
; %bb.130:                              ;   in Loop: Header=BB27_3 Depth=1
	s_add_i32 s62, s62, 1
	s_cmp_eq_u32 s62, s63
	s_cselect_b64 s[14:15], -1, 0
	v_mov_b32_e32 v3, s63
	s_orn2_b64 s[14:15], s[14:15], exec
	s_branch .LBB27_2
.LBB27_131:
	s_or_b64 exec, exec, s[76:77]
	v_readlane_b32 s8, v46, 6
	v_readlane_b32 s9, v46, 7
	;; [unrolled: 1-line block ×4, first 2 shown]
.LBB27_132:
	v_readlane_b32 s0, v46, 4
	v_readlane_b32 s1, v46, 5
	s_or_b64 exec, exec, s[0:1]
	s_andn2_b64 vcc, exec, s[60:61]
	s_cbranch_vccnz .LBB27_147
; %bb.133:
	v_mov_b32_dpp v6, v3 row_shr:1 row_mask:0xf bank_mask:0xf
	v_max_i32_e32 v3, v3, v6
	v_cmp_eq_u32_e32 vcc, 63, v27
	s_nop 0
	v_mov_b32_dpp v6, v3 row_shr:2 row_mask:0xf bank_mask:0xf
	v_max_i32_e32 v3, v3, v6
	s_nop 1
	v_mov_b32_dpp v6, v3 row_shr:4 row_mask:0xf bank_mask:0xe
	v_max_i32_e32 v3, v3, v6
	;; [unrolled: 3-line block ×3, first 2 shown]
	s_nop 1
	v_mov_b32_dpp v6, v3 row_bcast:15 row_mask:0xa bank_mask:0xf
	v_max_i32_e32 v3, v3, v6
	s_nop 1
	v_mov_b32_dpp v6, v3 row_bcast:31 row_mask:0xc bank_mask:0xf
	s_and_saveexec_b64 s[0:1], vcc
; %bb.134:
	v_lshlrev_b32_e32 v7, 2, v26
	v_max_i32_e32 v3, v3, v6
	ds_write_b32 v7, v3 offset:128
; %bb.135:
	s_or_b64 exec, exec, s[0:1]
	v_cmp_gt_u32_e32 vcc, 8, v0
	v_lshlrev_b32_e32 v3, 2, v0
	s_waitcnt vmcnt(0) lgkmcnt(0)
	s_barrier
	s_and_saveexec_b64 s[0:1], vcc
	s_cbranch_execz .LBB27_137
; %bb.136:
	ds_read2_b32 v[6:7], v3 offset0:32 offset1:40
	s_waitcnt lgkmcnt(0)
	v_max_i32_e32 v6, v6, v7
	ds_write_b32 v3, v6 offset:128
.LBB27_137:
	s_or_b64 exec, exec, s[0:1]
	v_cmp_gt_u32_e32 vcc, 4, v0
	s_waitcnt lgkmcnt(0)
	s_barrier
	s_and_saveexec_b64 s[0:1], vcc
	s_cbranch_execz .LBB27_139
; %bb.138:
	ds_read2_b32 v[6:7], v3 offset0:32 offset1:36
	s_waitcnt lgkmcnt(0)
	v_max_i32_e32 v6, v6, v7
	ds_write_b32 v3, v6 offset:128
.LBB27_139:
	s_or_b64 exec, exec, s[0:1]
	v_cmp_gt_u32_e32 vcc, 2, v0
	s_waitcnt lgkmcnt(0)
	s_barrier
	s_and_saveexec_b64 s[0:1], vcc
	s_cbranch_execz .LBB27_141
; %bb.140:
	ds_read2_b32 v[6:7], v3 offset0:32 offset1:34
	s_waitcnt lgkmcnt(0)
	v_max_i32_e32 v6, v6, v7
	ds_write_b32 v3, v6 offset:128
.LBB27_141:
	s_or_b64 exec, exec, s[0:1]
	v_cmp_eq_u32_e32 vcc, 0, v0
	s_waitcnt lgkmcnt(0)
	s_barrier
	s_and_saveexec_b64 s[0:1], vcc
	s_cbranch_execz .LBB27_143
; %bb.142:
	v_mov_b32_e32 v3, 0
	ds_read_b64 v[6:7], v3 offset:128
	s_waitcnt lgkmcnt(0)
	v_max_i32_e32 v6, v6, v7
	ds_write_b32 v3, v6 offset:128
.LBB27_143:
	s_or_b64 exec, exec, s[0:1]
	s_waitcnt lgkmcnt(0)
	s_barrier
	s_and_saveexec_b64 s[0:1], vcc
	s_cbranch_execz .LBB27_146
; %bb.144:
	v_mbcnt_lo_u32_b32 v3, exec_lo, 0
	v_mbcnt_hi_u32_b32 v3, exec_hi, v3
	v_cmp_eq_u32_e32 vcc, 0, v3
	s_and_b64 exec, exec, vcc
	s_cbranch_execz .LBB27_146
; %bb.145:
	v_mov_b32_e32 v3, 0
	ds_read_b32 v6, v3 offset:128
	v_readlane_b32 s4, v46, 0
	v_readlane_b32 s5, v46, 1
	;; [unrolled: 1-line block ×4, first 2 shown]
	s_waitcnt lgkmcnt(0)
	v_add_u32_e32 v6, 1, v6
	s_nop 0
	global_atomic_smax v3, v6, s[4:5]
.LBB27_146:
	s_or_b64 exec, exec, s[0:1]
.LBB27_147:
	v_cmp_eq_u32_e32 vcc, 0, v0
	s_and_b64 s[0:1], vcc, s[34:35]
	s_and_saveexec_b64 s[2:3], s[0:1]
	s_cbranch_execz .LBB27_154
; %bb.148:
	v_mov_b32_e32 v6, 0
	s_mov_b64 s[0:1], exec
	v_mov_b32_e32 v7, 0x7ff80000
.LBB27_149:                             ; =>This Inner Loop Header: Depth=1
	s_ff1_i32_b64 s6, s[0:1]
	v_readlane_b32 s5, v2, s6
	v_readlane_b32 s4, v1, s6
	v_max_f64 v[6:7], v[6:7], v[6:7]
	v_max_f64 v[8:9], s[4:5], s[4:5]
	s_lshl_b64 s[4:5], 1, s6
	s_andn2_b64 s[0:1], s[0:1], s[4:5]
	s_cmp_lg_u64 s[0:1], 0
	v_max_f64 v[6:7], v[6:7], v[8:9]
	s_cbranch_scc1 .LBB27_149
; %bb.150:
	v_mbcnt_lo_u32_b32 v0, exec_lo, 0
	v_mbcnt_hi_u32_b32 v0, exec_hi, v0
	v_cmp_eq_u32_e64 s[0:1], 0, v0
	s_and_saveexec_b64 s[4:5], s[0:1]
	s_xor_b64 s[4:5], exec, s[4:5]
	s_cbranch_execz .LBB27_154
; %bb.151:
	v_mov_b32_e32 v8, 0
	global_load_dwordx2 v[2:3], v8, s[8:9]
	v_max_f64 v[6:7], v[6:7], v[6:7]
	s_mov_b64 s[4:5], 0
.LBB27_152:                             ; =>This Inner Loop Header: Depth=1
	s_waitcnt vmcnt(0)
	v_max_f64 v[0:1], v[2:3], v[2:3]
	v_max_f64 v[0:1], v[0:1], v[6:7]
	global_atomic_cmpswap_x2 v[0:1], v8, v[0:3], s[8:9] glc
	s_waitcnt vmcnt(0)
	v_cmp_eq_u64_e64 s[0:1], v[0:1], v[2:3]
	v_mov_b32_e32 v3, v1
	s_or_b64 s[4:5], s[0:1], s[4:5]
	v_mov_b32_e32 v2, v0
	s_andn2_b64 exec, exec, s[4:5]
	s_cbranch_execnz .LBB27_152
; %bb.153:
	s_or_b64 exec, exec, s[4:5]
.LBB27_154:
	s_or_b64 exec, exec, s[2:3]
	s_and_b64 s[0:1], vcc, s[18:19]
	s_and_saveexec_b64 s[2:3], s[0:1]
	s_cbranch_execz .LBB27_160
; %bb.155:
	v_mov_b32_e32 v0, 0
	s_mov_b64 s[0:1], exec
	v_mov_b32_e32 v1, 0x7ff80000
.LBB27_156:                             ; =>This Inner Loop Header: Depth=1
	s_ff1_i32_b64 s4, s[0:1]
	v_readlane_b32 s3, v5, s4
	v_readlane_b32 s2, v4, s4
	v_max_f64 v[0:1], v[0:1], v[0:1]
	v_max_f64 v[2:3], s[2:3], s[2:3]
	s_lshl_b64 s[2:3], 1, s4
	s_andn2_b64 s[0:1], s[0:1], s[2:3]
	s_cmp_lg_u64 s[0:1], 0
	v_max_f64 v[0:1], v[0:1], v[2:3]
	s_cbranch_scc1 .LBB27_156
; %bb.157:
	v_mbcnt_lo_u32_b32 v2, exec_lo, 0
	v_mbcnt_hi_u32_b32 v2, exec_hi, v2
	v_cmp_eq_u32_e32 vcc, 0, v2
	s_and_saveexec_b64 s[0:1], vcc
	s_xor_b64 s[0:1], exec, s[0:1]
	s_cbranch_execz .LBB27_160
; %bb.158:
	v_mov_b32_e32 v6, 0
	global_load_dwordx2 v[2:3], v6, s[10:11]
	v_max_f64 v[4:5], v[0:1], v[0:1]
	s_mov_b64 s[0:1], 0
.LBB27_159:                             ; =>This Inner Loop Header: Depth=1
	s_waitcnt vmcnt(0)
	v_max_f64 v[0:1], v[2:3], v[2:3]
	v_max_f64 v[0:1], v[0:1], v[4:5]
	global_atomic_cmpswap_x2 v[0:1], v6, v[0:3], s[10:11] glc
	s_waitcnt vmcnt(0)
	v_cmp_eq_u64_e32 vcc, v[0:1], v[2:3]
	v_mov_b32_e32 v3, v1
	s_or_b64 s[0:1], vcc, s[0:1]
	v_mov_b32_e32 v2, v0
	s_andn2_b64 exec, exec, s[0:1]
	s_cbranch_execnz .LBB27_159
.LBB27_160:
	s_endpgm
	.section	.rodata,"a",@progbits
	.p2align	6, 0x0
	.amdhsa_kernel _ZN9rocsparseL6kernelILi1024ELi64EdiiEEvbbbT3_PS1_NS_15floating_traitsIT1_E6data_tES1_T2_PKS7_S9_PKS1_PKS4_21rocsparse_index_base_S9_S9_SB_PS4_SF_SE_S9_S9_SB_SF_SF_SE_SF_SF_PS6_SG_PKS6_
		.amdhsa_group_segment_fixed_size 192
		.amdhsa_private_segment_fixed_size 0
		.amdhsa_kernarg_size 208
		.amdhsa_user_sgpr_count 6
		.amdhsa_user_sgpr_private_segment_buffer 1
		.amdhsa_user_sgpr_dispatch_ptr 0
		.amdhsa_user_sgpr_queue_ptr 0
		.amdhsa_user_sgpr_kernarg_segment_ptr 1
		.amdhsa_user_sgpr_dispatch_id 0
		.amdhsa_user_sgpr_flat_scratch_init 0
		.amdhsa_user_sgpr_private_segment_size 0
		.amdhsa_uses_dynamic_stack 0
		.amdhsa_system_sgpr_private_segment_wavefront_offset 0
		.amdhsa_system_sgpr_workgroup_id_x 1
		.amdhsa_system_sgpr_workgroup_id_y 0
		.amdhsa_system_sgpr_workgroup_id_z 0
		.amdhsa_system_sgpr_workgroup_info 0
		.amdhsa_system_vgpr_workitem_id 0
		.amdhsa_next_free_vgpr 47
		.amdhsa_next_free_sgpr 96
		.amdhsa_reserve_vcc 1
		.amdhsa_reserve_flat_scratch 0
		.amdhsa_float_round_mode_32 0
		.amdhsa_float_round_mode_16_64 0
		.amdhsa_float_denorm_mode_32 3
		.amdhsa_float_denorm_mode_16_64 3
		.amdhsa_dx10_clamp 1
		.amdhsa_ieee_mode 1
		.amdhsa_fp16_overflow 0
		.amdhsa_exception_fp_ieee_invalid_op 0
		.amdhsa_exception_fp_denorm_src 0
		.amdhsa_exception_fp_ieee_div_zero 0
		.amdhsa_exception_fp_ieee_overflow 0
		.amdhsa_exception_fp_ieee_underflow 0
		.amdhsa_exception_fp_ieee_inexact 0
		.amdhsa_exception_int_div_zero 0
	.end_amdhsa_kernel
	.section	.text._ZN9rocsparseL6kernelILi1024ELi64EdiiEEvbbbT3_PS1_NS_15floating_traitsIT1_E6data_tES1_T2_PKS7_S9_PKS1_PKS4_21rocsparse_index_base_S9_S9_SB_PS4_SF_SE_S9_S9_SB_SF_SF_SE_SF_SF_PS6_SG_PKS6_,"axG",@progbits,_ZN9rocsparseL6kernelILi1024ELi64EdiiEEvbbbT3_PS1_NS_15floating_traitsIT1_E6data_tES1_T2_PKS7_S9_PKS1_PKS4_21rocsparse_index_base_S9_S9_SB_PS4_SF_SE_S9_S9_SB_SF_SF_SE_SF_SF_PS6_SG_PKS6_,comdat
.Lfunc_end27:
	.size	_ZN9rocsparseL6kernelILi1024ELi64EdiiEEvbbbT3_PS1_NS_15floating_traitsIT1_E6data_tES1_T2_PKS7_S9_PKS1_PKS4_21rocsparse_index_base_S9_S9_SB_PS4_SF_SE_S9_S9_SB_SF_SF_SE_SF_SF_PS6_SG_PKS6_, .Lfunc_end27-_ZN9rocsparseL6kernelILi1024ELi64EdiiEEvbbbT3_PS1_NS_15floating_traitsIT1_E6data_tES1_T2_PKS7_S9_PKS1_PKS4_21rocsparse_index_base_S9_S9_SB_PS4_SF_SE_S9_S9_SB_SF_SF_SE_SF_SF_PS6_SG_PKS6_
                                        ; -- End function
	.set _ZN9rocsparseL6kernelILi1024ELi64EdiiEEvbbbT3_PS1_NS_15floating_traitsIT1_E6data_tES1_T2_PKS7_S9_PKS1_PKS4_21rocsparse_index_base_S9_S9_SB_PS4_SF_SE_S9_S9_SB_SF_SF_SE_SF_SF_PS6_SG_PKS6_.num_vgpr, 47
	.set _ZN9rocsparseL6kernelILi1024ELi64EdiiEEvbbbT3_PS1_NS_15floating_traitsIT1_E6data_tES1_T2_PKS7_S9_PKS1_PKS4_21rocsparse_index_base_S9_S9_SB_PS4_SF_SE_S9_S9_SB_SF_SF_SE_SF_SF_PS6_SG_PKS6_.num_agpr, 0
	.set _ZN9rocsparseL6kernelILi1024ELi64EdiiEEvbbbT3_PS1_NS_15floating_traitsIT1_E6data_tES1_T2_PKS7_S9_PKS1_PKS4_21rocsparse_index_base_S9_S9_SB_PS4_SF_SE_S9_S9_SB_SF_SF_SE_SF_SF_PS6_SG_PKS6_.numbered_sgpr, 96
	.set _ZN9rocsparseL6kernelILi1024ELi64EdiiEEvbbbT3_PS1_NS_15floating_traitsIT1_E6data_tES1_T2_PKS7_S9_PKS1_PKS4_21rocsparse_index_base_S9_S9_SB_PS4_SF_SE_S9_S9_SB_SF_SF_SE_SF_SF_PS6_SG_PKS6_.num_named_barrier, 0
	.set _ZN9rocsparseL6kernelILi1024ELi64EdiiEEvbbbT3_PS1_NS_15floating_traitsIT1_E6data_tES1_T2_PKS7_S9_PKS1_PKS4_21rocsparse_index_base_S9_S9_SB_PS4_SF_SE_S9_S9_SB_SF_SF_SE_SF_SF_PS6_SG_PKS6_.private_seg_size, 0
	.set _ZN9rocsparseL6kernelILi1024ELi64EdiiEEvbbbT3_PS1_NS_15floating_traitsIT1_E6data_tES1_T2_PKS7_S9_PKS1_PKS4_21rocsparse_index_base_S9_S9_SB_PS4_SF_SE_S9_S9_SB_SF_SF_SE_SF_SF_PS6_SG_PKS6_.uses_vcc, 1
	.set _ZN9rocsparseL6kernelILi1024ELi64EdiiEEvbbbT3_PS1_NS_15floating_traitsIT1_E6data_tES1_T2_PKS7_S9_PKS1_PKS4_21rocsparse_index_base_S9_S9_SB_PS4_SF_SE_S9_S9_SB_SF_SF_SE_SF_SF_PS6_SG_PKS6_.uses_flat_scratch, 0
	.set _ZN9rocsparseL6kernelILi1024ELi64EdiiEEvbbbT3_PS1_NS_15floating_traitsIT1_E6data_tES1_T2_PKS7_S9_PKS1_PKS4_21rocsparse_index_base_S9_S9_SB_PS4_SF_SE_S9_S9_SB_SF_SF_SE_SF_SF_PS6_SG_PKS6_.has_dyn_sized_stack, 0
	.set _ZN9rocsparseL6kernelILi1024ELi64EdiiEEvbbbT3_PS1_NS_15floating_traitsIT1_E6data_tES1_T2_PKS7_S9_PKS1_PKS4_21rocsparse_index_base_S9_S9_SB_PS4_SF_SE_S9_S9_SB_SF_SF_SE_SF_SF_PS6_SG_PKS6_.has_recursion, 0
	.set _ZN9rocsparseL6kernelILi1024ELi64EdiiEEvbbbT3_PS1_NS_15floating_traitsIT1_E6data_tES1_T2_PKS7_S9_PKS1_PKS4_21rocsparse_index_base_S9_S9_SB_PS4_SF_SE_S9_S9_SB_SF_SF_SE_SF_SF_PS6_SG_PKS6_.has_indirect_call, 0
	.section	.AMDGPU.csdata,"",@progbits
; Kernel info:
; codeLenInByte = 5640
; TotalNumSgprs: 100
; NumVgprs: 47
; ScratchSize: 0
; MemoryBound: 1
; FloatMode: 240
; IeeeMode: 1
; LDSByteSize: 192 bytes/workgroup (compile time only)
; SGPRBlocks: 12
; VGPRBlocks: 11
; NumSGPRsForWavesPerEU: 100
; NumVGPRsForWavesPerEU: 47
; Occupancy: 5
; WaveLimiterHint : 1
; COMPUTE_PGM_RSRC2:SCRATCH_EN: 0
; COMPUTE_PGM_RSRC2:USER_SGPR: 6
; COMPUTE_PGM_RSRC2:TRAP_HANDLER: 0
; COMPUTE_PGM_RSRC2:TGID_X_EN: 1
; COMPUTE_PGM_RSRC2:TGID_Y_EN: 0
; COMPUTE_PGM_RSRC2:TGID_Z_EN: 0
; COMPUTE_PGM_RSRC2:TIDIG_COMP_CNT: 0
	.section	.text._ZN9rocsparseL14kernel_freerunILi1024ELi1E21rocsparse_complex_numIfEiiEEvT3_S3_T2_PKS4_S6_PKS3_PKT1_21rocsparse_index_base_S6_S6_S8_PS9_SD_SC_S6_S6_S8_SD_SD_SC_SD_SD_,"axG",@progbits,_ZN9rocsparseL14kernel_freerunILi1024ELi1E21rocsparse_complex_numIfEiiEEvT3_S3_T2_PKS4_S6_PKS3_PKT1_21rocsparse_index_base_S6_S6_S8_PS9_SD_SC_S6_S6_S8_SD_SD_SC_SD_SD_,comdat
	.globl	_ZN9rocsparseL14kernel_freerunILi1024ELi1E21rocsparse_complex_numIfEiiEEvT3_S3_T2_PKS4_S6_PKS3_PKT1_21rocsparse_index_base_S6_S6_S8_PS9_SD_SC_S6_S6_S8_SD_SD_SC_SD_SD_ ; -- Begin function _ZN9rocsparseL14kernel_freerunILi1024ELi1E21rocsparse_complex_numIfEiiEEvT3_S3_T2_PKS4_S6_PKS3_PKT1_21rocsparse_index_base_S6_S6_S8_PS9_SD_SC_S6_S6_S8_SD_SD_SC_SD_SD_
	.p2align	8
	.type	_ZN9rocsparseL14kernel_freerunILi1024ELi1E21rocsparse_complex_numIfEiiEEvT3_S3_T2_PKS4_S6_PKS3_PKT1_21rocsparse_index_base_S6_S6_S8_PS9_SD_SC_S6_S6_S8_SD_SD_SC_SD_SD_,@function
_ZN9rocsparseL14kernel_freerunILi1024ELi1E21rocsparse_complex_numIfEiiEEvT3_S3_T2_PKS4_S6_PKS3_PKT1_21rocsparse_index_base_S6_S6_S8_PS9_SD_SC_S6_S6_S8_SD_SD_SC_SD_SD_: ; @_ZN9rocsparseL14kernel_freerunILi1024ELi1E21rocsparse_complex_numIfEiiEEvT3_S3_T2_PKS4_S6_PKS3_PKT1_21rocsparse_index_base_S6_S6_S8_PS9_SD_SC_S6_S6_S8_SD_SD_SC_SD_SD_
; %bb.0:
	s_load_dwordx2 s[10:11], s[4:5], 0x0
	s_lshl_b32 s65, s6, 10
	v_or_b32_e32 v0, s65, v0
	s_mov_b32 s33, 0
	s_waitcnt lgkmcnt(0)
	s_cmp_gt_i32 s10, 0
	v_cmp_gt_i32_e32 vcc, s11, v0
	s_cselect_b64 s[0:1], -1, 0
	s_and_b64 s[0:1], vcc, s[0:1]
	s_and_saveexec_b64 s[2:3], s[0:1]
	s_cbranch_execz .LBB28_68
; %bb.1:
	s_load_dwordx8 s[12:19], s[4:5], 0x38
	s_load_dwordx8 s[20:27], s[4:5], 0x10
	v_ashrrev_i32_e32 v1, 31, v0
	v_lshlrev_b64 v[1:2], 2, v[0:1]
	s_addk_i32 s65, 0x400
	s_waitcnt lgkmcnt(0)
	v_mov_b32_e32 v4, s15
	v_add_co_u32_e32 v3, vcc, s14, v1
	v_addc_co_u32_e32 v4, vcc, v4, v2, vcc
	global_load_dword v5, v[3:4], off
	v_mov_b32_e32 v4, s13
	v_add_co_u32_e32 v3, vcc, s12, v1
	v_addc_co_u32_e32 v4, vcc, v4, v2, vcc
	global_load_dword v6, v[3:4], off
	;; [unrolled: 4-line block ×4, first 2 shown]
	s_load_dwordx4 s[20:23], s[4:5], 0x98
	s_load_dwordx8 s[36:43], s[4:5], 0x68
	s_load_dword s62, s[4:5], 0x30
	s_load_dwordx2 s[28:29], s[4:5], 0x58
	s_load_dword s63, s[4:5], 0x60
	s_load_dwordx2 s[30:31], s[4:5], 0x88
	s_load_dword s64, s[4:5], 0x90
	v_mov_b32_e32 v9, s17
	v_mov_b32_e32 v10, s19
	;; [unrolled: 1-line block ×3, first 2 shown]
	s_mov_b32 s66, 0xf800000
	v_mov_b32_e32 v13, 0x260
	v_cmp_gt_u32_e64 s[0:1], s65, v0
	s_movk_i32 s67, 0x1f8
	s_waitcnt vmcnt(2) lgkmcnt(0)
	v_subrev_u32_e32 v3, s63, v6
	v_sub_u32_e32 v14, v5, v6
	v_cmp_lt_i32_e64 s[4:5], 0, v14
	s_waitcnt vmcnt(1)
	v_subrev_u32_e32 v15, s62, v4
	s_waitcnt vmcnt(0)
	v_cmp_lt_i32_e64 s[2:3], v4, v1
	v_ashrrev_i32_e32 v4, 31, v3
	v_lshlrev_b64 v[5:6], 2, v[3:4]
	v_lshlrev_b64 v[7:8], 3, v[3:4]
	v_add_co_u32_e32 v17, vcc, s16, v5
	v_addc_co_u32_e32 v18, vcc, v9, v6, vcc
	v_add_co_u32_e32 v19, vcc, s18, v7
	v_subrev_u32_e32 v16, s62, v1
	v_addc_co_u32_e32 v20, vcc, v10, v8, vcc
	s_branch .LBB28_3
.LBB28_2:                               ;   in Loop: Header=BB28_3 Depth=1
	s_or_b64 exec, exec, s[6:7]
	s_add_i32 s33, s33, 1
	s_cmp_eq_u32 s33, s10
	s_cbranch_scc1 .LBB28_68
.LBB28_3:                               ; =>This Loop Header: Depth=1
                                        ;     Child Loop BB28_6 Depth 2
                                        ;       Child Loop BB28_10 Depth 3
                                        ;       Child Loop BB28_40 Depth 3
	;; [unrolled: 1-line block ×3, first 2 shown]
                                        ;     Child Loop BB28_61 Depth 2
                                        ;       Child Loop BB28_64 Depth 3
                                        ;       Child Loop BB28_67 Depth 3
	s_and_saveexec_b64 s[34:35], s[2:3]
	s_cbranch_execz .LBB28_57
; %bb.4:                                ;   in Loop: Header=BB28_3 Depth=1
	s_mov_b64 s[44:45], 0
	v_mov_b32_e32 v4, v15
	s_branch .LBB28_6
.LBB28_5:                               ;   in Loop: Header=BB28_6 Depth=2
	s_or_b64 exec, exec, s[8:9]
	v_add_u32_e32 v4, 1, v4
	v_cmp_ge_i32_e32 vcc, v4, v16
	s_or_b64 s[44:45], vcc, s[44:45]
	s_andn2_b64 exec, exec, s[44:45]
	s_cbranch_execz .LBB28_57
.LBB28_6:                               ;   Parent Loop BB28_3 Depth=1
                                        ; =>  This Loop Header: Depth=2
                                        ;       Child Loop BB28_10 Depth 3
                                        ;       Child Loop BB28_40 Depth 3
	;; [unrolled: 1-line block ×3, first 2 shown]
	v_ashrrev_i32_e32 v5, 31, v4
	v_lshlrev_b64 v[6:7], 2, v[4:5]
	v_mov_b32_e32 v1, s25
	v_add_co_u32_e32 v6, vcc, s24, v6
	v_addc_co_u32_e32 v7, vcc, v1, v7, vcc
	global_load_dword v1, v[6:7], off
	v_mov_b32_e32 v11, s37
	v_mov_b32_e32 v12, s39
	s_waitcnt vmcnt(0)
	v_subrev_u32_e32 v6, s62, v1
	v_ashrrev_i32_e32 v7, 31, v6
	v_lshlrev_b64 v[8:9], 2, v[6:7]
	v_mov_b32_e32 v1, 0
	v_add_co_u32_e32 v10, vcc, s36, v8
	v_addc_co_u32_e32 v11, vcc, v11, v9, vcc
	v_add_co_u32_e32 v8, vcc, s38, v8
	v_addc_co_u32_e32 v9, vcc, v12, v9, vcc
	global_load_dword v10, v[10:11], off
	s_nop 0
	global_load_dword v9, v[8:9], off
	v_mov_b32_e32 v11, 0
	v_mov_b32_e32 v12, 0
	s_waitcnt vmcnt(1)
	v_subrev_u32_e32 v8, s64, v10
	s_waitcnt vmcnt(0)
	v_sub_u32_e32 v21, v9, v10
	v_mov_b32_e32 v9, v1
	s_and_saveexec_b64 s[6:7], s[4:5]
	s_cbranch_execz .LBB28_14
; %bb.7:                                ;   in Loop: Header=BB28_6 Depth=2
	v_ashrrev_i32_e32 v9, 31, v8
	v_lshlrev_b64 v[10:11], 2, v[8:9]
	v_mov_b32_e32 v1, s41
	v_add_co_u32_e32 v22, vcc, s40, v10
	v_lshlrev_b64 v[9:10], 3, v[8:9]
	v_addc_co_u32_e32 v23, vcc, v1, v11, vcc
	v_mov_b32_e32 v1, s43
	v_add_co_u32_e32 v24, vcc, s42, v9
	v_mov_b32_e32 v9, 0
	v_addc_co_u32_e32 v25, vcc, v1, v10, vcc
	v_mov_b32_e32 v11, 0
	s_mov_b64 s[8:9], 0
	v_mov_b32_e32 v1, v9
	v_mov_b32_e32 v12, 0
                                        ; implicit-def: $sgpr46_sgpr47
	s_branch .LBB28_10
.LBB28_8:                               ;   in Loop: Header=BB28_10 Depth=3
	s_or_b64 exec, exec, s[50:51]
	v_cmp_le_i32_e32 vcc, v26, v27
	v_addc_co_u32_e32 v1, vcc, 0, v1, vcc
	v_cmp_ge_i32_e32 vcc, v26, v27
	v_addc_co_u32_e32 v9, vcc, 0, v9, vcc
	v_cmp_ge_i32_e32 vcc, v1, v14
	s_andn2_b64 s[46:47], s[46:47], exec
	s_and_b64 s[50:51], vcc, exec
	s_or_b64 s[46:47], s[46:47], s[50:51]
.LBB28_9:                               ;   in Loop: Header=BB28_10 Depth=3
	s_or_b64 exec, exec, s[48:49]
	s_and_b64 s[48:49], exec, s[46:47]
	s_or_b64 s[8:9], s[48:49], s[8:9]
	s_andn2_b64 exec, exec, s[8:9]
	s_cbranch_execz .LBB28_13
.LBB28_10:                              ;   Parent Loop BB28_3 Depth=1
                                        ;     Parent Loop BB28_6 Depth=2
                                        ; =>    This Inner Loop Header: Depth=3
	v_cmp_lt_i32_e32 vcc, v9, v21
	s_or_b64 s[46:47], s[46:47], exec
	s_and_saveexec_b64 s[48:49], vcc
	s_cbranch_execz .LBB28_9
; %bb.11:                               ;   in Loop: Header=BB28_10 Depth=3
	v_lshlrev_b64 v[26:27], 2, v[1:2]
	v_mov_b32_e32 v10, v2
	v_add_co_u32_e32 v26, vcc, v17, v26
	v_addc_co_u32_e32 v27, vcc, v18, v27, vcc
	global_load_dword v28, v[26:27], off
	v_lshlrev_b64 v[26:27], 2, v[9:10]
	v_add_co_u32_e32 v26, vcc, v22, v26
	v_addc_co_u32_e32 v27, vcc, v23, v27, vcc
	global_load_dword v27, v[26:27], off
	s_waitcnt vmcnt(1)
	v_subrev_u32_e32 v26, s63, v28
	s_waitcnt vmcnt(0)
	v_subrev_u32_e32 v27, s64, v27
	v_cmp_eq_u32_e32 vcc, v26, v27
	s_and_saveexec_b64 s[50:51], vcc
	s_cbranch_execz .LBB28_8
; %bb.12:                               ;   in Loop: Header=BB28_10 Depth=3
	v_lshlrev_b64 v[28:29], 3, v[1:2]
	v_lshlrev_b64 v[30:31], 3, v[9:10]
	v_add_co_u32_e32 v28, vcc, v19, v28
	v_addc_co_u32_e32 v29, vcc, v20, v29, vcc
	v_add_co_u32_e32 v30, vcc, v24, v30
	v_addc_co_u32_e32 v31, vcc, v25, v31, vcc
	global_load_dwordx2 v[28:29], v[28:29], off
	s_nop 0
	global_load_dwordx2 v[30:31], v[30:31], off
	s_waitcnt vmcnt(0)
	v_fmac_f32_e32 v11, v28, v30
	v_fmac_f32_e32 v12, v29, v30
	v_fma_f32 v11, -v29, v31, v11
	v_fmac_f32_e32 v12, v28, v31
	s_branch .LBB28_8
.LBB28_13:                              ;   in Loop: Header=BB28_6 Depth=2
	s_or_b64 exec, exec, s[8:9]
.LBB28_14:                              ;   in Loop: Header=BB28_6 Depth=2
	s_or_b64 exec, exec, s[6:7]
	v_lshlrev_b64 v[22:23], 3, v[4:5]
	v_mov_b32_e32 v5, s27
	v_add_co_u32_e32 v22, vcc, s26, v22
	v_addc_co_u32_e32 v23, vcc, v5, v23, vcc
	global_load_dwordx2 v[22:23], v[22:23], off
	v_cmp_le_i32_e64 s[6:7], v0, v6
	v_cmp_gt_i32_e32 vcc, v0, v6
	s_waitcnt vmcnt(0)
	v_sub_f32_e32 v22, v22, v11
	v_sub_f32_e32 v12, v23, v12
	s_and_saveexec_b64 s[46:47], vcc
	s_cbranch_execz .LBB28_24
; %bb.15:                               ;   in Loop: Header=BB28_6 Depth=2
	v_lshlrev_b64 v[10:11], 3, v[6:7]
	v_mov_b32_e32 v5, s21
	v_add_co_u32_e32 v10, vcc, s20, v10
	v_addc_co_u32_e32 v11, vcc, v5, v11, vcc
	global_load_dwordx2 v[10:11], v[10:11], off
                                        ; implicit-def: $vgpr24
	s_waitcnt vmcnt(0)
	v_cmp_gt_f32_e32 vcc, 0, v10
	v_cndmask_b32_e64 v5, v10, -v10, vcc
	v_cmp_gt_f32_e32 vcc, 0, v11
	v_cndmask_b32_e64 v23, v11, -v11, vcc
	v_cmp_ngt_f32_e32 vcc, v5, v23
	s_and_saveexec_b64 s[8:9], vcc
	s_xor_b64 s[48:49], exec, s[8:9]
	s_cbranch_execz .LBB28_19
; %bb.16:                               ;   in Loop: Header=BB28_6 Depth=2
	v_mov_b32_e32 v24, 0
	v_cmp_neq_f32_e32 vcc, 0, v11
	s_and_saveexec_b64 s[50:51], vcc
	s_cbranch_execz .LBB28_18
; %bb.17:                               ;   in Loop: Header=BB28_6 Depth=2
	v_div_scale_f32 v24, s[8:9], v23, v23, v5
	v_div_scale_f32 v25, vcc, v5, v23, v5
	v_rcp_f32_e32 v26, v24
	v_fma_f32 v27, -v24, v26, 1.0
	v_fmac_f32_e32 v26, v27, v26
	v_mul_f32_e32 v27, v25, v26
	v_fma_f32 v28, -v24, v27, v25
	v_fmac_f32_e32 v27, v28, v26
	v_fma_f32 v24, -v24, v27, v25
	v_div_fmas_f32 v24, v24, v26, v27
	v_div_fixup_f32 v5, v24, v23, v5
	v_fma_f32 v5, v5, v5, 1.0
	v_mul_f32_e32 v24, 0x4f800000, v5
	v_cmp_gt_f32_e32 vcc, s66, v5
	v_cndmask_b32_e32 v5, v5, v24, vcc
	v_sqrt_f32_e32 v24, v5
	v_add_u32_e32 v25, -1, v24
	v_add_u32_e32 v26, 1, v24
	v_fma_f32 v27, -v25, v24, v5
	v_fma_f32 v28, -v26, v24, v5
	v_cmp_ge_f32_e64 s[8:9], 0, v27
	v_cndmask_b32_e64 v24, v24, v25, s[8:9]
	v_cmp_lt_f32_e64 s[8:9], 0, v28
	v_cndmask_b32_e64 v24, v24, v26, s[8:9]
	v_mul_f32_e32 v25, 0x37800000, v24
	v_cndmask_b32_e32 v24, v24, v25, vcc
	v_cmp_class_f32_e32 vcc, v5, v13
	v_cndmask_b32_e32 v5, v24, v5, vcc
	v_mul_f32_e32 v24, v23, v5
.LBB28_18:                              ;   in Loop: Header=BB28_6 Depth=2
	s_or_b64 exec, exec, s[50:51]
                                        ; implicit-def: $vgpr5
                                        ; implicit-def: $vgpr23
.LBB28_19:                              ;   in Loop: Header=BB28_6 Depth=2
	s_andn2_saveexec_b64 s[48:49], s[48:49]
	s_cbranch_execz .LBB28_21
; %bb.20:                               ;   in Loop: Header=BB28_6 Depth=2
	v_div_scale_f32 v24, s[8:9], v5, v5, v23
	v_div_scale_f32 v25, vcc, v23, v5, v23
	v_rcp_f32_e32 v26, v24
	v_fma_f32 v27, -v24, v26, 1.0
	v_fmac_f32_e32 v26, v27, v26
	v_mul_f32_e32 v27, v25, v26
	v_fma_f32 v28, -v24, v27, v25
	v_fmac_f32_e32 v27, v28, v26
	v_fma_f32 v24, -v24, v27, v25
	v_div_fmas_f32 v24, v24, v26, v27
	v_div_fixup_f32 v23, v24, v5, v23
	v_fma_f32 v23, v23, v23, 1.0
	v_mul_f32_e32 v24, 0x4f800000, v23
	v_cmp_gt_f32_e32 vcc, s66, v23
	v_cndmask_b32_e32 v23, v23, v24, vcc
	v_sqrt_f32_e32 v24, v23
	v_add_u32_e32 v25, -1, v24
	v_add_u32_e32 v26, 1, v24
	v_fma_f32 v27, -v25, v24, v23
	v_fma_f32 v28, -v26, v24, v23
	v_cmp_ge_f32_e64 s[8:9], 0, v27
	v_cndmask_b32_e64 v24, v24, v25, s[8:9]
	v_cmp_lt_f32_e64 s[8:9], 0, v28
	v_cndmask_b32_e64 v24, v24, v26, s[8:9]
	v_mul_f32_e32 v25, 0x37800000, v24
	v_cndmask_b32_e32 v24, v24, v25, vcc
	v_cmp_class_f32_e32 vcc, v23, v13
	v_cndmask_b32_e32 v23, v24, v23, vcc
	v_mul_f32_e32 v24, v5, v23
.LBB28_21:                              ;   in Loop: Header=BB28_6 Depth=2
	s_or_b64 exec, exec, s[48:49]
	v_mov_b32_e32 v5, 0
	v_cmp_lt_f32_e32 vcc, 0, v24
	v_mov_b32_e32 v23, 0
	s_and_saveexec_b64 s[8:9], vcc
	s_cbranch_execz .LBB28_23
; %bb.22:                               ;   in Loop: Header=BB28_6 Depth=2
	v_mul_f32_e32 v5, v11, v11
	v_fmac_f32_e32 v5, v10, v10
	v_div_scale_f32 v23, s[48:49], v5, v5, 1.0
	v_div_scale_f32 v24, vcc, 1.0, v5, 1.0
	v_rcp_f32_e32 v25, v23
	v_fma_f32 v26, -v23, v25, 1.0
	v_fmac_f32_e32 v25, v26, v25
	v_mul_f32_e32 v26, v24, v25
	v_fma_f32 v27, -v23, v26, v24
	v_fmac_f32_e32 v26, v27, v25
	v_fma_f32 v23, -v23, v26, v24
	v_div_fmas_f32 v23, v23, v25, v26
	v_mul_f32_e32 v24, v12, v11
	v_mul_f32_e64 v11, v11, -v22
	v_fmac_f32_e32 v24, v22, v10
	v_fmac_f32_e32 v11, v12, v10
	v_div_fixup_f32 v10, v23, v5, 1.0
	v_mul_f32_e32 v5, v24, v10
	v_mul_f32_e32 v23, v11, v10
.LBB28_23:                              ;   in Loop: Header=BB28_6 Depth=2
	s_or_b64 exec, exec, s[8:9]
	v_mov_b32_e32 v22, v5
	v_mov_b32_e32 v12, v23
.LBB28_24:                              ;   in Loop: Header=BB28_6 Depth=2
	s_or_b64 exec, exec, s[46:47]
	v_cmp_gt_f32_e32 vcc, 0, v22
	v_cndmask_b32_e64 v5, v22, -v22, vcc
	v_cmp_gt_f32_e32 vcc, 0, v12
	v_cndmask_b32_e64 v10, v12, -v12, vcc
	v_cmp_ngt_f32_e32 vcc, v5, v10
                                        ; implicit-def: $vgpr11
	s_and_saveexec_b64 s[8:9], vcc
	s_xor_b64 s[46:47], exec, s[8:9]
	s_cbranch_execnz .LBB28_27
; %bb.25:                               ;   in Loop: Header=BB28_6 Depth=2
	s_andn2_saveexec_b64 s[46:47], s[46:47]
	s_cbranch_execnz .LBB28_30
.LBB28_26:                              ;   in Loop: Header=BB28_6 Depth=2
	s_or_b64 exec, exec, s[46:47]
	v_cmp_class_f32_e64 s[46:47], v11, s67
	s_and_saveexec_b64 s[8:9], s[46:47]
	s_cbranch_execz .LBB28_5
	s_branch .LBB28_31
.LBB28_27:                              ;   in Loop: Header=BB28_6 Depth=2
	v_mov_b32_e32 v11, 0
	v_cmp_neq_f32_e32 vcc, 0, v12
	s_and_saveexec_b64 s[48:49], vcc
	s_cbranch_execz .LBB28_29
; %bb.28:                               ;   in Loop: Header=BB28_6 Depth=2
	v_div_scale_f32 v11, s[8:9], v10, v10, v5
	v_div_scale_f32 v23, vcc, v5, v10, v5
	v_rcp_f32_e32 v24, v11
	v_fma_f32 v25, -v11, v24, 1.0
	v_fmac_f32_e32 v24, v25, v24
	v_mul_f32_e32 v25, v23, v24
	v_fma_f32 v26, -v11, v25, v23
	v_fmac_f32_e32 v25, v26, v24
	v_fma_f32 v11, -v11, v25, v23
	v_div_fmas_f32 v11, v11, v24, v25
	v_div_fixup_f32 v5, v11, v10, v5
	v_fma_f32 v5, v5, v5, 1.0
	v_mul_f32_e32 v11, 0x4f800000, v5
	v_cmp_gt_f32_e32 vcc, s66, v5
	v_cndmask_b32_e32 v5, v5, v11, vcc
	v_sqrt_f32_e32 v11, v5
	v_add_u32_e32 v23, -1, v11
	v_add_u32_e32 v24, 1, v11
	v_fma_f32 v25, -v23, v11, v5
	v_fma_f32 v26, -v24, v11, v5
	v_cmp_ge_f32_e64 s[8:9], 0, v25
	v_cndmask_b32_e64 v11, v11, v23, s[8:9]
	v_cmp_lt_f32_e64 s[8:9], 0, v26
	v_cndmask_b32_e64 v11, v11, v24, s[8:9]
	v_mul_f32_e32 v23, 0x37800000, v11
	v_cndmask_b32_e32 v11, v11, v23, vcc
	v_cmp_class_f32_e32 vcc, v5, v13
	v_cndmask_b32_e32 v5, v11, v5, vcc
	v_mul_f32_e32 v11, v10, v5
.LBB28_29:                              ;   in Loop: Header=BB28_6 Depth=2
	s_or_b64 exec, exec, s[48:49]
                                        ; implicit-def: $vgpr5
                                        ; implicit-def: $vgpr10
	s_andn2_saveexec_b64 s[46:47], s[46:47]
	s_cbranch_execz .LBB28_26
.LBB28_30:                              ;   in Loop: Header=BB28_6 Depth=2
	v_div_scale_f32 v11, s[8:9], v5, v5, v10
	v_div_scale_f32 v23, vcc, v10, v5, v10
	v_rcp_f32_e32 v24, v11
	v_fma_f32 v25, -v11, v24, 1.0
	v_fmac_f32_e32 v24, v25, v24
	v_mul_f32_e32 v25, v23, v24
	v_fma_f32 v26, -v11, v25, v23
	v_fmac_f32_e32 v25, v26, v24
	v_fma_f32 v11, -v11, v25, v23
	v_div_fmas_f32 v11, v11, v24, v25
	v_div_fixup_f32 v10, v11, v5, v10
	v_fma_f32 v10, v10, v10, 1.0
	v_mul_f32_e32 v11, 0x4f800000, v10
	v_cmp_gt_f32_e32 vcc, s66, v10
	v_cndmask_b32_e32 v10, v10, v11, vcc
	v_sqrt_f32_e32 v11, v10
	v_add_u32_e32 v23, -1, v11
	v_add_u32_e32 v24, 1, v11
	v_fma_f32 v25, -v23, v11, v10
	v_fma_f32 v26, -v24, v11, v10
	v_cmp_ge_f32_e64 s[8:9], 0, v25
	v_cndmask_b32_e64 v11, v11, v23, s[8:9]
	v_cmp_lt_f32_e64 s[8:9], 0, v26
	v_cndmask_b32_e64 v11, v11, v24, s[8:9]
	v_mul_f32_e32 v23, 0x37800000, v11
	v_cndmask_b32_e32 v11, v11, v23, vcc
	v_cmp_class_f32_e32 vcc, v10, v13
	v_cndmask_b32_e32 v10, v11, v10, vcc
	v_mul_f32_e32 v11, v5, v10
	s_or_b64 exec, exec, s[46:47]
	v_cmp_class_f32_e64 s[46:47], v11, s67
	s_and_saveexec_b64 s[8:9], s[46:47]
	s_cbranch_execz .LBB28_5
.LBB28_31:                              ;   in Loop: Header=BB28_6 Depth=2
	s_mov_b64 s[46:47], 0
                                        ; implicit-def: $vgpr10_vgpr11
	s_and_saveexec_b64 s[48:49], s[6:7]
	s_xor_b64 s[6:7], exec, s[48:49]
	s_cbranch_execnz .LBB28_34
; %bb.32:                               ;   in Loop: Header=BB28_6 Depth=2
	s_andn2_saveexec_b64 s[6:7], s[6:7]
	s_cbranch_execnz .LBB28_47
.LBB28_33:                              ;   in Loop: Header=BB28_6 Depth=2
	s_or_b64 exec, exec, s[6:7]
	s_and_b64 exec, exec, s[46:47]
	s_cbranch_execz .LBB28_5
	s_branch .LBB28_56
.LBB28_34:                              ;   in Loop: Header=BB28_6 Depth=2
	v_cmp_ge_i32_e32 vcc, v0, v6
                                        ; implicit-def: $vgpr10_vgpr11
	s_and_saveexec_b64 s[48:49], vcc
	s_xor_b64 s[48:49], exec, s[48:49]
	s_cbranch_execz .LBB28_36
; %bb.35:                               ;   in Loop: Header=BB28_6 Depth=2
	v_lshlrev_b64 v[5:6], 3, v[6:7]
	v_mov_b32_e32 v1, s23
	v_add_co_u32_e32 v10, vcc, s22, v5
	v_addc_co_u32_e32 v11, vcc, v1, v6, vcc
	s_mov_b64 s[46:47], exec
	global_store_dword v[10:11], v22, off
                                        ; implicit-def: $vgpr9
                                        ; implicit-def: $vgpr21
                                        ; implicit-def: $vgpr22
                                        ; implicit-def: $vgpr8
.LBB28_36:                              ;   in Loop: Header=BB28_6 Depth=2
	s_andn2_saveexec_b64 s[48:49], s[48:49]
	s_cbranch_execz .LBB28_46
; %bb.37:                               ;   in Loop: Header=BB28_6 Depth=2
	v_cmp_lt_i32_e32 vcc, v9, v21
	s_mov_b64 s[52:53], s[46:47]
                                        ; implicit-def: $vgpr10_vgpr11
	s_and_saveexec_b64 s[50:51], vcc
	s_cbranch_execz .LBB28_45
; %bb.38:                               ;   in Loop: Header=BB28_6 Depth=2
	s_mov_b64 s[54:55], 0
                                        ; implicit-def: $sgpr52_sgpr53
                                        ; implicit-def: $sgpr58_sgpr59
                                        ; implicit-def: $sgpr56_sgpr57
	s_branch .LBB28_40
.LBB28_39:                              ;   in Loop: Header=BB28_40 Depth=3
	s_or_b64 exec, exec, s[60:61]
	s_and_b64 s[60:61], exec, s[58:59]
	s_or_b64 s[54:55], s[60:61], s[54:55]
	s_andn2_b64 s[52:53], s[52:53], exec
	s_and_b64 s[60:61], s[56:57], exec
	s_or_b64 s[52:53], s[52:53], s[60:61]
	s_andn2_b64 exec, exec, s[54:55]
	s_cbranch_execz .LBB28_42
.LBB28_40:                              ;   Parent Loop BB28_3 Depth=1
                                        ;     Parent Loop BB28_6 Depth=2
                                        ; =>    This Inner Loop Header: Depth=3
	v_add_u32_e32 v5, v8, v9
	v_ashrrev_i32_e32 v6, 31, v5
	v_lshlrev_b64 v[10:11], 2, v[5:6]
	v_mov_b32_e32 v1, s41
	v_add_co_u32_e32 v10, vcc, s40, v10
	v_addc_co_u32_e32 v11, vcc, v1, v11, vcc
	global_load_dword v1, v[10:11], off
	s_or_b64 s[56:57], s[56:57], exec
	s_or_b64 s[58:59], s[58:59], exec
	s_waitcnt vmcnt(0)
	v_subrev_u32_e32 v1, s64, v1
	v_cmp_ne_u32_e32 vcc, v1, v0
	s_and_saveexec_b64 s[60:61], vcc
	s_cbranch_execz .LBB28_39
; %bb.41:                               ;   in Loop: Header=BB28_40 Depth=3
	v_add_u32_e32 v9, 1, v9
	v_cmp_ge_i32_e32 vcc, v9, v21
	s_andn2_b64 s[58:59], s[58:59], exec
	s_and_b64 s[68:69], vcc, exec
	s_andn2_b64 s[56:57], s[56:57], exec
	s_or_b64 s[58:59], s[58:59], s[68:69]
	s_branch .LBB28_39
.LBB28_42:                              ;   in Loop: Header=BB28_6 Depth=2
	s_or_b64 exec, exec, s[54:55]
	s_mov_b64 s[54:55], s[46:47]
                                        ; implicit-def: $vgpr10_vgpr11
	s_and_saveexec_b64 s[56:57], s[52:53]
	s_xor_b64 s[52:53], exec, s[56:57]
	s_cbranch_execz .LBB28_44
; %bb.43:                               ;   in Loop: Header=BB28_6 Depth=2
	v_lshlrev_b64 v[5:6], 3, v[5:6]
	v_mov_b32_e32 v1, s31
	v_add_co_u32_e32 v10, vcc, s30, v5
	v_addc_co_u32_e32 v11, vcc, v1, v6, vcc
	s_or_b64 s[54:55], s[46:47], exec
	global_store_dword v[10:11], v22, off
.LBB28_44:                              ;   in Loop: Header=BB28_6 Depth=2
	s_or_b64 exec, exec, s[52:53]
	s_andn2_b64 s[52:53], s[46:47], exec
	s_and_b64 s[54:55], s[54:55], exec
	s_or_b64 s[52:53], s[52:53], s[54:55]
.LBB28_45:                              ;   in Loop: Header=BB28_6 Depth=2
	s_or_b64 exec, exec, s[50:51]
	s_andn2_b64 s[46:47], s[46:47], exec
	s_and_b64 s[50:51], s[52:53], exec
	s_or_b64 s[46:47], s[46:47], s[50:51]
.LBB28_46:                              ;   in Loop: Header=BB28_6 Depth=2
	s_or_b64 exec, exec, s[48:49]
	s_and_b64 s[46:47], s[46:47], exec
                                        ; implicit-def: $vgpr22
                                        ; implicit-def: $vgpr6_vgpr7
	s_andn2_saveexec_b64 s[6:7], s[6:7]
	s_cbranch_execz .LBB28_33
.LBB28_47:                              ;   in Loop: Header=BB28_6 Depth=2
	v_cmp_lt_i32_e32 vcc, v1, v14
	s_mov_b64 s[50:51], s[46:47]
                                        ; implicit-def: $vgpr10_vgpr11
	s_and_saveexec_b64 s[48:49], vcc
	s_cbranch_execz .LBB28_55
; %bb.48:                               ;   in Loop: Header=BB28_6 Depth=2
	s_mov_b64 s[52:53], 0
                                        ; implicit-def: $sgpr50_sgpr51
                                        ; implicit-def: $sgpr56_sgpr57
                                        ; implicit-def: $sgpr54_sgpr55
	s_branch .LBB28_50
.LBB28_49:                              ;   in Loop: Header=BB28_50 Depth=3
	s_or_b64 exec, exec, s[58:59]
	s_and_b64 s[58:59], exec, s[56:57]
	s_or_b64 s[52:53], s[58:59], s[52:53]
	s_andn2_b64 s[50:51], s[50:51], exec
	s_and_b64 s[58:59], s[54:55], exec
	s_or_b64 s[50:51], s[50:51], s[58:59]
	s_andn2_b64 exec, exec, s[52:53]
	s_cbranch_execz .LBB28_52
.LBB28_50:                              ;   Parent Loop BB28_3 Depth=1
                                        ;     Parent Loop BB28_6 Depth=2
                                        ; =>    This Inner Loop Header: Depth=3
	v_add_u32_e32 v7, v3, v1
	v_ashrrev_i32_e32 v8, 31, v7
	v_lshlrev_b64 v[9:10], 2, v[7:8]
	v_mov_b32_e32 v5, s17
	v_add_co_u32_e32 v9, vcc, s16, v9
	v_addc_co_u32_e32 v10, vcc, v5, v10, vcc
	global_load_dword v5, v[9:10], off
	s_or_b64 s[54:55], s[54:55], exec
	s_or_b64 s[56:57], s[56:57], exec
	s_waitcnt vmcnt(0)
	v_subrev_u32_e32 v5, s63, v5
	v_cmp_ne_u32_e32 vcc, v5, v6
	s_and_saveexec_b64 s[58:59], vcc
	s_cbranch_execz .LBB28_49
; %bb.51:                               ;   in Loop: Header=BB28_50 Depth=3
	v_add_u32_e32 v1, 1, v1
	v_cmp_ge_i32_e32 vcc, v1, v14
	s_andn2_b64 s[56:57], s[56:57], exec
	s_and_b64 s[60:61], vcc, exec
	s_andn2_b64 s[54:55], s[54:55], exec
	s_or_b64 s[56:57], s[56:57], s[60:61]
	s_branch .LBB28_49
.LBB28_52:                              ;   in Loop: Header=BB28_6 Depth=2
	s_or_b64 exec, exec, s[52:53]
	s_mov_b64 s[52:53], s[46:47]
                                        ; implicit-def: $vgpr10_vgpr11
	s_and_saveexec_b64 s[54:55], s[50:51]
	s_xor_b64 s[50:51], exec, s[54:55]
	s_cbranch_execz .LBB28_54
; %bb.53:                               ;   in Loop: Header=BB28_6 Depth=2
	v_lshlrev_b64 v[5:6], 3, v[7:8]
	v_mov_b32_e32 v1, s29
	v_add_co_u32_e32 v10, vcc, s28, v5
	v_addc_co_u32_e32 v11, vcc, v1, v6, vcc
	s_or_b64 s[52:53], s[46:47], exec
	global_store_dword v[10:11], v22, off
.LBB28_54:                              ;   in Loop: Header=BB28_6 Depth=2
	s_or_b64 exec, exec, s[50:51]
	s_andn2_b64 s[50:51], s[46:47], exec
	s_and_b64 s[52:53], s[52:53], exec
	s_or_b64 s[50:51], s[50:51], s[52:53]
.LBB28_55:                              ;   in Loop: Header=BB28_6 Depth=2
	s_or_b64 exec, exec, s[48:49]
	s_andn2_b64 s[46:47], s[46:47], exec
	s_and_b64 s[48:49], s[50:51], exec
	s_or_b64 s[46:47], s[46:47], s[48:49]
	s_or_b64 exec, exec, s[6:7]
	s_and_b64 exec, exec, s[46:47]
	s_cbranch_execz .LBB28_5
.LBB28_56:                              ;   in Loop: Header=BB28_6 Depth=2
	global_store_dword v[10:11], v12, off offset:4
	s_branch .LBB28_5
.LBB28_57:                              ;   in Loop: Header=BB28_3 Depth=1
	s_or_b64 exec, exec, s[34:35]
	s_and_saveexec_b64 s[6:7], s[0:1]
	s_cbranch_execz .LBB28_2
; %bb.58:                               ;   in Loop: Header=BB28_3 Depth=1
	s_mov_b64 s[8:9], 0
	v_mov_b32_e32 v4, v0
	s_branch .LBB28_61
.LBB28_59:                              ;   in Loop: Header=BB28_61 Depth=2
	s_or_b64 exec, exec, s[44:45]
	v_lshlrev_b64 v[5:6], 3, v[4:5]
	v_mov_b32_e32 v1, s23
	v_add_co_u32_e32 v7, vcc, s22, v5
	v_addc_co_u32_e32 v8, vcc, v1, v6, vcc
	global_load_dwordx2 v[7:8], v[7:8], off
	v_mov_b32_e32 v1, s21
	v_add_co_u32_e32 v5, vcc, s20, v5
	v_addc_co_u32_e32 v6, vcc, v1, v6, vcc
	s_waitcnt vmcnt(0)
	global_store_dwordx2 v[5:6], v[7:8], off
.LBB28_60:                              ;   in Loop: Header=BB28_61 Depth=2
	s_or_b64 exec, exec, s[34:35]
	v_add_u32_e32 v4, 0x400, v4
	v_cmp_le_u32_e32 vcc, s65, v4
	s_or_b64 s[8:9], vcc, s[8:9]
	s_andn2_b64 exec, exec, s[8:9]
	s_cbranch_execz .LBB28_2
.LBB28_61:                              ;   Parent Loop BB28_3 Depth=1
                                        ; =>  This Loop Header: Depth=2
                                        ;       Child Loop BB28_64 Depth 3
                                        ;       Child Loop BB28_67 Depth 3
	v_cmp_gt_i32_e32 vcc, s11, v4
	s_and_saveexec_b64 s[34:35], vcc
	s_cbranch_execz .LBB28_60
; %bb.62:                               ;   in Loop: Header=BB28_61 Depth=2
	v_ashrrev_i32_e32 v5, 31, v4
	v_lshlrev_b64 v[6:7], 2, v[4:5]
	v_mov_b32_e32 v1, s13
	v_add_co_u32_e32 v8, vcc, s12, v6
	v_addc_co_u32_e32 v9, vcc, v1, v7, vcc
	global_load_dword v8, v[8:9], off
	v_mov_b32_e32 v1, s15
	v_add_co_u32_e32 v9, vcc, s14, v6
	v_addc_co_u32_e32 v10, vcc, v1, v7, vcc
	global_load_dword v1, v[9:10], off
	s_waitcnt vmcnt(0)
	v_cmp_lt_i32_e32 vcc, v8, v1
	s_and_saveexec_b64 s[44:45], vcc
	s_cbranch_execz .LBB28_65
; %bb.63:                               ;   in Loop: Header=BB28_61 Depth=2
	v_subrev_u32_e32 v8, s63, v8
	v_ashrrev_i32_e32 v9, 31, v8
	v_lshlrev_b64 v[11:12], 3, v[8:9]
	v_mov_b32_e32 v10, s29
	v_add_co_u32_e32 v9, vcc, s28, v11
	v_addc_co_u32_e32 v10, vcc, v10, v12, vcc
	v_mov_b32_e32 v21, s19
	v_add_co_u32_e32 v11, vcc, s18, v11
	v_subrev_u32_e32 v1, s63, v1
	v_addc_co_u32_e32 v12, vcc, v21, v12, vcc
	s_mov_b64 s[46:47], 0
.LBB28_64:                              ;   Parent Loop BB28_3 Depth=1
                                        ;     Parent Loop BB28_61 Depth=2
                                        ; =>    This Inner Loop Header: Depth=3
	global_load_dwordx2 v[21:22], v[9:10], off
	v_add_co_u32_e32 v9, vcc, 8, v9
	v_add_u32_e32 v8, 1, v8
	v_addc_co_u32_e32 v10, vcc, 0, v10, vcc
	v_cmp_ge_i32_e32 vcc, v8, v1
	s_or_b64 s[46:47], vcc, s[46:47]
	s_waitcnt vmcnt(0)
	global_store_dwordx2 v[11:12], v[21:22], off
	v_add_co_u32_e32 v11, vcc, 8, v11
	v_addc_co_u32_e32 v12, vcc, 0, v12, vcc
	s_andn2_b64 exec, exec, s[46:47]
	s_cbranch_execnz .LBB28_64
.LBB28_65:                              ;   in Loop: Header=BB28_61 Depth=2
	s_or_b64 exec, exec, s[44:45]
	v_mov_b32_e32 v1, s37
	v_add_co_u32_e32 v8, vcc, s36, v6
	v_addc_co_u32_e32 v9, vcc, v1, v7, vcc
	v_mov_b32_e32 v1, s39
	v_add_co_u32_e32 v6, vcc, s38, v6
	v_addc_co_u32_e32 v7, vcc, v1, v7, vcc
	global_load_dword v8, v[8:9], off
	s_nop 0
	global_load_dword v1, v[6:7], off
	s_waitcnt vmcnt(0)
	v_cmp_lt_i32_e32 vcc, v8, v1
	s_and_saveexec_b64 s[44:45], vcc
	s_cbranch_execz .LBB28_59
; %bb.66:                               ;   in Loop: Header=BB28_61 Depth=2
	v_subrev_u32_e32 v6, s64, v8
	v_ashrrev_i32_e32 v7, 31, v6
	v_lshlrev_b64 v[9:10], 3, v[6:7]
	v_mov_b32_e32 v8, s31
	v_add_co_u32_e32 v7, vcc, s30, v9
	v_addc_co_u32_e32 v8, vcc, v8, v10, vcc
	v_mov_b32_e32 v11, s43
	v_add_co_u32_e32 v9, vcc, s42, v9
	v_subrev_u32_e32 v1, s64, v1
	v_addc_co_u32_e32 v10, vcc, v11, v10, vcc
	s_mov_b64 s[46:47], 0
.LBB28_67:                              ;   Parent Loop BB28_3 Depth=1
                                        ;     Parent Loop BB28_61 Depth=2
                                        ; =>    This Inner Loop Header: Depth=3
	global_load_dwordx2 v[11:12], v[7:8], off
	v_add_co_u32_e32 v7, vcc, 8, v7
	v_add_u32_e32 v6, 1, v6
	v_addc_co_u32_e32 v8, vcc, 0, v8, vcc
	v_cmp_ge_i32_e32 vcc, v6, v1
	s_or_b64 s[46:47], vcc, s[46:47]
	s_waitcnt vmcnt(0)
	global_store_dwordx2 v[9:10], v[11:12], off
	v_add_co_u32_e32 v9, vcc, 8, v9
	v_addc_co_u32_e32 v10, vcc, 0, v10, vcc
	s_andn2_b64 exec, exec, s[46:47]
	s_cbranch_execnz .LBB28_67
	s_branch .LBB28_59
.LBB28_68:
	s_endpgm
	.section	.rodata,"a",@progbits
	.p2align	6, 0x0
	.amdhsa_kernel _ZN9rocsparseL14kernel_freerunILi1024ELi1E21rocsparse_complex_numIfEiiEEvT3_S3_T2_PKS4_S6_PKS3_PKT1_21rocsparse_index_base_S6_S6_S8_PS9_SD_SC_S6_S6_S8_SD_SD_SC_SD_SD_
		.amdhsa_group_segment_fixed_size 0
		.amdhsa_private_segment_fixed_size 0
		.amdhsa_kernarg_size 168
		.amdhsa_user_sgpr_count 6
		.amdhsa_user_sgpr_private_segment_buffer 1
		.amdhsa_user_sgpr_dispatch_ptr 0
		.amdhsa_user_sgpr_queue_ptr 0
		.amdhsa_user_sgpr_kernarg_segment_ptr 1
		.amdhsa_user_sgpr_dispatch_id 0
		.amdhsa_user_sgpr_flat_scratch_init 0
		.amdhsa_user_sgpr_private_segment_size 0
		.amdhsa_uses_dynamic_stack 0
		.amdhsa_system_sgpr_private_segment_wavefront_offset 0
		.amdhsa_system_sgpr_workgroup_id_x 1
		.amdhsa_system_sgpr_workgroup_id_y 0
		.amdhsa_system_sgpr_workgroup_id_z 0
		.amdhsa_system_sgpr_workgroup_info 0
		.amdhsa_system_vgpr_workitem_id 0
		.amdhsa_next_free_vgpr 32
		.amdhsa_next_free_sgpr 70
		.amdhsa_reserve_vcc 1
		.amdhsa_reserve_flat_scratch 0
		.amdhsa_float_round_mode_32 0
		.amdhsa_float_round_mode_16_64 0
		.amdhsa_float_denorm_mode_32 3
		.amdhsa_float_denorm_mode_16_64 3
		.amdhsa_dx10_clamp 1
		.amdhsa_ieee_mode 1
		.amdhsa_fp16_overflow 0
		.amdhsa_exception_fp_ieee_invalid_op 0
		.amdhsa_exception_fp_denorm_src 0
		.amdhsa_exception_fp_ieee_div_zero 0
		.amdhsa_exception_fp_ieee_overflow 0
		.amdhsa_exception_fp_ieee_underflow 0
		.amdhsa_exception_fp_ieee_inexact 0
		.amdhsa_exception_int_div_zero 0
	.end_amdhsa_kernel
	.section	.text._ZN9rocsparseL14kernel_freerunILi1024ELi1E21rocsparse_complex_numIfEiiEEvT3_S3_T2_PKS4_S6_PKS3_PKT1_21rocsparse_index_base_S6_S6_S8_PS9_SD_SC_S6_S6_S8_SD_SD_SC_SD_SD_,"axG",@progbits,_ZN9rocsparseL14kernel_freerunILi1024ELi1E21rocsparse_complex_numIfEiiEEvT3_S3_T2_PKS4_S6_PKS3_PKT1_21rocsparse_index_base_S6_S6_S8_PS9_SD_SC_S6_S6_S8_SD_SD_SC_SD_SD_,comdat
.Lfunc_end28:
	.size	_ZN9rocsparseL14kernel_freerunILi1024ELi1E21rocsparse_complex_numIfEiiEEvT3_S3_T2_PKS4_S6_PKS3_PKT1_21rocsparse_index_base_S6_S6_S8_PS9_SD_SC_S6_S6_S8_SD_SD_SC_SD_SD_, .Lfunc_end28-_ZN9rocsparseL14kernel_freerunILi1024ELi1E21rocsparse_complex_numIfEiiEEvT3_S3_T2_PKS4_S6_PKS3_PKT1_21rocsparse_index_base_S6_S6_S8_PS9_SD_SC_S6_S6_S8_SD_SD_SC_SD_SD_
                                        ; -- End function
	.set _ZN9rocsparseL14kernel_freerunILi1024ELi1E21rocsparse_complex_numIfEiiEEvT3_S3_T2_PKS4_S6_PKS3_PKT1_21rocsparse_index_base_S6_S6_S8_PS9_SD_SC_S6_S6_S8_SD_SD_SC_SD_SD_.num_vgpr, 32
	.set _ZN9rocsparseL14kernel_freerunILi1024ELi1E21rocsparse_complex_numIfEiiEEvT3_S3_T2_PKS4_S6_PKS3_PKT1_21rocsparse_index_base_S6_S6_S8_PS9_SD_SC_S6_S6_S8_SD_SD_SC_SD_SD_.num_agpr, 0
	.set _ZN9rocsparseL14kernel_freerunILi1024ELi1E21rocsparse_complex_numIfEiiEEvT3_S3_T2_PKS4_S6_PKS3_PKT1_21rocsparse_index_base_S6_S6_S8_PS9_SD_SC_S6_S6_S8_SD_SD_SC_SD_SD_.numbered_sgpr, 70
	.set _ZN9rocsparseL14kernel_freerunILi1024ELi1E21rocsparse_complex_numIfEiiEEvT3_S3_T2_PKS4_S6_PKS3_PKT1_21rocsparse_index_base_S6_S6_S8_PS9_SD_SC_S6_S6_S8_SD_SD_SC_SD_SD_.num_named_barrier, 0
	.set _ZN9rocsparseL14kernel_freerunILi1024ELi1E21rocsparse_complex_numIfEiiEEvT3_S3_T2_PKS4_S6_PKS3_PKT1_21rocsparse_index_base_S6_S6_S8_PS9_SD_SC_S6_S6_S8_SD_SD_SC_SD_SD_.private_seg_size, 0
	.set _ZN9rocsparseL14kernel_freerunILi1024ELi1E21rocsparse_complex_numIfEiiEEvT3_S3_T2_PKS4_S6_PKS3_PKT1_21rocsparse_index_base_S6_S6_S8_PS9_SD_SC_S6_S6_S8_SD_SD_SC_SD_SD_.uses_vcc, 1
	.set _ZN9rocsparseL14kernel_freerunILi1024ELi1E21rocsparse_complex_numIfEiiEEvT3_S3_T2_PKS4_S6_PKS3_PKT1_21rocsparse_index_base_S6_S6_S8_PS9_SD_SC_S6_S6_S8_SD_SD_SC_SD_SD_.uses_flat_scratch, 0
	.set _ZN9rocsparseL14kernel_freerunILi1024ELi1E21rocsparse_complex_numIfEiiEEvT3_S3_T2_PKS4_S6_PKS3_PKT1_21rocsparse_index_base_S6_S6_S8_PS9_SD_SC_S6_S6_S8_SD_SD_SC_SD_SD_.has_dyn_sized_stack, 0
	.set _ZN9rocsparseL14kernel_freerunILi1024ELi1E21rocsparse_complex_numIfEiiEEvT3_S3_T2_PKS4_S6_PKS3_PKT1_21rocsparse_index_base_S6_S6_S8_PS9_SD_SC_S6_S6_S8_SD_SD_SC_SD_SD_.has_recursion, 0
	.set _ZN9rocsparseL14kernel_freerunILi1024ELi1E21rocsparse_complex_numIfEiiEEvT3_S3_T2_PKS4_S6_PKS3_PKT1_21rocsparse_index_base_S6_S6_S8_PS9_SD_SC_S6_S6_S8_SD_SD_SC_SD_SD_.has_indirect_call, 0
	.section	.AMDGPU.csdata,"",@progbits
; Kernel info:
; codeLenInByte = 3064
; TotalNumSgprs: 74
; NumVgprs: 32
; ScratchSize: 0
; MemoryBound: 0
; FloatMode: 240
; IeeeMode: 1
; LDSByteSize: 0 bytes/workgroup (compile time only)
; SGPRBlocks: 9
; VGPRBlocks: 7
; NumSGPRsForWavesPerEU: 74
; NumVGPRsForWavesPerEU: 32
; Occupancy: 8
; WaveLimiterHint : 1
; COMPUTE_PGM_RSRC2:SCRATCH_EN: 0
; COMPUTE_PGM_RSRC2:USER_SGPR: 6
; COMPUTE_PGM_RSRC2:TRAP_HANDLER: 0
; COMPUTE_PGM_RSRC2:TGID_X_EN: 1
; COMPUTE_PGM_RSRC2:TGID_Y_EN: 0
; COMPUTE_PGM_RSRC2:TGID_Z_EN: 0
; COMPUTE_PGM_RSRC2:TIDIG_COMP_CNT: 0
	.section	.text._ZN9rocsparseL14kernel_freerunILi1024ELi2E21rocsparse_complex_numIfEiiEEvT3_S3_T2_PKS4_S6_PKS3_PKT1_21rocsparse_index_base_S6_S6_S8_PS9_SD_SC_S6_S6_S8_SD_SD_SC_SD_SD_,"axG",@progbits,_ZN9rocsparseL14kernel_freerunILi1024ELi2E21rocsparse_complex_numIfEiiEEvT3_S3_T2_PKS4_S6_PKS3_PKT1_21rocsparse_index_base_S6_S6_S8_PS9_SD_SC_S6_S6_S8_SD_SD_SC_SD_SD_,comdat
	.globl	_ZN9rocsparseL14kernel_freerunILi1024ELi2E21rocsparse_complex_numIfEiiEEvT3_S3_T2_PKS4_S6_PKS3_PKT1_21rocsparse_index_base_S6_S6_S8_PS9_SD_SC_S6_S6_S8_SD_SD_SC_SD_SD_ ; -- Begin function _ZN9rocsparseL14kernel_freerunILi1024ELi2E21rocsparse_complex_numIfEiiEEvT3_S3_T2_PKS4_S6_PKS3_PKT1_21rocsparse_index_base_S6_S6_S8_PS9_SD_SC_S6_S6_S8_SD_SD_SC_SD_SD_
	.p2align	8
	.type	_ZN9rocsparseL14kernel_freerunILi1024ELi2E21rocsparse_complex_numIfEiiEEvT3_S3_T2_PKS4_S6_PKS3_PKT1_21rocsparse_index_base_S6_S6_S8_PS9_SD_SC_S6_S6_S8_SD_SD_SC_SD_SD_,@function
_ZN9rocsparseL14kernel_freerunILi1024ELi2E21rocsparse_complex_numIfEiiEEvT3_S3_T2_PKS4_S6_PKS3_PKT1_21rocsparse_index_base_S6_S6_S8_PS9_SD_SC_S6_S6_S8_SD_SD_SC_SD_SD_: ; @_ZN9rocsparseL14kernel_freerunILi1024ELi2E21rocsparse_complex_numIfEiiEEvT3_S3_T2_PKS4_S6_PKS3_PKT1_21rocsparse_index_base_S6_S6_S8_PS9_SD_SC_S6_S6_S8_SD_SD_SC_SD_SD_
; %bb.0:
	s_load_dwordx2 s[10:11], s[4:5], 0x0
	v_lshrrev_b32_e32 v1, 1, v0
	s_lshl_b32 s71, s6, 10
	v_or_b32_e32 v12, s71, v1
	s_mov_b32 s33, 0
	s_waitcnt lgkmcnt(0)
	s_cmp_gt_i32 s10, 0
	v_cmp_gt_i32_e32 vcc, s11, v12
	s_cselect_b64 s[0:1], -1, 0
	s_and_b64 s[0:1], vcc, s[0:1]
	s_and_saveexec_b64 s[2:3], s[0:1]
	s_cbranch_execz .LBB29_72
; %bb.1:
	s_load_dwordx4 s[28:31], s[4:5], 0x98
	s_load_dwordx8 s[12:19], s[4:5], 0x68
	s_load_dwordx8 s[20:27], s[4:5], 0x38
	;; [unrolled: 1-line block ×3, first 2 shown]
	s_load_dword s68, s[4:5], 0x30
	s_load_dwordx2 s[34:35], s[4:5], 0x58
	s_load_dword s69, s[4:5], 0x60
	s_load_dwordx2 s[44:45], s[4:5], 0x88
	s_load_dword s70, s[4:5], 0x90
	v_and_b32_e32 v0, 1, v0
	s_addk_i32 s71, 0x400
	s_waitcnt lgkmcnt(0)
	v_subrev_u32_e32 v13, s68, v0
	v_cmp_gt_u32_e64 s[0:1], s71, v12
	v_subrev_u32_e32 v14, s69, v0
	v_subrev_u32_e32 v15, s70, v0
	v_cmp_eq_u32_e64 s[2:3], 0, v0
	v_mov_b32_e32 v1, 0
	s_mov_b32 s72, 0xf800000
	v_mov_b32_e32 v16, 0x260
	s_movk_i32 s73, 0x1f8
	s_branch .LBB29_3
.LBB29_2:                               ;   in Loop: Header=BB29_3 Depth=1
	s_or_b64 exec, exec, s[4:5]
	s_add_i32 s33, s33, 1
	s_cmp_eq_u32 s33, s10
	s_cbranch_scc1 .LBB29_72
.LBB29_3:                               ; =>This Loop Header: Depth=1
                                        ;     Child Loop BB29_5 Depth 2
                                        ;       Child Loop BB29_9 Depth 3
                                        ;         Child Loop BB29_13 Depth 4
                                        ;         Child Loop BB29_43 Depth 4
	;; [unrolled: 1-line block ×3, first 2 shown]
                                        ;     Child Loop BB29_63 Depth 2
                                        ;       Child Loop BB29_66 Depth 3
                                        ;       Child Loop BB29_69 Depth 3
	s_mov_b32 s4, 0
	s_mov_b64 s[46:47], -1
	s_branch .LBB29_5
.LBB29_4:                               ;   in Loop: Header=BB29_5 Depth=2
	s_or_b64 exec, exec, s[48:49]
	s_xor_b64 s[6:7], s[46:47], -1
	s_movk_i32 s4, 0x200
	s_mov_b64 s[46:47], 0
	s_and_b64 vcc, exec, s[6:7]
	s_cbranch_vccnz .LBB29_60
.LBB29_5:                               ;   Parent Loop BB29_3 Depth=1
                                        ; =>  This Loop Header: Depth=2
                                        ;       Child Loop BB29_9 Depth 3
                                        ;         Child Loop BB29_13 Depth 4
                                        ;         Child Loop BB29_43 Depth 4
	;; [unrolled: 1-line block ×3, first 2 shown]
	v_or_b32_e32 v2, s4, v12
	v_cmp_gt_i32_e32 vcc, s11, v2
	s_and_saveexec_b64 s[48:49], vcc
	s_cbranch_execz .LBB29_4
; %bb.6:                                ;   in Loop: Header=BB29_5 Depth=2
	v_ashrrev_i32_e32 v3, 31, v2
	v_lshlrev_b64 v[4:5], 2, v[2:3]
	v_mov_b32_e32 v0, s37
	v_add_co_u32_e32 v6, vcc, s36, v4
	v_addc_co_u32_e32 v7, vcc, v0, v5, vcc
	global_load_dword v0, v[6:7], off
	v_mov_b32_e32 v3, s39
	v_add_co_u32_e32 v6, vcc, s38, v4
	v_addc_co_u32_e32 v7, vcc, v3, v5, vcc
	global_load_dword v6, v[6:7], off
	s_waitcnt vmcnt(1)
	v_add_u32_e32 v3, v13, v0
	s_waitcnt vmcnt(0)
	v_subrev_u32_e32 v17, s68, v6
	v_cmp_lt_i32_e32 vcc, v3, v17
	s_and_b64 exec, exec, vcc
	s_cbranch_execz .LBB29_4
; %bb.7:                                ;   in Loop: Header=BB29_5 Depth=2
	v_mov_b32_e32 v0, s23
	v_add_co_u32_e32 v6, vcc, s22, v4
	v_addc_co_u32_e32 v7, vcc, v0, v5, vcc
	v_mov_b32_e32 v0, s21
	v_add_co_u32_e32 v4, vcc, s20, v4
	v_addc_co_u32_e32 v5, vcc, v0, v5, vcc
	global_load_dword v0, v[4:5], off
	s_nop 0
	global_load_dword v4, v[6:7], off
	v_mov_b32_e32 v11, s25
	v_mov_b32_e32 v22, s27
	s_mov_b64 s[50:51], 0
	s_waitcnt vmcnt(1)
	v_subrev_u32_e32 v5, s69, v0
	v_ashrrev_i32_e32 v6, 31, v5
	v_lshlrev_b64 v[7:8], 2, v[5:6]
	v_lshlrev_b64 v[9:10], 3, v[5:6]
	v_add_co_u32_e32 v19, vcc, s24, v7
	v_addc_co_u32_e32 v20, vcc, v11, v8, vcc
	s_waitcnt vmcnt(0)
	v_sub_u32_e32 v18, v4, v0
	v_add_co_u32_e32 v21, vcc, s26, v9
	v_cmp_lt_i32_e64 s[4:5], 0, v18
	v_addc_co_u32_e32 v22, vcc, v22, v10, vcc
	s_branch .LBB29_9
.LBB29_8:                               ;   in Loop: Header=BB29_9 Depth=3
	s_or_b64 exec, exec, s[8:9]
	v_add_u32_e32 v3, 2, v3
	v_cmp_ge_i32_e32 vcc, v3, v17
	s_or_b64 s[50:51], vcc, s[50:51]
	s_andn2_b64 exec, exec, s[50:51]
	s_cbranch_execz .LBB29_4
.LBB29_9:                               ;   Parent Loop BB29_3 Depth=1
                                        ;     Parent Loop BB29_5 Depth=2
                                        ; =>    This Loop Header: Depth=3
                                        ;         Child Loop BB29_13 Depth 4
                                        ;         Child Loop BB29_43 Depth 4
	;; [unrolled: 1-line block ×3, first 2 shown]
	v_ashrrev_i32_e32 v4, 31, v3
	v_lshlrev_b64 v[6:7], 2, v[3:4]
	v_mov_b32_e32 v0, s41
	v_add_co_u32_e32 v6, vcc, s40, v6
	v_addc_co_u32_e32 v7, vcc, v0, v7, vcc
	global_load_dword v0, v[6:7], off
	v_mov_b32_e32 v11, s13
	v_mov_b32_e32 v23, s15
	;; [unrolled: 1-line block ×3, first 2 shown]
	s_waitcnt vmcnt(0)
	v_subrev_u32_e32 v6, s68, v0
	v_ashrrev_i32_e32 v7, 31, v6
	v_lshlrev_b64 v[8:9], 2, v[6:7]
	v_mov_b32_e32 v0, 0
	v_add_co_u32_e32 v10, vcc, s12, v8
	v_addc_co_u32_e32 v11, vcc, v11, v9, vcc
	v_add_co_u32_e32 v8, vcc, s14, v8
	v_addc_co_u32_e32 v9, vcc, v23, v9, vcc
	global_load_dword v10, v[10:11], off
	s_nop 0
	global_load_dword v9, v[8:9], off
	v_mov_b32_e32 v11, 0
	s_waitcnt vmcnt(1)
	v_subrev_u32_e32 v8, s70, v10
	s_waitcnt vmcnt(0)
	v_sub_u32_e32 v23, v9, v10
	v_mov_b32_e32 v9, v0
	s_and_saveexec_b64 s[6:7], s[4:5]
	s_cbranch_execz .LBB29_17
; %bb.10:                               ;   in Loop: Header=BB29_9 Depth=3
	v_ashrrev_i32_e32 v9, 31, v8
	v_lshlrev_b64 v[10:11], 2, v[8:9]
	v_mov_b32_e32 v0, s17
	v_add_co_u32_e32 v24, vcc, s16, v10
	v_lshlrev_b64 v[9:10], 3, v[8:9]
	v_addc_co_u32_e32 v26, vcc, v0, v11, vcc
	v_mov_b32_e32 v0, s19
	v_add_co_u32_e32 v27, vcc, s18, v9
	v_mov_b32_e32 v9, 0
	v_addc_co_u32_e32 v28, vcc, v0, v10, vcc
	v_mov_b32_e32 v11, 0
	s_mov_b64 s[8:9], 0
	v_mov_b32_e32 v0, v9
	v_mov_b32_e32 v25, 0
                                        ; implicit-def: $sgpr52_sgpr53
	s_branch .LBB29_13
.LBB29_11:                              ;   in Loop: Header=BB29_13 Depth=4
	s_or_b64 exec, exec, s[56:57]
	v_cmp_le_i32_e32 vcc, v29, v30
	v_addc_co_u32_e32 v0, vcc, 0, v0, vcc
	v_cmp_ge_i32_e32 vcc, v29, v30
	v_addc_co_u32_e32 v9, vcc, 0, v9, vcc
	v_cmp_ge_i32_e32 vcc, v0, v18
	s_andn2_b64 s[52:53], s[52:53], exec
	s_and_b64 s[56:57], vcc, exec
	s_or_b64 s[52:53], s[52:53], s[56:57]
.LBB29_12:                              ;   in Loop: Header=BB29_13 Depth=4
	s_or_b64 exec, exec, s[54:55]
	s_and_b64 s[54:55], exec, s[52:53]
	s_or_b64 s[8:9], s[54:55], s[8:9]
	s_andn2_b64 exec, exec, s[8:9]
	s_cbranch_execz .LBB29_16
.LBB29_13:                              ;   Parent Loop BB29_3 Depth=1
                                        ;     Parent Loop BB29_5 Depth=2
                                        ;       Parent Loop BB29_9 Depth=3
                                        ; =>      This Inner Loop Header: Depth=4
	v_cmp_lt_i32_e32 vcc, v9, v23
	s_or_b64 s[52:53], s[52:53], exec
	s_and_saveexec_b64 s[54:55], vcc
	s_cbranch_execz .LBB29_12
; %bb.14:                               ;   in Loop: Header=BB29_13 Depth=4
	v_lshlrev_b64 v[29:30], 2, v[0:1]
	v_mov_b32_e32 v10, v1
	v_add_co_u32_e32 v29, vcc, v19, v29
	v_addc_co_u32_e32 v30, vcc, v20, v30, vcc
	global_load_dword v31, v[29:30], off
	v_lshlrev_b64 v[29:30], 2, v[9:10]
	v_add_co_u32_e32 v29, vcc, v24, v29
	v_addc_co_u32_e32 v30, vcc, v26, v30, vcc
	global_load_dword v30, v[29:30], off
	s_waitcnt vmcnt(1)
	v_subrev_u32_e32 v29, s69, v31
	s_waitcnt vmcnt(0)
	v_subrev_u32_e32 v30, s70, v30
	v_cmp_eq_u32_e32 vcc, v29, v30
	s_and_saveexec_b64 s[56:57], vcc
	s_cbranch_execz .LBB29_11
; %bb.15:                               ;   in Loop: Header=BB29_13 Depth=4
	v_lshlrev_b64 v[31:32], 3, v[0:1]
	v_lshlrev_b64 v[33:34], 3, v[9:10]
	v_add_co_u32_e32 v31, vcc, v21, v31
	v_addc_co_u32_e32 v32, vcc, v22, v32, vcc
	v_add_co_u32_e32 v33, vcc, v27, v33
	v_addc_co_u32_e32 v34, vcc, v28, v34, vcc
	global_load_dwordx2 v[31:32], v[31:32], off
	s_nop 0
	global_load_dwordx2 v[33:34], v[33:34], off
	s_waitcnt vmcnt(0)
	v_fmac_f32_e32 v11, v31, v33
	v_fmac_f32_e32 v25, v32, v33
	v_fma_f32 v11, -v32, v34, v11
	v_fmac_f32_e32 v25, v31, v34
	s_branch .LBB29_11
.LBB29_16:                              ;   in Loop: Header=BB29_9 Depth=3
	s_or_b64 exec, exec, s[8:9]
.LBB29_17:                              ;   in Loop: Header=BB29_9 Depth=3
	s_or_b64 exec, exec, s[6:7]
	v_lshlrev_b64 v[26:27], 3, v[3:4]
	v_mov_b32_e32 v4, s43
	v_add_co_u32_e32 v26, vcc, s42, v26
	v_addc_co_u32_e32 v27, vcc, v4, v27, vcc
	global_load_dwordx2 v[26:27], v[26:27], off
	v_cmp_le_i32_e64 s[6:7], v2, v6
	v_cmp_gt_i32_e32 vcc, v2, v6
	s_waitcnt vmcnt(0)
	v_sub_f32_e32 v24, v26, v11
	v_sub_f32_e32 v4, v27, v25
	s_and_saveexec_b64 s[52:53], vcc
	s_cbranch_execz .LBB29_27
; %bb.18:                               ;   in Loop: Header=BB29_9 Depth=3
	v_lshlrev_b64 v[10:11], 3, v[6:7]
	v_mov_b32_e32 v25, s29
	v_add_co_u32_e32 v10, vcc, s28, v10
	v_addc_co_u32_e32 v11, vcc, v25, v11, vcc
	global_load_dwordx2 v[10:11], v[10:11], off
                                        ; implicit-def: $vgpr27
	s_waitcnt vmcnt(0)
	v_cmp_gt_f32_e32 vcc, 0, v10
	v_cndmask_b32_e64 v25, v10, -v10, vcc
	v_cmp_gt_f32_e32 vcc, 0, v11
	v_cndmask_b32_e64 v26, v11, -v11, vcc
	v_cmp_ngt_f32_e32 vcc, v25, v26
	s_and_saveexec_b64 s[8:9], vcc
	s_xor_b64 s[54:55], exec, s[8:9]
	s_cbranch_execz .LBB29_22
; %bb.19:                               ;   in Loop: Header=BB29_9 Depth=3
	v_mov_b32_e32 v27, 0
	v_cmp_neq_f32_e32 vcc, 0, v11
	s_and_saveexec_b64 s[56:57], vcc
	s_cbranch_execz .LBB29_21
; %bb.20:                               ;   in Loop: Header=BB29_9 Depth=3
	v_div_scale_f32 v27, s[8:9], v26, v26, v25
	v_div_scale_f32 v28, vcc, v25, v26, v25
	v_rcp_f32_e32 v29, v27
	v_fma_f32 v30, -v27, v29, 1.0
	v_fmac_f32_e32 v29, v30, v29
	v_mul_f32_e32 v30, v28, v29
	v_fma_f32 v31, -v27, v30, v28
	v_fmac_f32_e32 v30, v31, v29
	v_fma_f32 v27, -v27, v30, v28
	v_div_fmas_f32 v27, v27, v29, v30
	v_div_fixup_f32 v25, v27, v26, v25
	v_fma_f32 v25, v25, v25, 1.0
	v_mul_f32_e32 v27, 0x4f800000, v25
	v_cmp_gt_f32_e32 vcc, s72, v25
	v_cndmask_b32_e32 v25, v25, v27, vcc
	v_sqrt_f32_e32 v27, v25
	v_add_u32_e32 v28, -1, v27
	v_add_u32_e32 v29, 1, v27
	v_fma_f32 v30, -v28, v27, v25
	v_fma_f32 v31, -v29, v27, v25
	v_cmp_ge_f32_e64 s[8:9], 0, v30
	v_cndmask_b32_e64 v27, v27, v28, s[8:9]
	v_cmp_lt_f32_e64 s[8:9], 0, v31
	v_cndmask_b32_e64 v27, v27, v29, s[8:9]
	v_mul_f32_e32 v28, 0x37800000, v27
	v_cndmask_b32_e32 v27, v27, v28, vcc
	v_cmp_class_f32_e32 vcc, v25, v16
	v_cndmask_b32_e32 v25, v27, v25, vcc
	v_mul_f32_e32 v27, v26, v25
.LBB29_21:                              ;   in Loop: Header=BB29_9 Depth=3
	s_or_b64 exec, exec, s[56:57]
                                        ; implicit-def: $vgpr25
                                        ; implicit-def: $vgpr26
.LBB29_22:                              ;   in Loop: Header=BB29_9 Depth=3
	s_andn2_saveexec_b64 s[54:55], s[54:55]
	s_cbranch_execz .LBB29_24
; %bb.23:                               ;   in Loop: Header=BB29_9 Depth=3
	v_div_scale_f32 v27, s[8:9], v25, v25, v26
	v_div_scale_f32 v28, vcc, v26, v25, v26
	v_rcp_f32_e32 v29, v27
	v_fma_f32 v30, -v27, v29, 1.0
	v_fmac_f32_e32 v29, v30, v29
	v_mul_f32_e32 v30, v28, v29
	v_fma_f32 v31, -v27, v30, v28
	v_fmac_f32_e32 v30, v31, v29
	v_fma_f32 v27, -v27, v30, v28
	v_div_fmas_f32 v27, v27, v29, v30
	v_div_fixup_f32 v26, v27, v25, v26
	v_fma_f32 v26, v26, v26, 1.0
	v_mul_f32_e32 v27, 0x4f800000, v26
	v_cmp_gt_f32_e32 vcc, s72, v26
	v_cndmask_b32_e32 v26, v26, v27, vcc
	v_sqrt_f32_e32 v27, v26
	v_add_u32_e32 v28, -1, v27
	v_add_u32_e32 v29, 1, v27
	v_fma_f32 v30, -v28, v27, v26
	v_fma_f32 v31, -v29, v27, v26
	v_cmp_ge_f32_e64 s[8:9], 0, v30
	v_cndmask_b32_e64 v27, v27, v28, s[8:9]
	v_cmp_lt_f32_e64 s[8:9], 0, v31
	v_cndmask_b32_e64 v27, v27, v29, s[8:9]
	v_mul_f32_e32 v28, 0x37800000, v27
	v_cndmask_b32_e32 v27, v27, v28, vcc
	v_cmp_class_f32_e32 vcc, v26, v16
	v_cndmask_b32_e32 v26, v27, v26, vcc
	v_mul_f32_e32 v27, v25, v26
.LBB29_24:                              ;   in Loop: Header=BB29_9 Depth=3
	s_or_b64 exec, exec, s[54:55]
	v_mov_b32_e32 v25, 0
	v_cmp_lt_f32_e32 vcc, 0, v27
	v_mov_b32_e32 v26, 0
	s_and_saveexec_b64 s[8:9], vcc
	s_cbranch_execz .LBB29_26
; %bb.25:                               ;   in Loop: Header=BB29_9 Depth=3
	v_mul_f32_e32 v25, v11, v11
	v_fmac_f32_e32 v25, v10, v10
	v_div_scale_f32 v26, s[54:55], v25, v25, 1.0
	v_div_scale_f32 v27, vcc, 1.0, v25, 1.0
	v_rcp_f32_e32 v28, v26
	v_fma_f32 v29, -v26, v28, 1.0
	v_fmac_f32_e32 v28, v29, v28
	v_mul_f32_e32 v29, v27, v28
	v_fma_f32 v30, -v26, v29, v27
	v_fmac_f32_e32 v29, v30, v28
	v_fma_f32 v26, -v26, v29, v27
	v_div_fmas_f32 v26, v26, v28, v29
	v_mul_f32_e32 v27, v4, v11
	v_mul_f32_e64 v11, v11, -v24
	v_fmac_f32_e32 v27, v24, v10
	v_fmac_f32_e32 v11, v4, v10
	v_div_fixup_f32 v4, v26, v25, 1.0
	v_mul_f32_e32 v25, v27, v4
	v_mul_f32_e32 v26, v11, v4
.LBB29_26:                              ;   in Loop: Header=BB29_9 Depth=3
	s_or_b64 exec, exec, s[8:9]
	v_mov_b32_e32 v24, v25
	v_mov_b32_e32 v4, v26
.LBB29_27:                              ;   in Loop: Header=BB29_9 Depth=3
	s_or_b64 exec, exec, s[52:53]
	v_cmp_gt_f32_e32 vcc, 0, v24
	v_cndmask_b32_e64 v10, v24, -v24, vcc
	v_cmp_gt_f32_e32 vcc, 0, v4
	v_cndmask_b32_e64 v11, v4, -v4, vcc
	v_cmp_ngt_f32_e32 vcc, v10, v11
                                        ; implicit-def: $vgpr25
	s_and_saveexec_b64 s[8:9], vcc
	s_xor_b64 s[52:53], exec, s[8:9]
	s_cbranch_execnz .LBB29_30
; %bb.28:                               ;   in Loop: Header=BB29_9 Depth=3
	s_andn2_saveexec_b64 s[52:53], s[52:53]
	s_cbranch_execnz .LBB29_33
.LBB29_29:                              ;   in Loop: Header=BB29_9 Depth=3
	s_or_b64 exec, exec, s[52:53]
	v_cmp_class_f32_e64 s[52:53], v25, s73
	s_and_saveexec_b64 s[8:9], s[52:53]
	s_cbranch_execz .LBB29_8
	s_branch .LBB29_34
.LBB29_30:                              ;   in Loop: Header=BB29_9 Depth=3
	v_mov_b32_e32 v25, 0
	v_cmp_neq_f32_e32 vcc, 0, v4
	s_and_saveexec_b64 s[54:55], vcc
	s_cbranch_execz .LBB29_32
; %bb.31:                               ;   in Loop: Header=BB29_9 Depth=3
	v_div_scale_f32 v25, s[8:9], v11, v11, v10
	v_div_scale_f32 v26, vcc, v10, v11, v10
	v_rcp_f32_e32 v27, v25
	v_fma_f32 v28, -v25, v27, 1.0
	v_fmac_f32_e32 v27, v28, v27
	v_mul_f32_e32 v28, v26, v27
	v_fma_f32 v29, -v25, v28, v26
	v_fmac_f32_e32 v28, v29, v27
	v_fma_f32 v25, -v25, v28, v26
	v_div_fmas_f32 v25, v25, v27, v28
	v_div_fixup_f32 v10, v25, v11, v10
	v_fma_f32 v10, v10, v10, 1.0
	v_mul_f32_e32 v25, 0x4f800000, v10
	v_cmp_gt_f32_e32 vcc, s72, v10
	v_cndmask_b32_e32 v10, v10, v25, vcc
	v_sqrt_f32_e32 v25, v10
	v_add_u32_e32 v26, -1, v25
	v_add_u32_e32 v27, 1, v25
	v_fma_f32 v28, -v26, v25, v10
	v_fma_f32 v29, -v27, v25, v10
	v_cmp_ge_f32_e64 s[8:9], 0, v28
	v_cndmask_b32_e64 v25, v25, v26, s[8:9]
	v_cmp_lt_f32_e64 s[8:9], 0, v29
	v_cndmask_b32_e64 v25, v25, v27, s[8:9]
	v_mul_f32_e32 v26, 0x37800000, v25
	v_cndmask_b32_e32 v25, v25, v26, vcc
	v_cmp_class_f32_e32 vcc, v10, v16
	v_cndmask_b32_e32 v10, v25, v10, vcc
	v_mul_f32_e32 v25, v11, v10
.LBB29_32:                              ;   in Loop: Header=BB29_9 Depth=3
	s_or_b64 exec, exec, s[54:55]
                                        ; implicit-def: $vgpr10
                                        ; implicit-def: $vgpr11
	s_andn2_saveexec_b64 s[52:53], s[52:53]
	s_cbranch_execz .LBB29_29
.LBB29_33:                              ;   in Loop: Header=BB29_9 Depth=3
	v_div_scale_f32 v25, s[8:9], v10, v10, v11
	v_div_scale_f32 v26, vcc, v11, v10, v11
	v_rcp_f32_e32 v27, v25
	v_fma_f32 v28, -v25, v27, 1.0
	v_fmac_f32_e32 v27, v28, v27
	v_mul_f32_e32 v28, v26, v27
	v_fma_f32 v29, -v25, v28, v26
	v_fmac_f32_e32 v28, v29, v27
	v_fma_f32 v25, -v25, v28, v26
	v_div_fmas_f32 v25, v25, v27, v28
	v_div_fixup_f32 v11, v25, v10, v11
	v_fma_f32 v11, v11, v11, 1.0
	v_mul_f32_e32 v25, 0x4f800000, v11
	v_cmp_gt_f32_e32 vcc, s72, v11
	v_cndmask_b32_e32 v11, v11, v25, vcc
	v_sqrt_f32_e32 v25, v11
	v_add_u32_e32 v26, -1, v25
	v_add_u32_e32 v27, 1, v25
	v_fma_f32 v28, -v26, v25, v11
	v_fma_f32 v29, -v27, v25, v11
	v_cmp_ge_f32_e64 s[8:9], 0, v28
	v_cndmask_b32_e64 v25, v25, v26, s[8:9]
	v_cmp_lt_f32_e64 s[8:9], 0, v29
	v_cndmask_b32_e64 v25, v25, v27, s[8:9]
	v_mul_f32_e32 v26, 0x37800000, v25
	v_cndmask_b32_e32 v25, v25, v26, vcc
	v_cmp_class_f32_e32 vcc, v11, v16
	v_cndmask_b32_e32 v11, v25, v11, vcc
	v_mul_f32_e32 v25, v10, v11
	s_or_b64 exec, exec, s[52:53]
	v_cmp_class_f32_e64 s[52:53], v25, s73
	s_and_saveexec_b64 s[8:9], s[52:53]
	s_cbranch_execz .LBB29_8
.LBB29_34:                              ;   in Loop: Header=BB29_9 Depth=3
	s_mov_b64 s[52:53], 0
                                        ; implicit-def: $vgpr10_vgpr11
	s_and_saveexec_b64 s[54:55], s[6:7]
	s_xor_b64 s[6:7], exec, s[54:55]
	s_cbranch_execnz .LBB29_37
; %bb.35:                               ;   in Loop: Header=BB29_9 Depth=3
	s_andn2_saveexec_b64 s[6:7], s[6:7]
	s_cbranch_execnz .LBB29_50
.LBB29_36:                              ;   in Loop: Header=BB29_9 Depth=3
	s_or_b64 exec, exec, s[6:7]
	s_and_b64 exec, exec, s[52:53]
	s_cbranch_execz .LBB29_8
	s_branch .LBB29_59
.LBB29_37:                              ;   in Loop: Header=BB29_9 Depth=3
	v_cmp_ge_i32_e32 vcc, v2, v6
                                        ; implicit-def: $vgpr10_vgpr11
	s_and_saveexec_b64 s[54:55], vcc
	s_xor_b64 s[54:55], exec, s[54:55]
	s_cbranch_execz .LBB29_39
; %bb.38:                               ;   in Loop: Header=BB29_9 Depth=3
	v_lshlrev_b64 v[6:7], 3, v[6:7]
	v_mov_b32_e32 v0, s31
	v_add_co_u32_e32 v10, vcc, s30, v6
	v_addc_co_u32_e32 v11, vcc, v0, v7, vcc
	s_mov_b64 s[52:53], exec
	global_store_dword v[10:11], v24, off
                                        ; implicit-def: $vgpr9
                                        ; implicit-def: $vgpr23
                                        ; implicit-def: $vgpr24
                                        ; implicit-def: $vgpr8
.LBB29_39:                              ;   in Loop: Header=BB29_9 Depth=3
	s_andn2_saveexec_b64 s[54:55], s[54:55]
	s_cbranch_execz .LBB29_49
; %bb.40:                               ;   in Loop: Header=BB29_9 Depth=3
	v_cmp_lt_i32_e32 vcc, v9, v23
	s_mov_b64 s[58:59], s[52:53]
                                        ; implicit-def: $vgpr10_vgpr11
	s_and_saveexec_b64 s[56:57], vcc
	s_cbranch_execz .LBB29_48
; %bb.41:                               ;   in Loop: Header=BB29_9 Depth=3
	s_mov_b64 s[60:61], 0
                                        ; implicit-def: $sgpr58_sgpr59
                                        ; implicit-def: $sgpr64_sgpr65
                                        ; implicit-def: $sgpr62_sgpr63
	s_branch .LBB29_43
.LBB29_42:                              ;   in Loop: Header=BB29_43 Depth=4
	s_or_b64 exec, exec, s[66:67]
	s_and_b64 s[66:67], exec, s[64:65]
	s_or_b64 s[60:61], s[66:67], s[60:61]
	s_andn2_b64 s[58:59], s[58:59], exec
	s_and_b64 s[66:67], s[62:63], exec
	s_or_b64 s[58:59], s[58:59], s[66:67]
	s_andn2_b64 exec, exec, s[60:61]
	s_cbranch_execz .LBB29_45
.LBB29_43:                              ;   Parent Loop BB29_3 Depth=1
                                        ;     Parent Loop BB29_5 Depth=2
                                        ;       Parent Loop BB29_9 Depth=3
                                        ; =>      This Inner Loop Header: Depth=4
	v_add_u32_e32 v6, v8, v9
	v_ashrrev_i32_e32 v7, 31, v6
	v_lshlrev_b64 v[10:11], 2, v[6:7]
	v_mov_b32_e32 v0, s17
	v_add_co_u32_e32 v10, vcc, s16, v10
	v_addc_co_u32_e32 v11, vcc, v0, v11, vcc
	global_load_dword v0, v[10:11], off
	s_or_b64 s[62:63], s[62:63], exec
	s_or_b64 s[64:65], s[64:65], exec
	s_waitcnt vmcnt(0)
	v_subrev_u32_e32 v0, s70, v0
	v_cmp_ne_u32_e32 vcc, v0, v2
	s_and_saveexec_b64 s[66:67], vcc
	s_cbranch_execz .LBB29_42
; %bb.44:                               ;   in Loop: Header=BB29_43 Depth=4
	v_add_u32_e32 v9, 1, v9
	v_cmp_ge_i32_e32 vcc, v9, v23
	s_andn2_b64 s[64:65], s[64:65], exec
	s_and_b64 s[74:75], vcc, exec
	s_andn2_b64 s[62:63], s[62:63], exec
	s_or_b64 s[64:65], s[64:65], s[74:75]
	s_branch .LBB29_42
.LBB29_45:                              ;   in Loop: Header=BB29_9 Depth=3
	s_or_b64 exec, exec, s[60:61]
	s_mov_b64 s[60:61], s[52:53]
                                        ; implicit-def: $vgpr10_vgpr11
	s_and_saveexec_b64 s[62:63], s[58:59]
	s_xor_b64 s[58:59], exec, s[62:63]
	s_cbranch_execz .LBB29_47
; %bb.46:                               ;   in Loop: Header=BB29_9 Depth=3
	v_lshlrev_b64 v[6:7], 3, v[6:7]
	v_mov_b32_e32 v0, s45
	v_add_co_u32_e32 v10, vcc, s44, v6
	v_addc_co_u32_e32 v11, vcc, v0, v7, vcc
	s_or_b64 s[60:61], s[52:53], exec
	global_store_dword v[10:11], v24, off
.LBB29_47:                              ;   in Loop: Header=BB29_9 Depth=3
	s_or_b64 exec, exec, s[58:59]
	s_andn2_b64 s[58:59], s[52:53], exec
	s_and_b64 s[60:61], s[60:61], exec
	s_or_b64 s[58:59], s[58:59], s[60:61]
.LBB29_48:                              ;   in Loop: Header=BB29_9 Depth=3
	s_or_b64 exec, exec, s[56:57]
	s_andn2_b64 s[52:53], s[52:53], exec
	s_and_b64 s[56:57], s[58:59], exec
	s_or_b64 s[52:53], s[52:53], s[56:57]
.LBB29_49:                              ;   in Loop: Header=BB29_9 Depth=3
	s_or_b64 exec, exec, s[54:55]
	s_and_b64 s[52:53], s[52:53], exec
                                        ; implicit-def: $vgpr24
                                        ; implicit-def: $vgpr6_vgpr7
	s_andn2_saveexec_b64 s[6:7], s[6:7]
	s_cbranch_execz .LBB29_36
.LBB29_50:                              ;   in Loop: Header=BB29_9 Depth=3
	v_cmp_lt_i32_e32 vcc, v0, v18
	s_mov_b64 s[56:57], s[52:53]
                                        ; implicit-def: $vgpr10_vgpr11
	s_and_saveexec_b64 s[54:55], vcc
	s_cbranch_execz .LBB29_58
; %bb.51:                               ;   in Loop: Header=BB29_9 Depth=3
	s_mov_b64 s[58:59], 0
                                        ; implicit-def: $sgpr56_sgpr57
                                        ; implicit-def: $sgpr62_sgpr63
                                        ; implicit-def: $sgpr60_sgpr61
	s_branch .LBB29_53
.LBB29_52:                              ;   in Loop: Header=BB29_53 Depth=4
	s_or_b64 exec, exec, s[64:65]
	s_and_b64 s[64:65], exec, s[62:63]
	s_or_b64 s[58:59], s[64:65], s[58:59]
	s_andn2_b64 s[56:57], s[56:57], exec
	s_and_b64 s[64:65], s[60:61], exec
	s_or_b64 s[56:57], s[56:57], s[64:65]
	s_andn2_b64 exec, exec, s[58:59]
	s_cbranch_execz .LBB29_55
.LBB29_53:                              ;   Parent Loop BB29_3 Depth=1
                                        ;     Parent Loop BB29_5 Depth=2
                                        ;       Parent Loop BB29_9 Depth=3
                                        ; =>      This Inner Loop Header: Depth=4
	v_add_u32_e32 v7, v5, v0
	v_ashrrev_i32_e32 v8, 31, v7
	v_lshlrev_b64 v[9:10], 2, v[7:8]
	v_mov_b32_e32 v11, s25
	v_add_co_u32_e32 v9, vcc, s24, v9
	v_addc_co_u32_e32 v10, vcc, v11, v10, vcc
	global_load_dword v9, v[9:10], off
	s_or_b64 s[60:61], s[60:61], exec
	s_or_b64 s[62:63], s[62:63], exec
	s_waitcnt vmcnt(0)
	v_subrev_u32_e32 v9, s69, v9
	v_cmp_ne_u32_e32 vcc, v9, v6
	s_and_saveexec_b64 s[64:65], vcc
	s_cbranch_execz .LBB29_52
; %bb.54:                               ;   in Loop: Header=BB29_53 Depth=4
	v_add_u32_e32 v0, 1, v0
	v_cmp_ge_i32_e32 vcc, v0, v18
	s_andn2_b64 s[62:63], s[62:63], exec
	s_and_b64 s[66:67], vcc, exec
	s_andn2_b64 s[60:61], s[60:61], exec
	s_or_b64 s[62:63], s[62:63], s[66:67]
	s_branch .LBB29_52
.LBB29_55:                              ;   in Loop: Header=BB29_9 Depth=3
	s_or_b64 exec, exec, s[58:59]
	s_mov_b64 s[58:59], s[52:53]
                                        ; implicit-def: $vgpr10_vgpr11
	s_and_saveexec_b64 s[60:61], s[56:57]
	s_xor_b64 s[56:57], exec, s[60:61]
	s_cbranch_execz .LBB29_57
; %bb.56:                               ;   in Loop: Header=BB29_9 Depth=3
	v_lshlrev_b64 v[6:7], 3, v[7:8]
	v_mov_b32_e32 v0, s35
	v_add_co_u32_e32 v10, vcc, s34, v6
	v_addc_co_u32_e32 v11, vcc, v0, v7, vcc
	s_or_b64 s[58:59], s[52:53], exec
	global_store_dword v[10:11], v24, off
.LBB29_57:                              ;   in Loop: Header=BB29_9 Depth=3
	s_or_b64 exec, exec, s[56:57]
	s_andn2_b64 s[56:57], s[52:53], exec
	s_and_b64 s[58:59], s[58:59], exec
	s_or_b64 s[56:57], s[56:57], s[58:59]
.LBB29_58:                              ;   in Loop: Header=BB29_9 Depth=3
	s_or_b64 exec, exec, s[54:55]
	s_andn2_b64 s[52:53], s[52:53], exec
	s_and_b64 s[54:55], s[56:57], exec
	s_or_b64 s[52:53], s[52:53], s[54:55]
	s_or_b64 exec, exec, s[6:7]
	s_and_b64 exec, exec, s[52:53]
	s_cbranch_execz .LBB29_8
.LBB29_59:                              ;   in Loop: Header=BB29_9 Depth=3
	global_store_dword v[10:11], v4, off offset:4
	s_branch .LBB29_8
.LBB29_60:                              ;   in Loop: Header=BB29_3 Depth=1
	s_and_saveexec_b64 s[4:5], s[0:1]
	s_cbranch_execz .LBB29_2
; %bb.61:                               ;   in Loop: Header=BB29_3 Depth=1
	s_mov_b64 s[6:7], 0
	v_mov_b32_e32 v2, v12
	s_branch .LBB29_63
.LBB29_62:                              ;   in Loop: Header=BB29_63 Depth=2
	s_or_b64 exec, exec, s[8:9]
	v_add_u32_e32 v2, 0x200, v2
	v_cmp_le_u32_e32 vcc, s71, v2
	s_or_b64 s[6:7], vcc, s[6:7]
	s_andn2_b64 exec, exec, s[6:7]
	s_cbranch_execz .LBB29_2
.LBB29_63:                              ;   Parent Loop BB29_3 Depth=1
                                        ; =>  This Loop Header: Depth=2
                                        ;       Child Loop BB29_66 Depth 3
                                        ;       Child Loop BB29_69 Depth 3
	v_cmp_gt_i32_e32 vcc, s11, v2
	s_and_saveexec_b64 s[8:9], vcc
	s_cbranch_execz .LBB29_62
; %bb.64:                               ;   in Loop: Header=BB29_63 Depth=2
	v_ashrrev_i32_e32 v3, 31, v2
	v_lshlrev_b64 v[4:5], 2, v[2:3]
	v_mov_b32_e32 v0, s21
	v_add_co_u32_e32 v6, vcc, s20, v4
	v_addc_co_u32_e32 v7, vcc, v0, v5, vcc
	global_load_dword v0, v[6:7], off
	v_mov_b32_e32 v7, s23
	v_add_co_u32_e32 v6, vcc, s22, v4
	v_addc_co_u32_e32 v7, vcc, v7, v5, vcc
	global_load_dword v7, v[6:7], off
	s_waitcnt vmcnt(1)
	v_add_u32_e32 v6, v14, v0
	s_waitcnt vmcnt(0)
	v_subrev_u32_e32 v0, s69, v7
	v_cmp_lt_i32_e32 vcc, v6, v0
	s_and_saveexec_b64 s[46:47], vcc
	s_cbranch_execz .LBB29_67
; %bb.65:                               ;   in Loop: Header=BB29_63 Depth=2
	v_ashrrev_i32_e32 v7, 31, v6
	v_lshlrev_b64 v[9:10], 3, v[6:7]
	v_mov_b32_e32 v8, s35
	v_add_co_u32_e32 v7, vcc, s34, v9
	v_addc_co_u32_e32 v8, vcc, v8, v10, vcc
	v_mov_b32_e32 v11, s27
	v_add_co_u32_e32 v9, vcc, s26, v9
	v_addc_co_u32_e32 v10, vcc, v11, v10, vcc
	s_mov_b64 s[48:49], 0
.LBB29_66:                              ;   Parent Loop BB29_3 Depth=1
                                        ;     Parent Loop BB29_63 Depth=2
                                        ; =>    This Inner Loop Header: Depth=3
	global_load_dwordx2 v[17:18], v[7:8], off
	v_add_co_u32_e32 v7, vcc, 16, v7
	v_add_u32_e32 v6, 2, v6
	v_addc_co_u32_e32 v8, vcc, 0, v8, vcc
	v_cmp_ge_i32_e32 vcc, v6, v0
	s_or_b64 s[48:49], vcc, s[48:49]
	s_waitcnt vmcnt(0)
	global_store_dwordx2 v[9:10], v[17:18], off
	v_add_co_u32_e32 v9, vcc, 16, v9
	v_addc_co_u32_e32 v10, vcc, 0, v10, vcc
	s_andn2_b64 exec, exec, s[48:49]
	s_cbranch_execnz .LBB29_66
.LBB29_67:                              ;   in Loop: Header=BB29_63 Depth=2
	s_or_b64 exec, exec, s[46:47]
	v_mov_b32_e32 v0, s13
	v_add_co_u32_e32 v6, vcc, s12, v4
	v_addc_co_u32_e32 v7, vcc, v0, v5, vcc
	global_load_dword v0, v[6:7], off
	v_mov_b32_e32 v6, s15
	v_add_co_u32_e32 v4, vcc, s14, v4
	v_addc_co_u32_e32 v5, vcc, v6, v5, vcc
	global_load_dword v5, v[4:5], off
	s_waitcnt vmcnt(1)
	v_add_u32_e32 v4, v15, v0
	s_waitcnt vmcnt(0)
	v_subrev_u32_e32 v0, s70, v5
	v_cmp_lt_i32_e32 vcc, v4, v0
	s_and_saveexec_b64 s[46:47], vcc
	s_cbranch_execz .LBB29_70
; %bb.68:                               ;   in Loop: Header=BB29_63 Depth=2
	v_ashrrev_i32_e32 v5, 31, v4
	v_lshlrev_b64 v[7:8], 3, v[4:5]
	v_mov_b32_e32 v6, s45
	v_add_co_u32_e32 v5, vcc, s44, v7
	v_addc_co_u32_e32 v6, vcc, v6, v8, vcc
	v_mov_b32_e32 v9, s19
	v_add_co_u32_e32 v7, vcc, s18, v7
	v_addc_co_u32_e32 v8, vcc, v9, v8, vcc
	s_mov_b64 s[48:49], 0
.LBB29_69:                              ;   Parent Loop BB29_3 Depth=1
                                        ;     Parent Loop BB29_63 Depth=2
                                        ; =>    This Inner Loop Header: Depth=3
	global_load_dwordx2 v[9:10], v[5:6], off
	v_add_co_u32_e32 v5, vcc, 16, v5
	v_add_u32_e32 v4, 2, v4
	v_addc_co_u32_e32 v6, vcc, 0, v6, vcc
	v_cmp_ge_i32_e32 vcc, v4, v0
	s_or_b64 s[48:49], vcc, s[48:49]
	s_waitcnt vmcnt(0)
	global_store_dwordx2 v[7:8], v[9:10], off
	v_add_co_u32_e32 v7, vcc, 16, v7
	v_addc_co_u32_e32 v8, vcc, 0, v8, vcc
	s_andn2_b64 exec, exec, s[48:49]
	s_cbranch_execnz .LBB29_69
.LBB29_70:                              ;   in Loop: Header=BB29_63 Depth=2
	s_or_b64 exec, exec, s[46:47]
	s_and_b64 exec, exec, s[2:3]
	s_cbranch_execz .LBB29_62
; %bb.71:                               ;   in Loop: Header=BB29_63 Depth=2
	v_lshlrev_b64 v[3:4], 3, v[2:3]
	v_mov_b32_e32 v0, s31
	v_add_co_u32_e32 v5, vcc, s30, v3
	v_addc_co_u32_e32 v6, vcc, v0, v4, vcc
	global_load_dwordx2 v[5:6], v[5:6], off
	v_mov_b32_e32 v0, s29
	v_add_co_u32_e32 v3, vcc, s28, v3
	v_addc_co_u32_e32 v4, vcc, v0, v4, vcc
	s_waitcnt vmcnt(0)
	global_store_dwordx2 v[3:4], v[5:6], off
	s_branch .LBB29_62
.LBB29_72:
	s_endpgm
	.section	.rodata,"a",@progbits
	.p2align	6, 0x0
	.amdhsa_kernel _ZN9rocsparseL14kernel_freerunILi1024ELi2E21rocsparse_complex_numIfEiiEEvT3_S3_T2_PKS4_S6_PKS3_PKT1_21rocsparse_index_base_S6_S6_S8_PS9_SD_SC_S6_S6_S8_SD_SD_SC_SD_SD_
		.amdhsa_group_segment_fixed_size 0
		.amdhsa_private_segment_fixed_size 0
		.amdhsa_kernarg_size 168
		.amdhsa_user_sgpr_count 6
		.amdhsa_user_sgpr_private_segment_buffer 1
		.amdhsa_user_sgpr_dispatch_ptr 0
		.amdhsa_user_sgpr_queue_ptr 0
		.amdhsa_user_sgpr_kernarg_segment_ptr 1
		.amdhsa_user_sgpr_dispatch_id 0
		.amdhsa_user_sgpr_flat_scratch_init 0
		.amdhsa_user_sgpr_private_segment_size 0
		.amdhsa_uses_dynamic_stack 0
		.amdhsa_system_sgpr_private_segment_wavefront_offset 0
		.amdhsa_system_sgpr_workgroup_id_x 1
		.amdhsa_system_sgpr_workgroup_id_y 0
		.amdhsa_system_sgpr_workgroup_id_z 0
		.amdhsa_system_sgpr_workgroup_info 0
		.amdhsa_system_vgpr_workitem_id 0
		.amdhsa_next_free_vgpr 35
		.amdhsa_next_free_sgpr 76
		.amdhsa_reserve_vcc 1
		.amdhsa_reserve_flat_scratch 0
		.amdhsa_float_round_mode_32 0
		.amdhsa_float_round_mode_16_64 0
		.amdhsa_float_denorm_mode_32 3
		.amdhsa_float_denorm_mode_16_64 3
		.amdhsa_dx10_clamp 1
		.amdhsa_ieee_mode 1
		.amdhsa_fp16_overflow 0
		.amdhsa_exception_fp_ieee_invalid_op 0
		.amdhsa_exception_fp_denorm_src 0
		.amdhsa_exception_fp_ieee_div_zero 0
		.amdhsa_exception_fp_ieee_overflow 0
		.amdhsa_exception_fp_ieee_underflow 0
		.amdhsa_exception_fp_ieee_inexact 0
		.amdhsa_exception_int_div_zero 0
	.end_amdhsa_kernel
	.section	.text._ZN9rocsparseL14kernel_freerunILi1024ELi2E21rocsparse_complex_numIfEiiEEvT3_S3_T2_PKS4_S6_PKS3_PKT1_21rocsparse_index_base_S6_S6_S8_PS9_SD_SC_S6_S6_S8_SD_SD_SC_SD_SD_,"axG",@progbits,_ZN9rocsparseL14kernel_freerunILi1024ELi2E21rocsparse_complex_numIfEiiEEvT3_S3_T2_PKS4_S6_PKS3_PKT1_21rocsparse_index_base_S6_S6_S8_PS9_SD_SC_S6_S6_S8_SD_SD_SC_SD_SD_,comdat
.Lfunc_end29:
	.size	_ZN9rocsparseL14kernel_freerunILi1024ELi2E21rocsparse_complex_numIfEiiEEvT3_S3_T2_PKS4_S6_PKS3_PKT1_21rocsparse_index_base_S6_S6_S8_PS9_SD_SC_S6_S6_S8_SD_SD_SC_SD_SD_, .Lfunc_end29-_ZN9rocsparseL14kernel_freerunILi1024ELi2E21rocsparse_complex_numIfEiiEEvT3_S3_T2_PKS4_S6_PKS3_PKT1_21rocsparse_index_base_S6_S6_S8_PS9_SD_SC_S6_S6_S8_SD_SD_SC_SD_SD_
                                        ; -- End function
	.set _ZN9rocsparseL14kernel_freerunILi1024ELi2E21rocsparse_complex_numIfEiiEEvT3_S3_T2_PKS4_S6_PKS3_PKT1_21rocsparse_index_base_S6_S6_S8_PS9_SD_SC_S6_S6_S8_SD_SD_SC_SD_SD_.num_vgpr, 35
	.set _ZN9rocsparseL14kernel_freerunILi1024ELi2E21rocsparse_complex_numIfEiiEEvT3_S3_T2_PKS4_S6_PKS3_PKT1_21rocsparse_index_base_S6_S6_S8_PS9_SD_SC_S6_S6_S8_SD_SD_SC_SD_SD_.num_agpr, 0
	.set _ZN9rocsparseL14kernel_freerunILi1024ELi2E21rocsparse_complex_numIfEiiEEvT3_S3_T2_PKS4_S6_PKS3_PKT1_21rocsparse_index_base_S6_S6_S8_PS9_SD_SC_S6_S6_S8_SD_SD_SC_SD_SD_.numbered_sgpr, 76
	.set _ZN9rocsparseL14kernel_freerunILi1024ELi2E21rocsparse_complex_numIfEiiEEvT3_S3_T2_PKS4_S6_PKS3_PKT1_21rocsparse_index_base_S6_S6_S8_PS9_SD_SC_S6_S6_S8_SD_SD_SC_SD_SD_.num_named_barrier, 0
	.set _ZN9rocsparseL14kernel_freerunILi1024ELi2E21rocsparse_complex_numIfEiiEEvT3_S3_T2_PKS4_S6_PKS3_PKT1_21rocsparse_index_base_S6_S6_S8_PS9_SD_SC_S6_S6_S8_SD_SD_SC_SD_SD_.private_seg_size, 0
	.set _ZN9rocsparseL14kernel_freerunILi1024ELi2E21rocsparse_complex_numIfEiiEEvT3_S3_T2_PKS4_S6_PKS3_PKT1_21rocsparse_index_base_S6_S6_S8_PS9_SD_SC_S6_S6_S8_SD_SD_SC_SD_SD_.uses_vcc, 1
	.set _ZN9rocsparseL14kernel_freerunILi1024ELi2E21rocsparse_complex_numIfEiiEEvT3_S3_T2_PKS4_S6_PKS3_PKT1_21rocsparse_index_base_S6_S6_S8_PS9_SD_SC_S6_S6_S8_SD_SD_SC_SD_SD_.uses_flat_scratch, 0
	.set _ZN9rocsparseL14kernel_freerunILi1024ELi2E21rocsparse_complex_numIfEiiEEvT3_S3_T2_PKS4_S6_PKS3_PKT1_21rocsparse_index_base_S6_S6_S8_PS9_SD_SC_S6_S6_S8_SD_SD_SC_SD_SD_.has_dyn_sized_stack, 0
	.set _ZN9rocsparseL14kernel_freerunILi1024ELi2E21rocsparse_complex_numIfEiiEEvT3_S3_T2_PKS4_S6_PKS3_PKT1_21rocsparse_index_base_S6_S6_S8_PS9_SD_SC_S6_S6_S8_SD_SD_SC_SD_SD_.has_recursion, 0
	.set _ZN9rocsparseL14kernel_freerunILi1024ELi2E21rocsparse_complex_numIfEiiEEvT3_S3_T2_PKS4_S6_PKS3_PKT1_21rocsparse_index_base_S6_S6_S8_PS9_SD_SC_S6_S6_S8_SD_SD_SC_SD_SD_.has_indirect_call, 0
	.section	.AMDGPU.csdata,"",@progbits
; Kernel info:
; codeLenInByte = 3152
; TotalNumSgprs: 80
; NumVgprs: 35
; ScratchSize: 0
; MemoryBound: 0
; FloatMode: 240
; IeeeMode: 1
; LDSByteSize: 0 bytes/workgroup (compile time only)
; SGPRBlocks: 9
; VGPRBlocks: 8
; NumSGPRsForWavesPerEU: 80
; NumVGPRsForWavesPerEU: 35
; Occupancy: 7
; WaveLimiterHint : 1
; COMPUTE_PGM_RSRC2:SCRATCH_EN: 0
; COMPUTE_PGM_RSRC2:USER_SGPR: 6
; COMPUTE_PGM_RSRC2:TRAP_HANDLER: 0
; COMPUTE_PGM_RSRC2:TGID_X_EN: 1
; COMPUTE_PGM_RSRC2:TGID_Y_EN: 0
; COMPUTE_PGM_RSRC2:TGID_Z_EN: 0
; COMPUTE_PGM_RSRC2:TIDIG_COMP_CNT: 0
	.section	.text._ZN9rocsparseL14kernel_freerunILi1024ELi4E21rocsparse_complex_numIfEiiEEvT3_S3_T2_PKS4_S6_PKS3_PKT1_21rocsparse_index_base_S6_S6_S8_PS9_SD_SC_S6_S6_S8_SD_SD_SC_SD_SD_,"axG",@progbits,_ZN9rocsparseL14kernel_freerunILi1024ELi4E21rocsparse_complex_numIfEiiEEvT3_S3_T2_PKS4_S6_PKS3_PKT1_21rocsparse_index_base_S6_S6_S8_PS9_SD_SC_S6_S6_S8_SD_SD_SC_SD_SD_,comdat
	.globl	_ZN9rocsparseL14kernel_freerunILi1024ELi4E21rocsparse_complex_numIfEiiEEvT3_S3_T2_PKS4_S6_PKS3_PKT1_21rocsparse_index_base_S6_S6_S8_PS9_SD_SC_S6_S6_S8_SD_SD_SC_SD_SD_ ; -- Begin function _ZN9rocsparseL14kernel_freerunILi1024ELi4E21rocsparse_complex_numIfEiiEEvT3_S3_T2_PKS4_S6_PKS3_PKT1_21rocsparse_index_base_S6_S6_S8_PS9_SD_SC_S6_S6_S8_SD_SD_SC_SD_SD_
	.p2align	8
	.type	_ZN9rocsparseL14kernel_freerunILi1024ELi4E21rocsparse_complex_numIfEiiEEvT3_S3_T2_PKS4_S6_PKS3_PKT1_21rocsparse_index_base_S6_S6_S8_PS9_SD_SC_S6_S6_S8_SD_SD_SC_SD_SD_,@function
_ZN9rocsparseL14kernel_freerunILi1024ELi4E21rocsparse_complex_numIfEiiEEvT3_S3_T2_PKS4_S6_PKS3_PKT1_21rocsparse_index_base_S6_S6_S8_PS9_SD_SC_S6_S6_S8_SD_SD_SC_SD_SD_: ; @_ZN9rocsparseL14kernel_freerunILi1024ELi4E21rocsparse_complex_numIfEiiEEvT3_S3_T2_PKS4_S6_PKS3_PKT1_21rocsparse_index_base_S6_S6_S8_PS9_SD_SC_S6_S6_S8_SD_SD_SC_SD_SD_
; %bb.0:
	s_load_dwordx2 s[10:11], s[4:5], 0x0
	v_lshrrev_b32_e32 v1, 2, v0
	s_lshl_b32 s69, s6, 10
	v_or_b32_e32 v12, s69, v1
	s_mov_b32 s33, 0
	s_waitcnt lgkmcnt(0)
	s_cmp_gt_i32 s10, 0
	v_cmp_gt_i32_e32 vcc, s11, v12
	s_cselect_b64 s[0:1], -1, 0
	s_and_b64 s[0:1], vcc, s[0:1]
	s_and_saveexec_b64 s[2:3], s[0:1]
	s_cbranch_execz .LBB30_72
; %bb.1:
	s_load_dwordx4 s[28:31], s[4:5], 0x98
	s_load_dwordx8 s[12:19], s[4:5], 0x68
	s_load_dwordx8 s[20:27], s[4:5], 0x38
	;; [unrolled: 1-line block ×3, first 2 shown]
	s_load_dword s66, s[4:5], 0x30
	s_load_dwordx2 s[34:35], s[4:5], 0x58
	s_load_dword s67, s[4:5], 0x60
	s_load_dwordx2 s[44:45], s[4:5], 0x88
	s_load_dword s68, s[4:5], 0x90
	v_and_b32_e32 v0, 3, v0
	s_addk_i32 s69, 0x400
	s_waitcnt lgkmcnt(0)
	v_subrev_u32_e32 v13, s66, v0
	v_cmp_gt_u32_e64 s[0:1], s69, v12
	v_subrev_u32_e32 v14, s67, v0
	v_subrev_u32_e32 v15, s68, v0
	v_cmp_eq_u32_e64 s[2:3], 0, v0
	v_mov_b32_e32 v1, 0
	s_mov_b32 s70, 0xf800000
	v_mov_b32_e32 v16, 0x260
	s_movk_i32 s71, 0x1f8
	s_branch .LBB30_3
.LBB30_2:                               ;   in Loop: Header=BB30_3 Depth=1
	s_or_b64 exec, exec, s[4:5]
	s_add_i32 s33, s33, 1
	s_cmp_eq_u32 s33, s10
	s_cbranch_scc1 .LBB30_72
.LBB30_3:                               ; =>This Loop Header: Depth=1
                                        ;     Child Loop BB30_5 Depth 2
                                        ;       Child Loop BB30_9 Depth 3
                                        ;         Child Loop BB30_13 Depth 4
                                        ;         Child Loop BB30_43 Depth 4
	;; [unrolled: 1-line block ×3, first 2 shown]
                                        ;     Child Loop BB30_63 Depth 2
                                        ;       Child Loop BB30_66 Depth 3
                                        ;       Child Loop BB30_69 Depth 3
	s_mov_b32 s72, 0
	s_branch .LBB30_5
.LBB30_4:                               ;   in Loop: Header=BB30_5 Depth=2
	s_or_b64 exec, exec, s[46:47]
	s_add_i32 s72, s72, 1
	s_cmp_eq_u32 s72, 4
	s_cbranch_scc1 .LBB30_60
.LBB30_5:                               ;   Parent Loop BB30_3 Depth=1
                                        ; =>  This Loop Header: Depth=2
                                        ;       Child Loop BB30_9 Depth 3
                                        ;         Child Loop BB30_13 Depth 4
                                        ;         Child Loop BB30_43 Depth 4
	;; [unrolled: 1-line block ×3, first 2 shown]
	v_lshl_add_u32 v2, s72, 8, v12
	v_cmp_gt_i32_e32 vcc, s11, v2
	s_and_saveexec_b64 s[46:47], vcc
	s_cbranch_execz .LBB30_4
; %bb.6:                                ;   in Loop: Header=BB30_5 Depth=2
	v_ashrrev_i32_e32 v3, 31, v2
	v_lshlrev_b64 v[4:5], 2, v[2:3]
	v_mov_b32_e32 v0, s37
	v_add_co_u32_e32 v6, vcc, s36, v4
	v_addc_co_u32_e32 v7, vcc, v0, v5, vcc
	global_load_dword v0, v[6:7], off
	v_mov_b32_e32 v3, s39
	v_add_co_u32_e32 v6, vcc, s38, v4
	v_addc_co_u32_e32 v7, vcc, v3, v5, vcc
	global_load_dword v6, v[6:7], off
	s_waitcnt vmcnt(1)
	v_add_u32_e32 v3, v13, v0
	s_waitcnt vmcnt(0)
	v_subrev_u32_e32 v17, s66, v6
	v_cmp_lt_i32_e32 vcc, v3, v17
	s_and_b64 exec, exec, vcc
	s_cbranch_execz .LBB30_4
; %bb.7:                                ;   in Loop: Header=BB30_5 Depth=2
	v_mov_b32_e32 v0, s23
	v_add_co_u32_e32 v6, vcc, s22, v4
	v_addc_co_u32_e32 v7, vcc, v0, v5, vcc
	v_mov_b32_e32 v0, s21
	v_add_co_u32_e32 v4, vcc, s20, v4
	v_addc_co_u32_e32 v5, vcc, v0, v5, vcc
	global_load_dword v0, v[4:5], off
	s_nop 0
	global_load_dword v4, v[6:7], off
	v_mov_b32_e32 v11, s25
	v_mov_b32_e32 v22, s27
	s_mov_b64 s[48:49], 0
	s_waitcnt vmcnt(1)
	v_subrev_u32_e32 v5, s67, v0
	v_ashrrev_i32_e32 v6, 31, v5
	v_lshlrev_b64 v[7:8], 2, v[5:6]
	v_lshlrev_b64 v[9:10], 3, v[5:6]
	v_add_co_u32_e32 v19, vcc, s24, v7
	v_addc_co_u32_e32 v20, vcc, v11, v8, vcc
	s_waitcnt vmcnt(0)
	v_sub_u32_e32 v18, v4, v0
	v_add_co_u32_e32 v21, vcc, s26, v9
	v_cmp_lt_i32_e64 s[4:5], 0, v18
	v_addc_co_u32_e32 v22, vcc, v22, v10, vcc
	s_branch .LBB30_9
.LBB30_8:                               ;   in Loop: Header=BB30_9 Depth=3
	s_or_b64 exec, exec, s[8:9]
	v_add_u32_e32 v3, 4, v3
	v_cmp_ge_i32_e32 vcc, v3, v17
	s_or_b64 s[48:49], vcc, s[48:49]
	s_andn2_b64 exec, exec, s[48:49]
	s_cbranch_execz .LBB30_4
.LBB30_9:                               ;   Parent Loop BB30_3 Depth=1
                                        ;     Parent Loop BB30_5 Depth=2
                                        ; =>    This Loop Header: Depth=3
                                        ;         Child Loop BB30_13 Depth 4
                                        ;         Child Loop BB30_43 Depth 4
	;; [unrolled: 1-line block ×3, first 2 shown]
	v_ashrrev_i32_e32 v4, 31, v3
	v_lshlrev_b64 v[6:7], 2, v[3:4]
	v_mov_b32_e32 v0, s41
	v_add_co_u32_e32 v6, vcc, s40, v6
	v_addc_co_u32_e32 v7, vcc, v0, v7, vcc
	global_load_dword v0, v[6:7], off
	v_mov_b32_e32 v11, s13
	v_mov_b32_e32 v23, s15
	;; [unrolled: 1-line block ×3, first 2 shown]
	s_waitcnt vmcnt(0)
	v_subrev_u32_e32 v6, s66, v0
	v_ashrrev_i32_e32 v7, 31, v6
	v_lshlrev_b64 v[8:9], 2, v[6:7]
	v_mov_b32_e32 v0, 0
	v_add_co_u32_e32 v10, vcc, s12, v8
	v_addc_co_u32_e32 v11, vcc, v11, v9, vcc
	v_add_co_u32_e32 v8, vcc, s14, v8
	v_addc_co_u32_e32 v9, vcc, v23, v9, vcc
	global_load_dword v10, v[10:11], off
	s_nop 0
	global_load_dword v9, v[8:9], off
	v_mov_b32_e32 v11, 0
	s_waitcnt vmcnt(1)
	v_subrev_u32_e32 v8, s68, v10
	s_waitcnt vmcnt(0)
	v_sub_u32_e32 v23, v9, v10
	v_mov_b32_e32 v9, v0
	s_and_saveexec_b64 s[6:7], s[4:5]
	s_cbranch_execz .LBB30_17
; %bb.10:                               ;   in Loop: Header=BB30_9 Depth=3
	v_ashrrev_i32_e32 v9, 31, v8
	v_lshlrev_b64 v[10:11], 2, v[8:9]
	v_mov_b32_e32 v0, s17
	v_add_co_u32_e32 v24, vcc, s16, v10
	v_lshlrev_b64 v[9:10], 3, v[8:9]
	v_addc_co_u32_e32 v26, vcc, v0, v11, vcc
	v_mov_b32_e32 v0, s19
	v_add_co_u32_e32 v27, vcc, s18, v9
	v_mov_b32_e32 v9, 0
	v_addc_co_u32_e32 v28, vcc, v0, v10, vcc
	v_mov_b32_e32 v11, 0
	s_mov_b64 s[8:9], 0
	v_mov_b32_e32 v0, v9
	v_mov_b32_e32 v25, 0
                                        ; implicit-def: $sgpr50_sgpr51
	s_branch .LBB30_13
.LBB30_11:                              ;   in Loop: Header=BB30_13 Depth=4
	s_or_b64 exec, exec, s[54:55]
	v_cmp_le_i32_e32 vcc, v29, v30
	v_addc_co_u32_e32 v0, vcc, 0, v0, vcc
	v_cmp_ge_i32_e32 vcc, v29, v30
	v_addc_co_u32_e32 v9, vcc, 0, v9, vcc
	v_cmp_ge_i32_e32 vcc, v0, v18
	s_andn2_b64 s[50:51], s[50:51], exec
	s_and_b64 s[54:55], vcc, exec
	s_or_b64 s[50:51], s[50:51], s[54:55]
.LBB30_12:                              ;   in Loop: Header=BB30_13 Depth=4
	s_or_b64 exec, exec, s[52:53]
	s_and_b64 s[52:53], exec, s[50:51]
	s_or_b64 s[8:9], s[52:53], s[8:9]
	s_andn2_b64 exec, exec, s[8:9]
	s_cbranch_execz .LBB30_16
.LBB30_13:                              ;   Parent Loop BB30_3 Depth=1
                                        ;     Parent Loop BB30_5 Depth=2
                                        ;       Parent Loop BB30_9 Depth=3
                                        ; =>      This Inner Loop Header: Depth=4
	v_cmp_lt_i32_e32 vcc, v9, v23
	s_or_b64 s[50:51], s[50:51], exec
	s_and_saveexec_b64 s[52:53], vcc
	s_cbranch_execz .LBB30_12
; %bb.14:                               ;   in Loop: Header=BB30_13 Depth=4
	v_lshlrev_b64 v[29:30], 2, v[0:1]
	v_mov_b32_e32 v10, v1
	v_add_co_u32_e32 v29, vcc, v19, v29
	v_addc_co_u32_e32 v30, vcc, v20, v30, vcc
	global_load_dword v31, v[29:30], off
	v_lshlrev_b64 v[29:30], 2, v[9:10]
	v_add_co_u32_e32 v29, vcc, v24, v29
	v_addc_co_u32_e32 v30, vcc, v26, v30, vcc
	global_load_dword v30, v[29:30], off
	s_waitcnt vmcnt(1)
	v_subrev_u32_e32 v29, s67, v31
	s_waitcnt vmcnt(0)
	v_subrev_u32_e32 v30, s68, v30
	v_cmp_eq_u32_e32 vcc, v29, v30
	s_and_saveexec_b64 s[54:55], vcc
	s_cbranch_execz .LBB30_11
; %bb.15:                               ;   in Loop: Header=BB30_13 Depth=4
	v_lshlrev_b64 v[31:32], 3, v[0:1]
	v_lshlrev_b64 v[33:34], 3, v[9:10]
	v_add_co_u32_e32 v31, vcc, v21, v31
	v_addc_co_u32_e32 v32, vcc, v22, v32, vcc
	v_add_co_u32_e32 v33, vcc, v27, v33
	v_addc_co_u32_e32 v34, vcc, v28, v34, vcc
	global_load_dwordx2 v[31:32], v[31:32], off
	s_nop 0
	global_load_dwordx2 v[33:34], v[33:34], off
	s_waitcnt vmcnt(0)
	v_fmac_f32_e32 v11, v31, v33
	v_fmac_f32_e32 v25, v32, v33
	v_fma_f32 v11, -v32, v34, v11
	v_fmac_f32_e32 v25, v31, v34
	s_branch .LBB30_11
.LBB30_16:                              ;   in Loop: Header=BB30_9 Depth=3
	s_or_b64 exec, exec, s[8:9]
.LBB30_17:                              ;   in Loop: Header=BB30_9 Depth=3
	s_or_b64 exec, exec, s[6:7]
	v_lshlrev_b64 v[26:27], 3, v[3:4]
	v_mov_b32_e32 v4, s43
	v_add_co_u32_e32 v26, vcc, s42, v26
	v_addc_co_u32_e32 v27, vcc, v4, v27, vcc
	global_load_dwordx2 v[26:27], v[26:27], off
	v_cmp_le_i32_e64 s[6:7], v2, v6
	v_cmp_gt_i32_e32 vcc, v2, v6
	s_waitcnt vmcnt(0)
	v_sub_f32_e32 v24, v26, v11
	v_sub_f32_e32 v4, v27, v25
	s_and_saveexec_b64 s[50:51], vcc
	s_cbranch_execz .LBB30_27
; %bb.18:                               ;   in Loop: Header=BB30_9 Depth=3
	v_lshlrev_b64 v[10:11], 3, v[6:7]
	v_mov_b32_e32 v25, s29
	v_add_co_u32_e32 v10, vcc, s28, v10
	v_addc_co_u32_e32 v11, vcc, v25, v11, vcc
	global_load_dwordx2 v[10:11], v[10:11], off
                                        ; implicit-def: $vgpr27
	s_waitcnt vmcnt(0)
	v_cmp_gt_f32_e32 vcc, 0, v10
	v_cndmask_b32_e64 v25, v10, -v10, vcc
	v_cmp_gt_f32_e32 vcc, 0, v11
	v_cndmask_b32_e64 v26, v11, -v11, vcc
	v_cmp_ngt_f32_e32 vcc, v25, v26
	s_and_saveexec_b64 s[8:9], vcc
	s_xor_b64 s[52:53], exec, s[8:9]
	s_cbranch_execz .LBB30_22
; %bb.19:                               ;   in Loop: Header=BB30_9 Depth=3
	v_mov_b32_e32 v27, 0
	v_cmp_neq_f32_e32 vcc, 0, v11
	s_and_saveexec_b64 s[54:55], vcc
	s_cbranch_execz .LBB30_21
; %bb.20:                               ;   in Loop: Header=BB30_9 Depth=3
	v_div_scale_f32 v27, s[8:9], v26, v26, v25
	v_div_scale_f32 v28, vcc, v25, v26, v25
	v_rcp_f32_e32 v29, v27
	v_fma_f32 v30, -v27, v29, 1.0
	v_fmac_f32_e32 v29, v30, v29
	v_mul_f32_e32 v30, v28, v29
	v_fma_f32 v31, -v27, v30, v28
	v_fmac_f32_e32 v30, v31, v29
	v_fma_f32 v27, -v27, v30, v28
	v_div_fmas_f32 v27, v27, v29, v30
	v_div_fixup_f32 v25, v27, v26, v25
	v_fma_f32 v25, v25, v25, 1.0
	v_mul_f32_e32 v27, 0x4f800000, v25
	v_cmp_gt_f32_e32 vcc, s70, v25
	v_cndmask_b32_e32 v25, v25, v27, vcc
	v_sqrt_f32_e32 v27, v25
	v_add_u32_e32 v28, -1, v27
	v_add_u32_e32 v29, 1, v27
	v_fma_f32 v30, -v28, v27, v25
	v_fma_f32 v31, -v29, v27, v25
	v_cmp_ge_f32_e64 s[8:9], 0, v30
	v_cndmask_b32_e64 v27, v27, v28, s[8:9]
	v_cmp_lt_f32_e64 s[8:9], 0, v31
	v_cndmask_b32_e64 v27, v27, v29, s[8:9]
	v_mul_f32_e32 v28, 0x37800000, v27
	v_cndmask_b32_e32 v27, v27, v28, vcc
	v_cmp_class_f32_e32 vcc, v25, v16
	v_cndmask_b32_e32 v25, v27, v25, vcc
	v_mul_f32_e32 v27, v26, v25
.LBB30_21:                              ;   in Loop: Header=BB30_9 Depth=3
	s_or_b64 exec, exec, s[54:55]
                                        ; implicit-def: $vgpr25
                                        ; implicit-def: $vgpr26
.LBB30_22:                              ;   in Loop: Header=BB30_9 Depth=3
	s_andn2_saveexec_b64 s[52:53], s[52:53]
	s_cbranch_execz .LBB30_24
; %bb.23:                               ;   in Loop: Header=BB30_9 Depth=3
	v_div_scale_f32 v27, s[8:9], v25, v25, v26
	v_div_scale_f32 v28, vcc, v26, v25, v26
	v_rcp_f32_e32 v29, v27
	v_fma_f32 v30, -v27, v29, 1.0
	v_fmac_f32_e32 v29, v30, v29
	v_mul_f32_e32 v30, v28, v29
	v_fma_f32 v31, -v27, v30, v28
	v_fmac_f32_e32 v30, v31, v29
	v_fma_f32 v27, -v27, v30, v28
	v_div_fmas_f32 v27, v27, v29, v30
	v_div_fixup_f32 v26, v27, v25, v26
	v_fma_f32 v26, v26, v26, 1.0
	v_mul_f32_e32 v27, 0x4f800000, v26
	v_cmp_gt_f32_e32 vcc, s70, v26
	v_cndmask_b32_e32 v26, v26, v27, vcc
	v_sqrt_f32_e32 v27, v26
	v_add_u32_e32 v28, -1, v27
	v_add_u32_e32 v29, 1, v27
	v_fma_f32 v30, -v28, v27, v26
	v_fma_f32 v31, -v29, v27, v26
	v_cmp_ge_f32_e64 s[8:9], 0, v30
	v_cndmask_b32_e64 v27, v27, v28, s[8:9]
	v_cmp_lt_f32_e64 s[8:9], 0, v31
	v_cndmask_b32_e64 v27, v27, v29, s[8:9]
	v_mul_f32_e32 v28, 0x37800000, v27
	v_cndmask_b32_e32 v27, v27, v28, vcc
	v_cmp_class_f32_e32 vcc, v26, v16
	v_cndmask_b32_e32 v26, v27, v26, vcc
	v_mul_f32_e32 v27, v25, v26
.LBB30_24:                              ;   in Loop: Header=BB30_9 Depth=3
	s_or_b64 exec, exec, s[52:53]
	v_mov_b32_e32 v25, 0
	v_cmp_lt_f32_e32 vcc, 0, v27
	v_mov_b32_e32 v26, 0
	s_and_saveexec_b64 s[8:9], vcc
	s_cbranch_execz .LBB30_26
; %bb.25:                               ;   in Loop: Header=BB30_9 Depth=3
	v_mul_f32_e32 v25, v11, v11
	v_fmac_f32_e32 v25, v10, v10
	v_div_scale_f32 v26, s[52:53], v25, v25, 1.0
	v_div_scale_f32 v27, vcc, 1.0, v25, 1.0
	v_rcp_f32_e32 v28, v26
	v_fma_f32 v29, -v26, v28, 1.0
	v_fmac_f32_e32 v28, v29, v28
	v_mul_f32_e32 v29, v27, v28
	v_fma_f32 v30, -v26, v29, v27
	v_fmac_f32_e32 v29, v30, v28
	v_fma_f32 v26, -v26, v29, v27
	v_div_fmas_f32 v26, v26, v28, v29
	v_mul_f32_e32 v27, v4, v11
	v_mul_f32_e64 v11, v11, -v24
	v_fmac_f32_e32 v27, v24, v10
	v_fmac_f32_e32 v11, v4, v10
	v_div_fixup_f32 v4, v26, v25, 1.0
	v_mul_f32_e32 v25, v27, v4
	v_mul_f32_e32 v26, v11, v4
.LBB30_26:                              ;   in Loop: Header=BB30_9 Depth=3
	s_or_b64 exec, exec, s[8:9]
	v_mov_b32_e32 v24, v25
	v_mov_b32_e32 v4, v26
.LBB30_27:                              ;   in Loop: Header=BB30_9 Depth=3
	s_or_b64 exec, exec, s[50:51]
	v_cmp_gt_f32_e32 vcc, 0, v24
	v_cndmask_b32_e64 v10, v24, -v24, vcc
	v_cmp_gt_f32_e32 vcc, 0, v4
	v_cndmask_b32_e64 v11, v4, -v4, vcc
	v_cmp_ngt_f32_e32 vcc, v10, v11
                                        ; implicit-def: $vgpr25
	s_and_saveexec_b64 s[8:9], vcc
	s_xor_b64 s[50:51], exec, s[8:9]
	s_cbranch_execnz .LBB30_30
; %bb.28:                               ;   in Loop: Header=BB30_9 Depth=3
	s_andn2_saveexec_b64 s[50:51], s[50:51]
	s_cbranch_execnz .LBB30_33
.LBB30_29:                              ;   in Loop: Header=BB30_9 Depth=3
	s_or_b64 exec, exec, s[50:51]
	v_cmp_class_f32_e64 s[50:51], v25, s71
	s_and_saveexec_b64 s[8:9], s[50:51]
	s_cbranch_execz .LBB30_8
	s_branch .LBB30_34
.LBB30_30:                              ;   in Loop: Header=BB30_9 Depth=3
	v_mov_b32_e32 v25, 0
	v_cmp_neq_f32_e32 vcc, 0, v4
	s_and_saveexec_b64 s[52:53], vcc
	s_cbranch_execz .LBB30_32
; %bb.31:                               ;   in Loop: Header=BB30_9 Depth=3
	v_div_scale_f32 v25, s[8:9], v11, v11, v10
	v_div_scale_f32 v26, vcc, v10, v11, v10
	v_rcp_f32_e32 v27, v25
	v_fma_f32 v28, -v25, v27, 1.0
	v_fmac_f32_e32 v27, v28, v27
	v_mul_f32_e32 v28, v26, v27
	v_fma_f32 v29, -v25, v28, v26
	v_fmac_f32_e32 v28, v29, v27
	v_fma_f32 v25, -v25, v28, v26
	v_div_fmas_f32 v25, v25, v27, v28
	v_div_fixup_f32 v10, v25, v11, v10
	v_fma_f32 v10, v10, v10, 1.0
	v_mul_f32_e32 v25, 0x4f800000, v10
	v_cmp_gt_f32_e32 vcc, s70, v10
	v_cndmask_b32_e32 v10, v10, v25, vcc
	v_sqrt_f32_e32 v25, v10
	v_add_u32_e32 v26, -1, v25
	v_add_u32_e32 v27, 1, v25
	v_fma_f32 v28, -v26, v25, v10
	v_fma_f32 v29, -v27, v25, v10
	v_cmp_ge_f32_e64 s[8:9], 0, v28
	v_cndmask_b32_e64 v25, v25, v26, s[8:9]
	v_cmp_lt_f32_e64 s[8:9], 0, v29
	v_cndmask_b32_e64 v25, v25, v27, s[8:9]
	v_mul_f32_e32 v26, 0x37800000, v25
	v_cndmask_b32_e32 v25, v25, v26, vcc
	v_cmp_class_f32_e32 vcc, v10, v16
	v_cndmask_b32_e32 v10, v25, v10, vcc
	v_mul_f32_e32 v25, v11, v10
.LBB30_32:                              ;   in Loop: Header=BB30_9 Depth=3
	s_or_b64 exec, exec, s[52:53]
                                        ; implicit-def: $vgpr10
                                        ; implicit-def: $vgpr11
	s_andn2_saveexec_b64 s[50:51], s[50:51]
	s_cbranch_execz .LBB30_29
.LBB30_33:                              ;   in Loop: Header=BB30_9 Depth=3
	v_div_scale_f32 v25, s[8:9], v10, v10, v11
	v_div_scale_f32 v26, vcc, v11, v10, v11
	v_rcp_f32_e32 v27, v25
	v_fma_f32 v28, -v25, v27, 1.0
	v_fmac_f32_e32 v27, v28, v27
	v_mul_f32_e32 v28, v26, v27
	v_fma_f32 v29, -v25, v28, v26
	v_fmac_f32_e32 v28, v29, v27
	v_fma_f32 v25, -v25, v28, v26
	v_div_fmas_f32 v25, v25, v27, v28
	v_div_fixup_f32 v11, v25, v10, v11
	v_fma_f32 v11, v11, v11, 1.0
	v_mul_f32_e32 v25, 0x4f800000, v11
	v_cmp_gt_f32_e32 vcc, s70, v11
	v_cndmask_b32_e32 v11, v11, v25, vcc
	v_sqrt_f32_e32 v25, v11
	v_add_u32_e32 v26, -1, v25
	v_add_u32_e32 v27, 1, v25
	v_fma_f32 v28, -v26, v25, v11
	v_fma_f32 v29, -v27, v25, v11
	v_cmp_ge_f32_e64 s[8:9], 0, v28
	v_cndmask_b32_e64 v25, v25, v26, s[8:9]
	v_cmp_lt_f32_e64 s[8:9], 0, v29
	v_cndmask_b32_e64 v25, v25, v27, s[8:9]
	v_mul_f32_e32 v26, 0x37800000, v25
	v_cndmask_b32_e32 v25, v25, v26, vcc
	v_cmp_class_f32_e32 vcc, v11, v16
	v_cndmask_b32_e32 v11, v25, v11, vcc
	v_mul_f32_e32 v25, v10, v11
	s_or_b64 exec, exec, s[50:51]
	v_cmp_class_f32_e64 s[50:51], v25, s71
	s_and_saveexec_b64 s[8:9], s[50:51]
	s_cbranch_execz .LBB30_8
.LBB30_34:                              ;   in Loop: Header=BB30_9 Depth=3
	s_mov_b64 s[50:51], 0
                                        ; implicit-def: $vgpr10_vgpr11
	s_and_saveexec_b64 s[52:53], s[6:7]
	s_xor_b64 s[6:7], exec, s[52:53]
	s_cbranch_execnz .LBB30_37
; %bb.35:                               ;   in Loop: Header=BB30_9 Depth=3
	s_andn2_saveexec_b64 s[6:7], s[6:7]
	s_cbranch_execnz .LBB30_50
.LBB30_36:                              ;   in Loop: Header=BB30_9 Depth=3
	s_or_b64 exec, exec, s[6:7]
	s_and_b64 exec, exec, s[50:51]
	s_cbranch_execz .LBB30_8
	s_branch .LBB30_59
.LBB30_37:                              ;   in Loop: Header=BB30_9 Depth=3
	v_cmp_ge_i32_e32 vcc, v2, v6
                                        ; implicit-def: $vgpr10_vgpr11
	s_and_saveexec_b64 s[52:53], vcc
	s_xor_b64 s[52:53], exec, s[52:53]
	s_cbranch_execz .LBB30_39
; %bb.38:                               ;   in Loop: Header=BB30_9 Depth=3
	v_lshlrev_b64 v[6:7], 3, v[6:7]
	v_mov_b32_e32 v0, s31
	v_add_co_u32_e32 v10, vcc, s30, v6
	v_addc_co_u32_e32 v11, vcc, v0, v7, vcc
	s_mov_b64 s[50:51], exec
	global_store_dword v[10:11], v24, off
                                        ; implicit-def: $vgpr9
                                        ; implicit-def: $vgpr23
                                        ; implicit-def: $vgpr24
                                        ; implicit-def: $vgpr8
.LBB30_39:                              ;   in Loop: Header=BB30_9 Depth=3
	s_andn2_saveexec_b64 s[52:53], s[52:53]
	s_cbranch_execz .LBB30_49
; %bb.40:                               ;   in Loop: Header=BB30_9 Depth=3
	v_cmp_lt_i32_e32 vcc, v9, v23
	s_mov_b64 s[56:57], s[50:51]
                                        ; implicit-def: $vgpr10_vgpr11
	s_and_saveexec_b64 s[54:55], vcc
	s_cbranch_execz .LBB30_48
; %bb.41:                               ;   in Loop: Header=BB30_9 Depth=3
	s_mov_b64 s[58:59], 0
                                        ; implicit-def: $sgpr56_sgpr57
                                        ; implicit-def: $sgpr62_sgpr63
                                        ; implicit-def: $sgpr60_sgpr61
	s_branch .LBB30_43
.LBB30_42:                              ;   in Loop: Header=BB30_43 Depth=4
	s_or_b64 exec, exec, s[64:65]
	s_and_b64 s[64:65], exec, s[62:63]
	s_or_b64 s[58:59], s[64:65], s[58:59]
	s_andn2_b64 s[56:57], s[56:57], exec
	s_and_b64 s[64:65], s[60:61], exec
	s_or_b64 s[56:57], s[56:57], s[64:65]
	s_andn2_b64 exec, exec, s[58:59]
	s_cbranch_execz .LBB30_45
.LBB30_43:                              ;   Parent Loop BB30_3 Depth=1
                                        ;     Parent Loop BB30_5 Depth=2
                                        ;       Parent Loop BB30_9 Depth=3
                                        ; =>      This Inner Loop Header: Depth=4
	v_add_u32_e32 v6, v8, v9
	v_ashrrev_i32_e32 v7, 31, v6
	v_lshlrev_b64 v[10:11], 2, v[6:7]
	v_mov_b32_e32 v0, s17
	v_add_co_u32_e32 v10, vcc, s16, v10
	v_addc_co_u32_e32 v11, vcc, v0, v11, vcc
	global_load_dword v0, v[10:11], off
	s_or_b64 s[60:61], s[60:61], exec
	s_or_b64 s[62:63], s[62:63], exec
	s_waitcnt vmcnt(0)
	v_subrev_u32_e32 v0, s68, v0
	v_cmp_ne_u32_e32 vcc, v0, v2
	s_and_saveexec_b64 s[64:65], vcc
	s_cbranch_execz .LBB30_42
; %bb.44:                               ;   in Loop: Header=BB30_43 Depth=4
	v_add_u32_e32 v9, 1, v9
	v_cmp_ge_i32_e32 vcc, v9, v23
	s_andn2_b64 s[62:63], s[62:63], exec
	s_and_b64 s[74:75], vcc, exec
	s_andn2_b64 s[60:61], s[60:61], exec
	s_or_b64 s[62:63], s[62:63], s[74:75]
	s_branch .LBB30_42
.LBB30_45:                              ;   in Loop: Header=BB30_9 Depth=3
	s_or_b64 exec, exec, s[58:59]
	s_mov_b64 s[58:59], s[50:51]
                                        ; implicit-def: $vgpr10_vgpr11
	s_and_saveexec_b64 s[60:61], s[56:57]
	s_xor_b64 s[56:57], exec, s[60:61]
	s_cbranch_execz .LBB30_47
; %bb.46:                               ;   in Loop: Header=BB30_9 Depth=3
	v_lshlrev_b64 v[6:7], 3, v[6:7]
	v_mov_b32_e32 v0, s45
	v_add_co_u32_e32 v10, vcc, s44, v6
	v_addc_co_u32_e32 v11, vcc, v0, v7, vcc
	s_or_b64 s[58:59], s[50:51], exec
	global_store_dword v[10:11], v24, off
.LBB30_47:                              ;   in Loop: Header=BB30_9 Depth=3
	s_or_b64 exec, exec, s[56:57]
	s_andn2_b64 s[56:57], s[50:51], exec
	s_and_b64 s[58:59], s[58:59], exec
	s_or_b64 s[56:57], s[56:57], s[58:59]
.LBB30_48:                              ;   in Loop: Header=BB30_9 Depth=3
	s_or_b64 exec, exec, s[54:55]
	s_andn2_b64 s[50:51], s[50:51], exec
	s_and_b64 s[54:55], s[56:57], exec
	s_or_b64 s[50:51], s[50:51], s[54:55]
.LBB30_49:                              ;   in Loop: Header=BB30_9 Depth=3
	s_or_b64 exec, exec, s[52:53]
	s_and_b64 s[50:51], s[50:51], exec
                                        ; implicit-def: $vgpr24
                                        ; implicit-def: $vgpr6_vgpr7
	s_andn2_saveexec_b64 s[6:7], s[6:7]
	s_cbranch_execz .LBB30_36
.LBB30_50:                              ;   in Loop: Header=BB30_9 Depth=3
	v_cmp_lt_i32_e32 vcc, v0, v18
	s_mov_b64 s[54:55], s[50:51]
                                        ; implicit-def: $vgpr10_vgpr11
	s_and_saveexec_b64 s[52:53], vcc
	s_cbranch_execz .LBB30_58
; %bb.51:                               ;   in Loop: Header=BB30_9 Depth=3
	s_mov_b64 s[56:57], 0
                                        ; implicit-def: $sgpr54_sgpr55
                                        ; implicit-def: $sgpr60_sgpr61
                                        ; implicit-def: $sgpr58_sgpr59
	s_branch .LBB30_53
.LBB30_52:                              ;   in Loop: Header=BB30_53 Depth=4
	s_or_b64 exec, exec, s[62:63]
	s_and_b64 s[62:63], exec, s[60:61]
	s_or_b64 s[56:57], s[62:63], s[56:57]
	s_andn2_b64 s[54:55], s[54:55], exec
	s_and_b64 s[62:63], s[58:59], exec
	s_or_b64 s[54:55], s[54:55], s[62:63]
	s_andn2_b64 exec, exec, s[56:57]
	s_cbranch_execz .LBB30_55
.LBB30_53:                              ;   Parent Loop BB30_3 Depth=1
                                        ;     Parent Loop BB30_5 Depth=2
                                        ;       Parent Loop BB30_9 Depth=3
                                        ; =>      This Inner Loop Header: Depth=4
	v_add_u32_e32 v7, v5, v0
	v_ashrrev_i32_e32 v8, 31, v7
	v_lshlrev_b64 v[9:10], 2, v[7:8]
	v_mov_b32_e32 v11, s25
	v_add_co_u32_e32 v9, vcc, s24, v9
	v_addc_co_u32_e32 v10, vcc, v11, v10, vcc
	global_load_dword v9, v[9:10], off
	s_or_b64 s[58:59], s[58:59], exec
	s_or_b64 s[60:61], s[60:61], exec
	s_waitcnt vmcnt(0)
	v_subrev_u32_e32 v9, s67, v9
	v_cmp_ne_u32_e32 vcc, v9, v6
	s_and_saveexec_b64 s[62:63], vcc
	s_cbranch_execz .LBB30_52
; %bb.54:                               ;   in Loop: Header=BB30_53 Depth=4
	v_add_u32_e32 v0, 1, v0
	v_cmp_ge_i32_e32 vcc, v0, v18
	s_andn2_b64 s[60:61], s[60:61], exec
	s_and_b64 s[64:65], vcc, exec
	s_andn2_b64 s[58:59], s[58:59], exec
	s_or_b64 s[60:61], s[60:61], s[64:65]
	s_branch .LBB30_52
.LBB30_55:                              ;   in Loop: Header=BB30_9 Depth=3
	s_or_b64 exec, exec, s[56:57]
	s_mov_b64 s[56:57], s[50:51]
                                        ; implicit-def: $vgpr10_vgpr11
	s_and_saveexec_b64 s[58:59], s[54:55]
	s_xor_b64 s[54:55], exec, s[58:59]
	s_cbranch_execz .LBB30_57
; %bb.56:                               ;   in Loop: Header=BB30_9 Depth=3
	v_lshlrev_b64 v[6:7], 3, v[7:8]
	v_mov_b32_e32 v0, s35
	v_add_co_u32_e32 v10, vcc, s34, v6
	v_addc_co_u32_e32 v11, vcc, v0, v7, vcc
	s_or_b64 s[56:57], s[50:51], exec
	global_store_dword v[10:11], v24, off
.LBB30_57:                              ;   in Loop: Header=BB30_9 Depth=3
	s_or_b64 exec, exec, s[54:55]
	s_andn2_b64 s[54:55], s[50:51], exec
	s_and_b64 s[56:57], s[56:57], exec
	s_or_b64 s[54:55], s[54:55], s[56:57]
.LBB30_58:                              ;   in Loop: Header=BB30_9 Depth=3
	s_or_b64 exec, exec, s[52:53]
	s_andn2_b64 s[50:51], s[50:51], exec
	s_and_b64 s[52:53], s[54:55], exec
	s_or_b64 s[50:51], s[50:51], s[52:53]
	s_or_b64 exec, exec, s[6:7]
	s_and_b64 exec, exec, s[50:51]
	s_cbranch_execz .LBB30_8
.LBB30_59:                              ;   in Loop: Header=BB30_9 Depth=3
	global_store_dword v[10:11], v4, off offset:4
	s_branch .LBB30_8
.LBB30_60:                              ;   in Loop: Header=BB30_3 Depth=1
	s_and_saveexec_b64 s[4:5], s[0:1]
	s_cbranch_execz .LBB30_2
; %bb.61:                               ;   in Loop: Header=BB30_3 Depth=1
	s_mov_b64 s[6:7], 0
	v_mov_b32_e32 v2, v12
	s_branch .LBB30_63
.LBB30_62:                              ;   in Loop: Header=BB30_63 Depth=2
	s_or_b64 exec, exec, s[8:9]
	v_add_u32_e32 v2, 0x100, v2
	v_cmp_le_u32_e32 vcc, s69, v2
	s_or_b64 s[6:7], vcc, s[6:7]
	s_andn2_b64 exec, exec, s[6:7]
	s_cbranch_execz .LBB30_2
.LBB30_63:                              ;   Parent Loop BB30_3 Depth=1
                                        ; =>  This Loop Header: Depth=2
                                        ;       Child Loop BB30_66 Depth 3
                                        ;       Child Loop BB30_69 Depth 3
	v_cmp_gt_i32_e32 vcc, s11, v2
	s_and_saveexec_b64 s[8:9], vcc
	s_cbranch_execz .LBB30_62
; %bb.64:                               ;   in Loop: Header=BB30_63 Depth=2
	v_ashrrev_i32_e32 v3, 31, v2
	v_lshlrev_b64 v[4:5], 2, v[2:3]
	v_mov_b32_e32 v0, s21
	v_add_co_u32_e32 v6, vcc, s20, v4
	v_addc_co_u32_e32 v7, vcc, v0, v5, vcc
	global_load_dword v0, v[6:7], off
	v_mov_b32_e32 v7, s23
	v_add_co_u32_e32 v6, vcc, s22, v4
	v_addc_co_u32_e32 v7, vcc, v7, v5, vcc
	global_load_dword v7, v[6:7], off
	s_waitcnt vmcnt(1)
	v_add_u32_e32 v6, v14, v0
	s_waitcnt vmcnt(0)
	v_subrev_u32_e32 v0, s67, v7
	v_cmp_lt_i32_e32 vcc, v6, v0
	s_and_saveexec_b64 s[46:47], vcc
	s_cbranch_execz .LBB30_67
; %bb.65:                               ;   in Loop: Header=BB30_63 Depth=2
	v_ashrrev_i32_e32 v7, 31, v6
	v_lshlrev_b64 v[9:10], 3, v[6:7]
	v_mov_b32_e32 v8, s35
	v_add_co_u32_e32 v7, vcc, s34, v9
	v_addc_co_u32_e32 v8, vcc, v8, v10, vcc
	v_mov_b32_e32 v11, s27
	v_add_co_u32_e32 v9, vcc, s26, v9
	v_addc_co_u32_e32 v10, vcc, v11, v10, vcc
	s_mov_b64 s[48:49], 0
.LBB30_66:                              ;   Parent Loop BB30_3 Depth=1
                                        ;     Parent Loop BB30_63 Depth=2
                                        ; =>    This Inner Loop Header: Depth=3
	global_load_dwordx2 v[17:18], v[7:8], off
	v_add_co_u32_e32 v7, vcc, 32, v7
	v_add_u32_e32 v6, 4, v6
	v_addc_co_u32_e32 v8, vcc, 0, v8, vcc
	v_cmp_ge_i32_e32 vcc, v6, v0
	s_or_b64 s[48:49], vcc, s[48:49]
	s_waitcnt vmcnt(0)
	global_store_dwordx2 v[9:10], v[17:18], off
	v_add_co_u32_e32 v9, vcc, 32, v9
	v_addc_co_u32_e32 v10, vcc, 0, v10, vcc
	s_andn2_b64 exec, exec, s[48:49]
	s_cbranch_execnz .LBB30_66
.LBB30_67:                              ;   in Loop: Header=BB30_63 Depth=2
	s_or_b64 exec, exec, s[46:47]
	v_mov_b32_e32 v0, s13
	v_add_co_u32_e32 v6, vcc, s12, v4
	v_addc_co_u32_e32 v7, vcc, v0, v5, vcc
	global_load_dword v0, v[6:7], off
	v_mov_b32_e32 v6, s15
	v_add_co_u32_e32 v4, vcc, s14, v4
	v_addc_co_u32_e32 v5, vcc, v6, v5, vcc
	global_load_dword v5, v[4:5], off
	s_waitcnt vmcnt(1)
	v_add_u32_e32 v4, v15, v0
	s_waitcnt vmcnt(0)
	v_subrev_u32_e32 v0, s68, v5
	v_cmp_lt_i32_e32 vcc, v4, v0
	s_and_saveexec_b64 s[46:47], vcc
	s_cbranch_execz .LBB30_70
; %bb.68:                               ;   in Loop: Header=BB30_63 Depth=2
	v_ashrrev_i32_e32 v5, 31, v4
	v_lshlrev_b64 v[7:8], 3, v[4:5]
	v_mov_b32_e32 v6, s45
	v_add_co_u32_e32 v5, vcc, s44, v7
	v_addc_co_u32_e32 v6, vcc, v6, v8, vcc
	v_mov_b32_e32 v9, s19
	v_add_co_u32_e32 v7, vcc, s18, v7
	v_addc_co_u32_e32 v8, vcc, v9, v8, vcc
	s_mov_b64 s[48:49], 0
.LBB30_69:                              ;   Parent Loop BB30_3 Depth=1
                                        ;     Parent Loop BB30_63 Depth=2
                                        ; =>    This Inner Loop Header: Depth=3
	global_load_dwordx2 v[9:10], v[5:6], off
	v_add_co_u32_e32 v5, vcc, 32, v5
	v_add_u32_e32 v4, 4, v4
	v_addc_co_u32_e32 v6, vcc, 0, v6, vcc
	v_cmp_ge_i32_e32 vcc, v4, v0
	s_or_b64 s[48:49], vcc, s[48:49]
	s_waitcnt vmcnt(0)
	global_store_dwordx2 v[7:8], v[9:10], off
	v_add_co_u32_e32 v7, vcc, 32, v7
	v_addc_co_u32_e32 v8, vcc, 0, v8, vcc
	s_andn2_b64 exec, exec, s[48:49]
	s_cbranch_execnz .LBB30_69
.LBB30_70:                              ;   in Loop: Header=BB30_63 Depth=2
	s_or_b64 exec, exec, s[46:47]
	s_and_b64 exec, exec, s[2:3]
	s_cbranch_execz .LBB30_62
; %bb.71:                               ;   in Loop: Header=BB30_63 Depth=2
	v_lshlrev_b64 v[3:4], 3, v[2:3]
	v_mov_b32_e32 v0, s31
	v_add_co_u32_e32 v5, vcc, s30, v3
	v_addc_co_u32_e32 v6, vcc, v0, v4, vcc
	global_load_dwordx2 v[5:6], v[5:6], off
	v_mov_b32_e32 v0, s29
	v_add_co_u32_e32 v3, vcc, s28, v3
	v_addc_co_u32_e32 v4, vcc, v0, v4, vcc
	s_waitcnt vmcnt(0)
	global_store_dwordx2 v[3:4], v[5:6], off
	s_branch .LBB30_62
.LBB30_72:
	s_endpgm
	.section	.rodata,"a",@progbits
	.p2align	6, 0x0
	.amdhsa_kernel _ZN9rocsparseL14kernel_freerunILi1024ELi4E21rocsparse_complex_numIfEiiEEvT3_S3_T2_PKS4_S6_PKS3_PKT1_21rocsparse_index_base_S6_S6_S8_PS9_SD_SC_S6_S6_S8_SD_SD_SC_SD_SD_
		.amdhsa_group_segment_fixed_size 0
		.amdhsa_private_segment_fixed_size 0
		.amdhsa_kernarg_size 168
		.amdhsa_user_sgpr_count 6
		.amdhsa_user_sgpr_private_segment_buffer 1
		.amdhsa_user_sgpr_dispatch_ptr 0
		.amdhsa_user_sgpr_queue_ptr 0
		.amdhsa_user_sgpr_kernarg_segment_ptr 1
		.amdhsa_user_sgpr_dispatch_id 0
		.amdhsa_user_sgpr_flat_scratch_init 0
		.amdhsa_user_sgpr_private_segment_size 0
		.amdhsa_uses_dynamic_stack 0
		.amdhsa_system_sgpr_private_segment_wavefront_offset 0
		.amdhsa_system_sgpr_workgroup_id_x 1
		.amdhsa_system_sgpr_workgroup_id_y 0
		.amdhsa_system_sgpr_workgroup_id_z 0
		.amdhsa_system_sgpr_workgroup_info 0
		.amdhsa_system_vgpr_workitem_id 0
		.amdhsa_next_free_vgpr 35
		.amdhsa_next_free_sgpr 76
		.amdhsa_reserve_vcc 1
		.amdhsa_reserve_flat_scratch 0
		.amdhsa_float_round_mode_32 0
		.amdhsa_float_round_mode_16_64 0
		.amdhsa_float_denorm_mode_32 3
		.amdhsa_float_denorm_mode_16_64 3
		.amdhsa_dx10_clamp 1
		.amdhsa_ieee_mode 1
		.amdhsa_fp16_overflow 0
		.amdhsa_exception_fp_ieee_invalid_op 0
		.amdhsa_exception_fp_denorm_src 0
		.amdhsa_exception_fp_ieee_div_zero 0
		.amdhsa_exception_fp_ieee_overflow 0
		.amdhsa_exception_fp_ieee_underflow 0
		.amdhsa_exception_fp_ieee_inexact 0
		.amdhsa_exception_int_div_zero 0
	.end_amdhsa_kernel
	.section	.text._ZN9rocsparseL14kernel_freerunILi1024ELi4E21rocsparse_complex_numIfEiiEEvT3_S3_T2_PKS4_S6_PKS3_PKT1_21rocsparse_index_base_S6_S6_S8_PS9_SD_SC_S6_S6_S8_SD_SD_SC_SD_SD_,"axG",@progbits,_ZN9rocsparseL14kernel_freerunILi1024ELi4E21rocsparse_complex_numIfEiiEEvT3_S3_T2_PKS4_S6_PKS3_PKT1_21rocsparse_index_base_S6_S6_S8_PS9_SD_SC_S6_S6_S8_SD_SD_SC_SD_SD_,comdat
.Lfunc_end30:
	.size	_ZN9rocsparseL14kernel_freerunILi1024ELi4E21rocsparse_complex_numIfEiiEEvT3_S3_T2_PKS4_S6_PKS3_PKT1_21rocsparse_index_base_S6_S6_S8_PS9_SD_SC_S6_S6_S8_SD_SD_SC_SD_SD_, .Lfunc_end30-_ZN9rocsparseL14kernel_freerunILi1024ELi4E21rocsparse_complex_numIfEiiEEvT3_S3_T2_PKS4_S6_PKS3_PKT1_21rocsparse_index_base_S6_S6_S8_PS9_SD_SC_S6_S6_S8_SD_SD_SC_SD_SD_
                                        ; -- End function
	.set _ZN9rocsparseL14kernel_freerunILi1024ELi4E21rocsparse_complex_numIfEiiEEvT3_S3_T2_PKS4_S6_PKS3_PKT1_21rocsparse_index_base_S6_S6_S8_PS9_SD_SC_S6_S6_S8_SD_SD_SC_SD_SD_.num_vgpr, 35
	.set _ZN9rocsparseL14kernel_freerunILi1024ELi4E21rocsparse_complex_numIfEiiEEvT3_S3_T2_PKS4_S6_PKS3_PKT1_21rocsparse_index_base_S6_S6_S8_PS9_SD_SC_S6_S6_S8_SD_SD_SC_SD_SD_.num_agpr, 0
	.set _ZN9rocsparseL14kernel_freerunILi1024ELi4E21rocsparse_complex_numIfEiiEEvT3_S3_T2_PKS4_S6_PKS3_PKT1_21rocsparse_index_base_S6_S6_S8_PS9_SD_SC_S6_S6_S8_SD_SD_SC_SD_SD_.numbered_sgpr, 76
	.set _ZN9rocsparseL14kernel_freerunILi1024ELi4E21rocsparse_complex_numIfEiiEEvT3_S3_T2_PKS4_S6_PKS3_PKT1_21rocsparse_index_base_S6_S6_S8_PS9_SD_SC_S6_S6_S8_SD_SD_SC_SD_SD_.num_named_barrier, 0
	.set _ZN9rocsparseL14kernel_freerunILi1024ELi4E21rocsparse_complex_numIfEiiEEvT3_S3_T2_PKS4_S6_PKS3_PKT1_21rocsparse_index_base_S6_S6_S8_PS9_SD_SC_S6_S6_S8_SD_SD_SC_SD_SD_.private_seg_size, 0
	.set _ZN9rocsparseL14kernel_freerunILi1024ELi4E21rocsparse_complex_numIfEiiEEvT3_S3_T2_PKS4_S6_PKS3_PKT1_21rocsparse_index_base_S6_S6_S8_PS9_SD_SC_S6_S6_S8_SD_SD_SC_SD_SD_.uses_vcc, 1
	.set _ZN9rocsparseL14kernel_freerunILi1024ELi4E21rocsparse_complex_numIfEiiEEvT3_S3_T2_PKS4_S6_PKS3_PKT1_21rocsparse_index_base_S6_S6_S8_PS9_SD_SC_S6_S6_S8_SD_SD_SC_SD_SD_.uses_flat_scratch, 0
	.set _ZN9rocsparseL14kernel_freerunILi1024ELi4E21rocsparse_complex_numIfEiiEEvT3_S3_T2_PKS4_S6_PKS3_PKT1_21rocsparse_index_base_S6_S6_S8_PS9_SD_SC_S6_S6_S8_SD_SD_SC_SD_SD_.has_dyn_sized_stack, 0
	.set _ZN9rocsparseL14kernel_freerunILi1024ELi4E21rocsparse_complex_numIfEiiEEvT3_S3_T2_PKS4_S6_PKS3_PKT1_21rocsparse_index_base_S6_S6_S8_PS9_SD_SC_S6_S6_S8_SD_SD_SC_SD_SD_.has_recursion, 0
	.set _ZN9rocsparseL14kernel_freerunILi1024ELi4E21rocsparse_complex_numIfEiiEEvT3_S3_T2_PKS4_S6_PKS3_PKT1_21rocsparse_index_base_S6_S6_S8_PS9_SD_SC_S6_S6_S8_SD_SD_SC_SD_SD_.has_indirect_call, 0
	.section	.AMDGPU.csdata,"",@progbits
; Kernel info:
; codeLenInByte = 3144
; TotalNumSgprs: 80
; NumVgprs: 35
; ScratchSize: 0
; MemoryBound: 0
; FloatMode: 240
; IeeeMode: 1
; LDSByteSize: 0 bytes/workgroup (compile time only)
; SGPRBlocks: 9
; VGPRBlocks: 8
; NumSGPRsForWavesPerEU: 80
; NumVGPRsForWavesPerEU: 35
; Occupancy: 7
; WaveLimiterHint : 1
; COMPUTE_PGM_RSRC2:SCRATCH_EN: 0
; COMPUTE_PGM_RSRC2:USER_SGPR: 6
; COMPUTE_PGM_RSRC2:TRAP_HANDLER: 0
; COMPUTE_PGM_RSRC2:TGID_X_EN: 1
; COMPUTE_PGM_RSRC2:TGID_Y_EN: 0
; COMPUTE_PGM_RSRC2:TGID_Z_EN: 0
; COMPUTE_PGM_RSRC2:TIDIG_COMP_CNT: 0
	.section	.text._ZN9rocsparseL14kernel_freerunILi1024ELi8E21rocsparse_complex_numIfEiiEEvT3_S3_T2_PKS4_S6_PKS3_PKT1_21rocsparse_index_base_S6_S6_S8_PS9_SD_SC_S6_S6_S8_SD_SD_SC_SD_SD_,"axG",@progbits,_ZN9rocsparseL14kernel_freerunILi1024ELi8E21rocsparse_complex_numIfEiiEEvT3_S3_T2_PKS4_S6_PKS3_PKT1_21rocsparse_index_base_S6_S6_S8_PS9_SD_SC_S6_S6_S8_SD_SD_SC_SD_SD_,comdat
	.globl	_ZN9rocsparseL14kernel_freerunILi1024ELi8E21rocsparse_complex_numIfEiiEEvT3_S3_T2_PKS4_S6_PKS3_PKT1_21rocsparse_index_base_S6_S6_S8_PS9_SD_SC_S6_S6_S8_SD_SD_SC_SD_SD_ ; -- Begin function _ZN9rocsparseL14kernel_freerunILi1024ELi8E21rocsparse_complex_numIfEiiEEvT3_S3_T2_PKS4_S6_PKS3_PKT1_21rocsparse_index_base_S6_S6_S8_PS9_SD_SC_S6_S6_S8_SD_SD_SC_SD_SD_
	.p2align	8
	.type	_ZN9rocsparseL14kernel_freerunILi1024ELi8E21rocsparse_complex_numIfEiiEEvT3_S3_T2_PKS4_S6_PKS3_PKT1_21rocsparse_index_base_S6_S6_S8_PS9_SD_SC_S6_S6_S8_SD_SD_SC_SD_SD_,@function
_ZN9rocsparseL14kernel_freerunILi1024ELi8E21rocsparse_complex_numIfEiiEEvT3_S3_T2_PKS4_S6_PKS3_PKT1_21rocsparse_index_base_S6_S6_S8_PS9_SD_SC_S6_S6_S8_SD_SD_SC_SD_SD_: ; @_ZN9rocsparseL14kernel_freerunILi1024ELi8E21rocsparse_complex_numIfEiiEEvT3_S3_T2_PKS4_S6_PKS3_PKT1_21rocsparse_index_base_S6_S6_S8_PS9_SD_SC_S6_S6_S8_SD_SD_SC_SD_SD_
; %bb.0:
	s_load_dwordx2 s[10:11], s[4:5], 0x0
	v_lshrrev_b32_e32 v1, 3, v0
	s_lshl_b32 s69, s6, 10
	v_or_b32_e32 v12, s69, v1
	s_mov_b32 s33, 0
	s_waitcnt lgkmcnt(0)
	s_cmp_gt_i32 s10, 0
	v_cmp_gt_i32_e32 vcc, s11, v12
	s_cselect_b64 s[0:1], -1, 0
	s_and_b64 s[0:1], vcc, s[0:1]
	s_and_saveexec_b64 s[2:3], s[0:1]
	s_cbranch_execz .LBB31_72
; %bb.1:
	s_load_dwordx4 s[28:31], s[4:5], 0x98
	s_load_dwordx8 s[12:19], s[4:5], 0x68
	s_load_dwordx8 s[20:27], s[4:5], 0x38
	;; [unrolled: 1-line block ×3, first 2 shown]
	s_load_dword s66, s[4:5], 0x30
	s_load_dwordx2 s[34:35], s[4:5], 0x58
	s_load_dword s67, s[4:5], 0x60
	s_load_dwordx2 s[44:45], s[4:5], 0x88
	s_load_dword s68, s[4:5], 0x90
	v_and_b32_e32 v0, 7, v0
	s_addk_i32 s69, 0x400
	s_waitcnt lgkmcnt(0)
	v_subrev_u32_e32 v13, s66, v0
	v_cmp_gt_u32_e64 s[0:1], s69, v12
	v_subrev_u32_e32 v14, s67, v0
	v_subrev_u32_e32 v15, s68, v0
	v_cmp_eq_u32_e64 s[2:3], 0, v0
	v_mov_b32_e32 v1, 0
	s_mov_b32 s70, 0xf800000
	v_mov_b32_e32 v16, 0x260
	s_movk_i32 s71, 0x1f8
	s_branch .LBB31_3
.LBB31_2:                               ;   in Loop: Header=BB31_3 Depth=1
	s_or_b64 exec, exec, s[4:5]
	s_add_i32 s33, s33, 1
	s_cmp_eq_u32 s33, s10
	s_cbranch_scc1 .LBB31_72
.LBB31_3:                               ; =>This Loop Header: Depth=1
                                        ;     Child Loop BB31_5 Depth 2
                                        ;       Child Loop BB31_9 Depth 3
                                        ;         Child Loop BB31_13 Depth 4
                                        ;         Child Loop BB31_43 Depth 4
	;; [unrolled: 1-line block ×3, first 2 shown]
                                        ;     Child Loop BB31_63 Depth 2
                                        ;       Child Loop BB31_66 Depth 3
                                        ;       Child Loop BB31_69 Depth 3
	s_mov_b32 s72, 0
	s_branch .LBB31_5
.LBB31_4:                               ;   in Loop: Header=BB31_5 Depth=2
	s_or_b64 exec, exec, s[46:47]
	s_add_i32 s72, s72, 1
	s_cmp_eq_u32 s72, 8
	s_cbranch_scc1 .LBB31_60
.LBB31_5:                               ;   Parent Loop BB31_3 Depth=1
                                        ; =>  This Loop Header: Depth=2
                                        ;       Child Loop BB31_9 Depth 3
                                        ;         Child Loop BB31_13 Depth 4
                                        ;         Child Loop BB31_43 Depth 4
	;; [unrolled: 1-line block ×3, first 2 shown]
	v_lshl_add_u32 v2, s72, 7, v12
	v_cmp_gt_i32_e32 vcc, s11, v2
	s_and_saveexec_b64 s[46:47], vcc
	s_cbranch_execz .LBB31_4
; %bb.6:                                ;   in Loop: Header=BB31_5 Depth=2
	v_ashrrev_i32_e32 v3, 31, v2
	v_lshlrev_b64 v[4:5], 2, v[2:3]
	v_mov_b32_e32 v0, s37
	v_add_co_u32_e32 v6, vcc, s36, v4
	v_addc_co_u32_e32 v7, vcc, v0, v5, vcc
	global_load_dword v0, v[6:7], off
	v_mov_b32_e32 v3, s39
	v_add_co_u32_e32 v6, vcc, s38, v4
	v_addc_co_u32_e32 v7, vcc, v3, v5, vcc
	global_load_dword v6, v[6:7], off
	s_waitcnt vmcnt(1)
	v_add_u32_e32 v3, v13, v0
	s_waitcnt vmcnt(0)
	v_subrev_u32_e32 v17, s66, v6
	v_cmp_lt_i32_e32 vcc, v3, v17
	s_and_b64 exec, exec, vcc
	s_cbranch_execz .LBB31_4
; %bb.7:                                ;   in Loop: Header=BB31_5 Depth=2
	v_mov_b32_e32 v0, s23
	v_add_co_u32_e32 v6, vcc, s22, v4
	v_addc_co_u32_e32 v7, vcc, v0, v5, vcc
	v_mov_b32_e32 v0, s21
	v_add_co_u32_e32 v4, vcc, s20, v4
	v_addc_co_u32_e32 v5, vcc, v0, v5, vcc
	global_load_dword v0, v[4:5], off
	s_nop 0
	global_load_dword v4, v[6:7], off
	v_mov_b32_e32 v11, s25
	v_mov_b32_e32 v22, s27
	s_mov_b64 s[48:49], 0
	s_waitcnt vmcnt(1)
	v_subrev_u32_e32 v5, s67, v0
	v_ashrrev_i32_e32 v6, 31, v5
	v_lshlrev_b64 v[7:8], 2, v[5:6]
	v_lshlrev_b64 v[9:10], 3, v[5:6]
	v_add_co_u32_e32 v19, vcc, s24, v7
	v_addc_co_u32_e32 v20, vcc, v11, v8, vcc
	s_waitcnt vmcnt(0)
	v_sub_u32_e32 v18, v4, v0
	v_add_co_u32_e32 v21, vcc, s26, v9
	v_cmp_lt_i32_e64 s[4:5], 0, v18
	v_addc_co_u32_e32 v22, vcc, v22, v10, vcc
	s_branch .LBB31_9
.LBB31_8:                               ;   in Loop: Header=BB31_9 Depth=3
	s_or_b64 exec, exec, s[8:9]
	v_add_u32_e32 v3, 8, v3
	v_cmp_ge_i32_e32 vcc, v3, v17
	s_or_b64 s[48:49], vcc, s[48:49]
	s_andn2_b64 exec, exec, s[48:49]
	s_cbranch_execz .LBB31_4
.LBB31_9:                               ;   Parent Loop BB31_3 Depth=1
                                        ;     Parent Loop BB31_5 Depth=2
                                        ; =>    This Loop Header: Depth=3
                                        ;         Child Loop BB31_13 Depth 4
                                        ;         Child Loop BB31_43 Depth 4
	;; [unrolled: 1-line block ×3, first 2 shown]
	v_ashrrev_i32_e32 v4, 31, v3
	v_lshlrev_b64 v[6:7], 2, v[3:4]
	v_mov_b32_e32 v0, s41
	v_add_co_u32_e32 v6, vcc, s40, v6
	v_addc_co_u32_e32 v7, vcc, v0, v7, vcc
	global_load_dword v0, v[6:7], off
	v_mov_b32_e32 v11, s13
	v_mov_b32_e32 v23, s15
	;; [unrolled: 1-line block ×3, first 2 shown]
	s_waitcnt vmcnt(0)
	v_subrev_u32_e32 v6, s66, v0
	v_ashrrev_i32_e32 v7, 31, v6
	v_lshlrev_b64 v[8:9], 2, v[6:7]
	v_mov_b32_e32 v0, 0
	v_add_co_u32_e32 v10, vcc, s12, v8
	v_addc_co_u32_e32 v11, vcc, v11, v9, vcc
	v_add_co_u32_e32 v8, vcc, s14, v8
	v_addc_co_u32_e32 v9, vcc, v23, v9, vcc
	global_load_dword v10, v[10:11], off
	s_nop 0
	global_load_dword v9, v[8:9], off
	v_mov_b32_e32 v11, 0
	s_waitcnt vmcnt(1)
	v_subrev_u32_e32 v8, s68, v10
	s_waitcnt vmcnt(0)
	v_sub_u32_e32 v23, v9, v10
	v_mov_b32_e32 v9, v0
	s_and_saveexec_b64 s[6:7], s[4:5]
	s_cbranch_execz .LBB31_17
; %bb.10:                               ;   in Loop: Header=BB31_9 Depth=3
	v_ashrrev_i32_e32 v9, 31, v8
	v_lshlrev_b64 v[10:11], 2, v[8:9]
	v_mov_b32_e32 v0, s17
	v_add_co_u32_e32 v24, vcc, s16, v10
	v_lshlrev_b64 v[9:10], 3, v[8:9]
	v_addc_co_u32_e32 v26, vcc, v0, v11, vcc
	v_mov_b32_e32 v0, s19
	v_add_co_u32_e32 v27, vcc, s18, v9
	v_mov_b32_e32 v9, 0
	v_addc_co_u32_e32 v28, vcc, v0, v10, vcc
	v_mov_b32_e32 v11, 0
	s_mov_b64 s[8:9], 0
	v_mov_b32_e32 v0, v9
	v_mov_b32_e32 v25, 0
                                        ; implicit-def: $sgpr50_sgpr51
	s_branch .LBB31_13
.LBB31_11:                              ;   in Loop: Header=BB31_13 Depth=4
	s_or_b64 exec, exec, s[54:55]
	v_cmp_le_i32_e32 vcc, v29, v30
	v_addc_co_u32_e32 v0, vcc, 0, v0, vcc
	v_cmp_ge_i32_e32 vcc, v29, v30
	v_addc_co_u32_e32 v9, vcc, 0, v9, vcc
	v_cmp_ge_i32_e32 vcc, v0, v18
	s_andn2_b64 s[50:51], s[50:51], exec
	s_and_b64 s[54:55], vcc, exec
	s_or_b64 s[50:51], s[50:51], s[54:55]
.LBB31_12:                              ;   in Loop: Header=BB31_13 Depth=4
	s_or_b64 exec, exec, s[52:53]
	s_and_b64 s[52:53], exec, s[50:51]
	s_or_b64 s[8:9], s[52:53], s[8:9]
	s_andn2_b64 exec, exec, s[8:9]
	s_cbranch_execz .LBB31_16
.LBB31_13:                              ;   Parent Loop BB31_3 Depth=1
                                        ;     Parent Loop BB31_5 Depth=2
                                        ;       Parent Loop BB31_9 Depth=3
                                        ; =>      This Inner Loop Header: Depth=4
	v_cmp_lt_i32_e32 vcc, v9, v23
	s_or_b64 s[50:51], s[50:51], exec
	s_and_saveexec_b64 s[52:53], vcc
	s_cbranch_execz .LBB31_12
; %bb.14:                               ;   in Loop: Header=BB31_13 Depth=4
	v_lshlrev_b64 v[29:30], 2, v[0:1]
	v_mov_b32_e32 v10, v1
	v_add_co_u32_e32 v29, vcc, v19, v29
	v_addc_co_u32_e32 v30, vcc, v20, v30, vcc
	global_load_dword v31, v[29:30], off
	v_lshlrev_b64 v[29:30], 2, v[9:10]
	v_add_co_u32_e32 v29, vcc, v24, v29
	v_addc_co_u32_e32 v30, vcc, v26, v30, vcc
	global_load_dword v30, v[29:30], off
	s_waitcnt vmcnt(1)
	v_subrev_u32_e32 v29, s67, v31
	s_waitcnt vmcnt(0)
	v_subrev_u32_e32 v30, s68, v30
	v_cmp_eq_u32_e32 vcc, v29, v30
	s_and_saveexec_b64 s[54:55], vcc
	s_cbranch_execz .LBB31_11
; %bb.15:                               ;   in Loop: Header=BB31_13 Depth=4
	v_lshlrev_b64 v[31:32], 3, v[0:1]
	v_lshlrev_b64 v[33:34], 3, v[9:10]
	v_add_co_u32_e32 v31, vcc, v21, v31
	v_addc_co_u32_e32 v32, vcc, v22, v32, vcc
	v_add_co_u32_e32 v33, vcc, v27, v33
	v_addc_co_u32_e32 v34, vcc, v28, v34, vcc
	global_load_dwordx2 v[31:32], v[31:32], off
	s_nop 0
	global_load_dwordx2 v[33:34], v[33:34], off
	s_waitcnt vmcnt(0)
	v_fmac_f32_e32 v11, v31, v33
	v_fmac_f32_e32 v25, v32, v33
	v_fma_f32 v11, -v32, v34, v11
	v_fmac_f32_e32 v25, v31, v34
	s_branch .LBB31_11
.LBB31_16:                              ;   in Loop: Header=BB31_9 Depth=3
	s_or_b64 exec, exec, s[8:9]
.LBB31_17:                              ;   in Loop: Header=BB31_9 Depth=3
	s_or_b64 exec, exec, s[6:7]
	v_lshlrev_b64 v[26:27], 3, v[3:4]
	v_mov_b32_e32 v4, s43
	v_add_co_u32_e32 v26, vcc, s42, v26
	v_addc_co_u32_e32 v27, vcc, v4, v27, vcc
	global_load_dwordx2 v[26:27], v[26:27], off
	v_cmp_le_i32_e64 s[6:7], v2, v6
	v_cmp_gt_i32_e32 vcc, v2, v6
	s_waitcnt vmcnt(0)
	v_sub_f32_e32 v24, v26, v11
	v_sub_f32_e32 v4, v27, v25
	s_and_saveexec_b64 s[50:51], vcc
	s_cbranch_execz .LBB31_27
; %bb.18:                               ;   in Loop: Header=BB31_9 Depth=3
	v_lshlrev_b64 v[10:11], 3, v[6:7]
	v_mov_b32_e32 v25, s29
	v_add_co_u32_e32 v10, vcc, s28, v10
	v_addc_co_u32_e32 v11, vcc, v25, v11, vcc
	global_load_dwordx2 v[10:11], v[10:11], off
                                        ; implicit-def: $vgpr27
	s_waitcnt vmcnt(0)
	v_cmp_gt_f32_e32 vcc, 0, v10
	v_cndmask_b32_e64 v25, v10, -v10, vcc
	v_cmp_gt_f32_e32 vcc, 0, v11
	v_cndmask_b32_e64 v26, v11, -v11, vcc
	v_cmp_ngt_f32_e32 vcc, v25, v26
	s_and_saveexec_b64 s[8:9], vcc
	s_xor_b64 s[52:53], exec, s[8:9]
	s_cbranch_execz .LBB31_22
; %bb.19:                               ;   in Loop: Header=BB31_9 Depth=3
	v_mov_b32_e32 v27, 0
	v_cmp_neq_f32_e32 vcc, 0, v11
	s_and_saveexec_b64 s[54:55], vcc
	s_cbranch_execz .LBB31_21
; %bb.20:                               ;   in Loop: Header=BB31_9 Depth=3
	v_div_scale_f32 v27, s[8:9], v26, v26, v25
	v_div_scale_f32 v28, vcc, v25, v26, v25
	v_rcp_f32_e32 v29, v27
	v_fma_f32 v30, -v27, v29, 1.0
	v_fmac_f32_e32 v29, v30, v29
	v_mul_f32_e32 v30, v28, v29
	v_fma_f32 v31, -v27, v30, v28
	v_fmac_f32_e32 v30, v31, v29
	v_fma_f32 v27, -v27, v30, v28
	v_div_fmas_f32 v27, v27, v29, v30
	v_div_fixup_f32 v25, v27, v26, v25
	v_fma_f32 v25, v25, v25, 1.0
	v_mul_f32_e32 v27, 0x4f800000, v25
	v_cmp_gt_f32_e32 vcc, s70, v25
	v_cndmask_b32_e32 v25, v25, v27, vcc
	v_sqrt_f32_e32 v27, v25
	v_add_u32_e32 v28, -1, v27
	v_add_u32_e32 v29, 1, v27
	v_fma_f32 v30, -v28, v27, v25
	v_fma_f32 v31, -v29, v27, v25
	v_cmp_ge_f32_e64 s[8:9], 0, v30
	v_cndmask_b32_e64 v27, v27, v28, s[8:9]
	v_cmp_lt_f32_e64 s[8:9], 0, v31
	v_cndmask_b32_e64 v27, v27, v29, s[8:9]
	v_mul_f32_e32 v28, 0x37800000, v27
	v_cndmask_b32_e32 v27, v27, v28, vcc
	v_cmp_class_f32_e32 vcc, v25, v16
	v_cndmask_b32_e32 v25, v27, v25, vcc
	v_mul_f32_e32 v27, v26, v25
.LBB31_21:                              ;   in Loop: Header=BB31_9 Depth=3
	s_or_b64 exec, exec, s[54:55]
                                        ; implicit-def: $vgpr25
                                        ; implicit-def: $vgpr26
.LBB31_22:                              ;   in Loop: Header=BB31_9 Depth=3
	s_andn2_saveexec_b64 s[52:53], s[52:53]
	s_cbranch_execz .LBB31_24
; %bb.23:                               ;   in Loop: Header=BB31_9 Depth=3
	v_div_scale_f32 v27, s[8:9], v25, v25, v26
	v_div_scale_f32 v28, vcc, v26, v25, v26
	v_rcp_f32_e32 v29, v27
	v_fma_f32 v30, -v27, v29, 1.0
	v_fmac_f32_e32 v29, v30, v29
	v_mul_f32_e32 v30, v28, v29
	v_fma_f32 v31, -v27, v30, v28
	v_fmac_f32_e32 v30, v31, v29
	v_fma_f32 v27, -v27, v30, v28
	v_div_fmas_f32 v27, v27, v29, v30
	v_div_fixup_f32 v26, v27, v25, v26
	v_fma_f32 v26, v26, v26, 1.0
	v_mul_f32_e32 v27, 0x4f800000, v26
	v_cmp_gt_f32_e32 vcc, s70, v26
	v_cndmask_b32_e32 v26, v26, v27, vcc
	v_sqrt_f32_e32 v27, v26
	v_add_u32_e32 v28, -1, v27
	v_add_u32_e32 v29, 1, v27
	v_fma_f32 v30, -v28, v27, v26
	v_fma_f32 v31, -v29, v27, v26
	v_cmp_ge_f32_e64 s[8:9], 0, v30
	v_cndmask_b32_e64 v27, v27, v28, s[8:9]
	v_cmp_lt_f32_e64 s[8:9], 0, v31
	v_cndmask_b32_e64 v27, v27, v29, s[8:9]
	v_mul_f32_e32 v28, 0x37800000, v27
	v_cndmask_b32_e32 v27, v27, v28, vcc
	v_cmp_class_f32_e32 vcc, v26, v16
	v_cndmask_b32_e32 v26, v27, v26, vcc
	v_mul_f32_e32 v27, v25, v26
.LBB31_24:                              ;   in Loop: Header=BB31_9 Depth=3
	s_or_b64 exec, exec, s[52:53]
	v_mov_b32_e32 v25, 0
	v_cmp_lt_f32_e32 vcc, 0, v27
	v_mov_b32_e32 v26, 0
	s_and_saveexec_b64 s[8:9], vcc
	s_cbranch_execz .LBB31_26
; %bb.25:                               ;   in Loop: Header=BB31_9 Depth=3
	v_mul_f32_e32 v25, v11, v11
	v_fmac_f32_e32 v25, v10, v10
	v_div_scale_f32 v26, s[52:53], v25, v25, 1.0
	v_div_scale_f32 v27, vcc, 1.0, v25, 1.0
	v_rcp_f32_e32 v28, v26
	v_fma_f32 v29, -v26, v28, 1.0
	v_fmac_f32_e32 v28, v29, v28
	v_mul_f32_e32 v29, v27, v28
	v_fma_f32 v30, -v26, v29, v27
	v_fmac_f32_e32 v29, v30, v28
	v_fma_f32 v26, -v26, v29, v27
	v_div_fmas_f32 v26, v26, v28, v29
	v_mul_f32_e32 v27, v4, v11
	v_mul_f32_e64 v11, v11, -v24
	v_fmac_f32_e32 v27, v24, v10
	v_fmac_f32_e32 v11, v4, v10
	v_div_fixup_f32 v4, v26, v25, 1.0
	v_mul_f32_e32 v25, v27, v4
	v_mul_f32_e32 v26, v11, v4
.LBB31_26:                              ;   in Loop: Header=BB31_9 Depth=3
	s_or_b64 exec, exec, s[8:9]
	v_mov_b32_e32 v24, v25
	v_mov_b32_e32 v4, v26
.LBB31_27:                              ;   in Loop: Header=BB31_9 Depth=3
	s_or_b64 exec, exec, s[50:51]
	v_cmp_gt_f32_e32 vcc, 0, v24
	v_cndmask_b32_e64 v10, v24, -v24, vcc
	v_cmp_gt_f32_e32 vcc, 0, v4
	v_cndmask_b32_e64 v11, v4, -v4, vcc
	v_cmp_ngt_f32_e32 vcc, v10, v11
                                        ; implicit-def: $vgpr25
	s_and_saveexec_b64 s[8:9], vcc
	s_xor_b64 s[50:51], exec, s[8:9]
	s_cbranch_execnz .LBB31_30
; %bb.28:                               ;   in Loop: Header=BB31_9 Depth=3
	s_andn2_saveexec_b64 s[50:51], s[50:51]
	s_cbranch_execnz .LBB31_33
.LBB31_29:                              ;   in Loop: Header=BB31_9 Depth=3
	s_or_b64 exec, exec, s[50:51]
	v_cmp_class_f32_e64 s[50:51], v25, s71
	s_and_saveexec_b64 s[8:9], s[50:51]
	s_cbranch_execz .LBB31_8
	s_branch .LBB31_34
.LBB31_30:                              ;   in Loop: Header=BB31_9 Depth=3
	v_mov_b32_e32 v25, 0
	v_cmp_neq_f32_e32 vcc, 0, v4
	s_and_saveexec_b64 s[52:53], vcc
	s_cbranch_execz .LBB31_32
; %bb.31:                               ;   in Loop: Header=BB31_9 Depth=3
	v_div_scale_f32 v25, s[8:9], v11, v11, v10
	v_div_scale_f32 v26, vcc, v10, v11, v10
	v_rcp_f32_e32 v27, v25
	v_fma_f32 v28, -v25, v27, 1.0
	v_fmac_f32_e32 v27, v28, v27
	v_mul_f32_e32 v28, v26, v27
	v_fma_f32 v29, -v25, v28, v26
	v_fmac_f32_e32 v28, v29, v27
	v_fma_f32 v25, -v25, v28, v26
	v_div_fmas_f32 v25, v25, v27, v28
	v_div_fixup_f32 v10, v25, v11, v10
	v_fma_f32 v10, v10, v10, 1.0
	v_mul_f32_e32 v25, 0x4f800000, v10
	v_cmp_gt_f32_e32 vcc, s70, v10
	v_cndmask_b32_e32 v10, v10, v25, vcc
	v_sqrt_f32_e32 v25, v10
	v_add_u32_e32 v26, -1, v25
	v_add_u32_e32 v27, 1, v25
	v_fma_f32 v28, -v26, v25, v10
	v_fma_f32 v29, -v27, v25, v10
	v_cmp_ge_f32_e64 s[8:9], 0, v28
	v_cndmask_b32_e64 v25, v25, v26, s[8:9]
	v_cmp_lt_f32_e64 s[8:9], 0, v29
	v_cndmask_b32_e64 v25, v25, v27, s[8:9]
	v_mul_f32_e32 v26, 0x37800000, v25
	v_cndmask_b32_e32 v25, v25, v26, vcc
	v_cmp_class_f32_e32 vcc, v10, v16
	v_cndmask_b32_e32 v10, v25, v10, vcc
	v_mul_f32_e32 v25, v11, v10
.LBB31_32:                              ;   in Loop: Header=BB31_9 Depth=3
	s_or_b64 exec, exec, s[52:53]
                                        ; implicit-def: $vgpr10
                                        ; implicit-def: $vgpr11
	s_andn2_saveexec_b64 s[50:51], s[50:51]
	s_cbranch_execz .LBB31_29
.LBB31_33:                              ;   in Loop: Header=BB31_9 Depth=3
	v_div_scale_f32 v25, s[8:9], v10, v10, v11
	v_div_scale_f32 v26, vcc, v11, v10, v11
	v_rcp_f32_e32 v27, v25
	v_fma_f32 v28, -v25, v27, 1.0
	v_fmac_f32_e32 v27, v28, v27
	v_mul_f32_e32 v28, v26, v27
	v_fma_f32 v29, -v25, v28, v26
	v_fmac_f32_e32 v28, v29, v27
	v_fma_f32 v25, -v25, v28, v26
	v_div_fmas_f32 v25, v25, v27, v28
	v_div_fixup_f32 v11, v25, v10, v11
	v_fma_f32 v11, v11, v11, 1.0
	v_mul_f32_e32 v25, 0x4f800000, v11
	v_cmp_gt_f32_e32 vcc, s70, v11
	v_cndmask_b32_e32 v11, v11, v25, vcc
	v_sqrt_f32_e32 v25, v11
	v_add_u32_e32 v26, -1, v25
	v_add_u32_e32 v27, 1, v25
	v_fma_f32 v28, -v26, v25, v11
	v_fma_f32 v29, -v27, v25, v11
	v_cmp_ge_f32_e64 s[8:9], 0, v28
	v_cndmask_b32_e64 v25, v25, v26, s[8:9]
	v_cmp_lt_f32_e64 s[8:9], 0, v29
	v_cndmask_b32_e64 v25, v25, v27, s[8:9]
	v_mul_f32_e32 v26, 0x37800000, v25
	v_cndmask_b32_e32 v25, v25, v26, vcc
	v_cmp_class_f32_e32 vcc, v11, v16
	v_cndmask_b32_e32 v11, v25, v11, vcc
	v_mul_f32_e32 v25, v10, v11
	s_or_b64 exec, exec, s[50:51]
	v_cmp_class_f32_e64 s[50:51], v25, s71
	s_and_saveexec_b64 s[8:9], s[50:51]
	s_cbranch_execz .LBB31_8
.LBB31_34:                              ;   in Loop: Header=BB31_9 Depth=3
	s_mov_b64 s[50:51], 0
                                        ; implicit-def: $vgpr10_vgpr11
	s_and_saveexec_b64 s[52:53], s[6:7]
	s_xor_b64 s[6:7], exec, s[52:53]
	s_cbranch_execnz .LBB31_37
; %bb.35:                               ;   in Loop: Header=BB31_9 Depth=3
	s_andn2_saveexec_b64 s[6:7], s[6:7]
	s_cbranch_execnz .LBB31_50
.LBB31_36:                              ;   in Loop: Header=BB31_9 Depth=3
	s_or_b64 exec, exec, s[6:7]
	s_and_b64 exec, exec, s[50:51]
	s_cbranch_execz .LBB31_8
	s_branch .LBB31_59
.LBB31_37:                              ;   in Loop: Header=BB31_9 Depth=3
	v_cmp_ge_i32_e32 vcc, v2, v6
                                        ; implicit-def: $vgpr10_vgpr11
	s_and_saveexec_b64 s[52:53], vcc
	s_xor_b64 s[52:53], exec, s[52:53]
	s_cbranch_execz .LBB31_39
; %bb.38:                               ;   in Loop: Header=BB31_9 Depth=3
	v_lshlrev_b64 v[6:7], 3, v[6:7]
	v_mov_b32_e32 v0, s31
	v_add_co_u32_e32 v10, vcc, s30, v6
	v_addc_co_u32_e32 v11, vcc, v0, v7, vcc
	s_mov_b64 s[50:51], exec
	global_store_dword v[10:11], v24, off
                                        ; implicit-def: $vgpr9
                                        ; implicit-def: $vgpr23
                                        ; implicit-def: $vgpr24
                                        ; implicit-def: $vgpr8
.LBB31_39:                              ;   in Loop: Header=BB31_9 Depth=3
	s_andn2_saveexec_b64 s[52:53], s[52:53]
	s_cbranch_execz .LBB31_49
; %bb.40:                               ;   in Loop: Header=BB31_9 Depth=3
	v_cmp_lt_i32_e32 vcc, v9, v23
	s_mov_b64 s[56:57], s[50:51]
                                        ; implicit-def: $vgpr10_vgpr11
	s_and_saveexec_b64 s[54:55], vcc
	s_cbranch_execz .LBB31_48
; %bb.41:                               ;   in Loop: Header=BB31_9 Depth=3
	s_mov_b64 s[58:59], 0
                                        ; implicit-def: $sgpr56_sgpr57
                                        ; implicit-def: $sgpr62_sgpr63
                                        ; implicit-def: $sgpr60_sgpr61
	s_branch .LBB31_43
.LBB31_42:                              ;   in Loop: Header=BB31_43 Depth=4
	s_or_b64 exec, exec, s[64:65]
	s_and_b64 s[64:65], exec, s[62:63]
	s_or_b64 s[58:59], s[64:65], s[58:59]
	s_andn2_b64 s[56:57], s[56:57], exec
	s_and_b64 s[64:65], s[60:61], exec
	s_or_b64 s[56:57], s[56:57], s[64:65]
	s_andn2_b64 exec, exec, s[58:59]
	s_cbranch_execz .LBB31_45
.LBB31_43:                              ;   Parent Loop BB31_3 Depth=1
                                        ;     Parent Loop BB31_5 Depth=2
                                        ;       Parent Loop BB31_9 Depth=3
                                        ; =>      This Inner Loop Header: Depth=4
	v_add_u32_e32 v6, v8, v9
	v_ashrrev_i32_e32 v7, 31, v6
	v_lshlrev_b64 v[10:11], 2, v[6:7]
	v_mov_b32_e32 v0, s17
	v_add_co_u32_e32 v10, vcc, s16, v10
	v_addc_co_u32_e32 v11, vcc, v0, v11, vcc
	global_load_dword v0, v[10:11], off
	s_or_b64 s[60:61], s[60:61], exec
	s_or_b64 s[62:63], s[62:63], exec
	s_waitcnt vmcnt(0)
	v_subrev_u32_e32 v0, s68, v0
	v_cmp_ne_u32_e32 vcc, v0, v2
	s_and_saveexec_b64 s[64:65], vcc
	s_cbranch_execz .LBB31_42
; %bb.44:                               ;   in Loop: Header=BB31_43 Depth=4
	v_add_u32_e32 v9, 1, v9
	v_cmp_ge_i32_e32 vcc, v9, v23
	s_andn2_b64 s[62:63], s[62:63], exec
	s_and_b64 s[74:75], vcc, exec
	s_andn2_b64 s[60:61], s[60:61], exec
	s_or_b64 s[62:63], s[62:63], s[74:75]
	s_branch .LBB31_42
.LBB31_45:                              ;   in Loop: Header=BB31_9 Depth=3
	s_or_b64 exec, exec, s[58:59]
	s_mov_b64 s[58:59], s[50:51]
                                        ; implicit-def: $vgpr10_vgpr11
	s_and_saveexec_b64 s[60:61], s[56:57]
	s_xor_b64 s[56:57], exec, s[60:61]
	s_cbranch_execz .LBB31_47
; %bb.46:                               ;   in Loop: Header=BB31_9 Depth=3
	v_lshlrev_b64 v[6:7], 3, v[6:7]
	v_mov_b32_e32 v0, s45
	v_add_co_u32_e32 v10, vcc, s44, v6
	v_addc_co_u32_e32 v11, vcc, v0, v7, vcc
	s_or_b64 s[58:59], s[50:51], exec
	global_store_dword v[10:11], v24, off
.LBB31_47:                              ;   in Loop: Header=BB31_9 Depth=3
	s_or_b64 exec, exec, s[56:57]
	s_andn2_b64 s[56:57], s[50:51], exec
	s_and_b64 s[58:59], s[58:59], exec
	s_or_b64 s[56:57], s[56:57], s[58:59]
.LBB31_48:                              ;   in Loop: Header=BB31_9 Depth=3
	s_or_b64 exec, exec, s[54:55]
	s_andn2_b64 s[50:51], s[50:51], exec
	s_and_b64 s[54:55], s[56:57], exec
	s_or_b64 s[50:51], s[50:51], s[54:55]
.LBB31_49:                              ;   in Loop: Header=BB31_9 Depth=3
	s_or_b64 exec, exec, s[52:53]
	s_and_b64 s[50:51], s[50:51], exec
                                        ; implicit-def: $vgpr24
                                        ; implicit-def: $vgpr6_vgpr7
	s_andn2_saveexec_b64 s[6:7], s[6:7]
	s_cbranch_execz .LBB31_36
.LBB31_50:                              ;   in Loop: Header=BB31_9 Depth=3
	v_cmp_lt_i32_e32 vcc, v0, v18
	s_mov_b64 s[54:55], s[50:51]
                                        ; implicit-def: $vgpr10_vgpr11
	s_and_saveexec_b64 s[52:53], vcc
	s_cbranch_execz .LBB31_58
; %bb.51:                               ;   in Loop: Header=BB31_9 Depth=3
	s_mov_b64 s[56:57], 0
                                        ; implicit-def: $sgpr54_sgpr55
                                        ; implicit-def: $sgpr60_sgpr61
                                        ; implicit-def: $sgpr58_sgpr59
	s_branch .LBB31_53
.LBB31_52:                              ;   in Loop: Header=BB31_53 Depth=4
	s_or_b64 exec, exec, s[62:63]
	s_and_b64 s[62:63], exec, s[60:61]
	s_or_b64 s[56:57], s[62:63], s[56:57]
	s_andn2_b64 s[54:55], s[54:55], exec
	s_and_b64 s[62:63], s[58:59], exec
	s_or_b64 s[54:55], s[54:55], s[62:63]
	s_andn2_b64 exec, exec, s[56:57]
	s_cbranch_execz .LBB31_55
.LBB31_53:                              ;   Parent Loop BB31_3 Depth=1
                                        ;     Parent Loop BB31_5 Depth=2
                                        ;       Parent Loop BB31_9 Depth=3
                                        ; =>      This Inner Loop Header: Depth=4
	v_add_u32_e32 v7, v5, v0
	v_ashrrev_i32_e32 v8, 31, v7
	v_lshlrev_b64 v[9:10], 2, v[7:8]
	v_mov_b32_e32 v11, s25
	v_add_co_u32_e32 v9, vcc, s24, v9
	v_addc_co_u32_e32 v10, vcc, v11, v10, vcc
	global_load_dword v9, v[9:10], off
	s_or_b64 s[58:59], s[58:59], exec
	s_or_b64 s[60:61], s[60:61], exec
	s_waitcnt vmcnt(0)
	v_subrev_u32_e32 v9, s67, v9
	v_cmp_ne_u32_e32 vcc, v9, v6
	s_and_saveexec_b64 s[62:63], vcc
	s_cbranch_execz .LBB31_52
; %bb.54:                               ;   in Loop: Header=BB31_53 Depth=4
	v_add_u32_e32 v0, 1, v0
	v_cmp_ge_i32_e32 vcc, v0, v18
	s_andn2_b64 s[60:61], s[60:61], exec
	s_and_b64 s[64:65], vcc, exec
	s_andn2_b64 s[58:59], s[58:59], exec
	s_or_b64 s[60:61], s[60:61], s[64:65]
	s_branch .LBB31_52
.LBB31_55:                              ;   in Loop: Header=BB31_9 Depth=3
	s_or_b64 exec, exec, s[56:57]
	s_mov_b64 s[56:57], s[50:51]
                                        ; implicit-def: $vgpr10_vgpr11
	s_and_saveexec_b64 s[58:59], s[54:55]
	s_xor_b64 s[54:55], exec, s[58:59]
	s_cbranch_execz .LBB31_57
; %bb.56:                               ;   in Loop: Header=BB31_9 Depth=3
	v_lshlrev_b64 v[6:7], 3, v[7:8]
	v_mov_b32_e32 v0, s35
	v_add_co_u32_e32 v10, vcc, s34, v6
	v_addc_co_u32_e32 v11, vcc, v0, v7, vcc
	s_or_b64 s[56:57], s[50:51], exec
	global_store_dword v[10:11], v24, off
.LBB31_57:                              ;   in Loop: Header=BB31_9 Depth=3
	s_or_b64 exec, exec, s[54:55]
	s_andn2_b64 s[54:55], s[50:51], exec
	s_and_b64 s[56:57], s[56:57], exec
	s_or_b64 s[54:55], s[54:55], s[56:57]
.LBB31_58:                              ;   in Loop: Header=BB31_9 Depth=3
	s_or_b64 exec, exec, s[52:53]
	s_andn2_b64 s[50:51], s[50:51], exec
	s_and_b64 s[52:53], s[54:55], exec
	s_or_b64 s[50:51], s[50:51], s[52:53]
	s_or_b64 exec, exec, s[6:7]
	s_and_b64 exec, exec, s[50:51]
	s_cbranch_execz .LBB31_8
.LBB31_59:                              ;   in Loop: Header=BB31_9 Depth=3
	global_store_dword v[10:11], v4, off offset:4
	s_branch .LBB31_8
.LBB31_60:                              ;   in Loop: Header=BB31_3 Depth=1
	s_and_saveexec_b64 s[4:5], s[0:1]
	s_cbranch_execz .LBB31_2
; %bb.61:                               ;   in Loop: Header=BB31_3 Depth=1
	s_mov_b64 s[6:7], 0
	v_mov_b32_e32 v2, v12
	s_branch .LBB31_63
.LBB31_62:                              ;   in Loop: Header=BB31_63 Depth=2
	s_or_b64 exec, exec, s[8:9]
	v_add_u32_e32 v2, 0x80, v2
	v_cmp_le_u32_e32 vcc, s69, v2
	s_or_b64 s[6:7], vcc, s[6:7]
	s_andn2_b64 exec, exec, s[6:7]
	s_cbranch_execz .LBB31_2
.LBB31_63:                              ;   Parent Loop BB31_3 Depth=1
                                        ; =>  This Loop Header: Depth=2
                                        ;       Child Loop BB31_66 Depth 3
                                        ;       Child Loop BB31_69 Depth 3
	v_cmp_gt_i32_e32 vcc, s11, v2
	s_and_saveexec_b64 s[8:9], vcc
	s_cbranch_execz .LBB31_62
; %bb.64:                               ;   in Loop: Header=BB31_63 Depth=2
	v_ashrrev_i32_e32 v3, 31, v2
	v_lshlrev_b64 v[4:5], 2, v[2:3]
	v_mov_b32_e32 v0, s21
	v_add_co_u32_e32 v6, vcc, s20, v4
	v_addc_co_u32_e32 v7, vcc, v0, v5, vcc
	global_load_dword v0, v[6:7], off
	v_mov_b32_e32 v7, s23
	v_add_co_u32_e32 v6, vcc, s22, v4
	v_addc_co_u32_e32 v7, vcc, v7, v5, vcc
	global_load_dword v7, v[6:7], off
	s_waitcnt vmcnt(1)
	v_add_u32_e32 v6, v14, v0
	s_waitcnt vmcnt(0)
	v_subrev_u32_e32 v0, s67, v7
	v_cmp_lt_i32_e32 vcc, v6, v0
	s_and_saveexec_b64 s[46:47], vcc
	s_cbranch_execz .LBB31_67
; %bb.65:                               ;   in Loop: Header=BB31_63 Depth=2
	v_ashrrev_i32_e32 v7, 31, v6
	v_lshlrev_b64 v[9:10], 3, v[6:7]
	v_mov_b32_e32 v8, s35
	v_add_co_u32_e32 v7, vcc, s34, v9
	v_addc_co_u32_e32 v8, vcc, v8, v10, vcc
	v_mov_b32_e32 v11, s27
	v_add_co_u32_e32 v9, vcc, s26, v9
	v_addc_co_u32_e32 v10, vcc, v11, v10, vcc
	s_mov_b64 s[48:49], 0
.LBB31_66:                              ;   Parent Loop BB31_3 Depth=1
                                        ;     Parent Loop BB31_63 Depth=2
                                        ; =>    This Inner Loop Header: Depth=3
	global_load_dwordx2 v[17:18], v[7:8], off
	v_add_co_u32_e32 v7, vcc, 64, v7
	v_add_u32_e32 v6, 8, v6
	v_addc_co_u32_e32 v8, vcc, 0, v8, vcc
	v_cmp_ge_i32_e32 vcc, v6, v0
	s_or_b64 s[48:49], vcc, s[48:49]
	s_waitcnt vmcnt(0)
	global_store_dwordx2 v[9:10], v[17:18], off
	v_add_co_u32_e32 v9, vcc, 64, v9
	v_addc_co_u32_e32 v10, vcc, 0, v10, vcc
	s_andn2_b64 exec, exec, s[48:49]
	s_cbranch_execnz .LBB31_66
.LBB31_67:                              ;   in Loop: Header=BB31_63 Depth=2
	s_or_b64 exec, exec, s[46:47]
	v_mov_b32_e32 v0, s13
	v_add_co_u32_e32 v6, vcc, s12, v4
	v_addc_co_u32_e32 v7, vcc, v0, v5, vcc
	global_load_dword v0, v[6:7], off
	v_mov_b32_e32 v6, s15
	v_add_co_u32_e32 v4, vcc, s14, v4
	v_addc_co_u32_e32 v5, vcc, v6, v5, vcc
	global_load_dword v5, v[4:5], off
	s_waitcnt vmcnt(1)
	v_add_u32_e32 v4, v15, v0
	s_waitcnt vmcnt(0)
	v_subrev_u32_e32 v0, s68, v5
	v_cmp_lt_i32_e32 vcc, v4, v0
	s_and_saveexec_b64 s[46:47], vcc
	s_cbranch_execz .LBB31_70
; %bb.68:                               ;   in Loop: Header=BB31_63 Depth=2
	v_ashrrev_i32_e32 v5, 31, v4
	v_lshlrev_b64 v[7:8], 3, v[4:5]
	v_mov_b32_e32 v6, s45
	v_add_co_u32_e32 v5, vcc, s44, v7
	v_addc_co_u32_e32 v6, vcc, v6, v8, vcc
	v_mov_b32_e32 v9, s19
	v_add_co_u32_e32 v7, vcc, s18, v7
	v_addc_co_u32_e32 v8, vcc, v9, v8, vcc
	s_mov_b64 s[48:49], 0
.LBB31_69:                              ;   Parent Loop BB31_3 Depth=1
                                        ;     Parent Loop BB31_63 Depth=2
                                        ; =>    This Inner Loop Header: Depth=3
	global_load_dwordx2 v[9:10], v[5:6], off
	v_add_co_u32_e32 v5, vcc, 64, v5
	v_add_u32_e32 v4, 8, v4
	v_addc_co_u32_e32 v6, vcc, 0, v6, vcc
	v_cmp_ge_i32_e32 vcc, v4, v0
	s_or_b64 s[48:49], vcc, s[48:49]
	s_waitcnt vmcnt(0)
	global_store_dwordx2 v[7:8], v[9:10], off
	v_add_co_u32_e32 v7, vcc, 64, v7
	v_addc_co_u32_e32 v8, vcc, 0, v8, vcc
	s_andn2_b64 exec, exec, s[48:49]
	s_cbranch_execnz .LBB31_69
.LBB31_70:                              ;   in Loop: Header=BB31_63 Depth=2
	s_or_b64 exec, exec, s[46:47]
	s_and_b64 exec, exec, s[2:3]
	s_cbranch_execz .LBB31_62
; %bb.71:                               ;   in Loop: Header=BB31_63 Depth=2
	v_lshlrev_b64 v[3:4], 3, v[2:3]
	v_mov_b32_e32 v0, s31
	v_add_co_u32_e32 v5, vcc, s30, v3
	v_addc_co_u32_e32 v6, vcc, v0, v4, vcc
	global_load_dwordx2 v[5:6], v[5:6], off
	v_mov_b32_e32 v0, s29
	v_add_co_u32_e32 v3, vcc, s28, v3
	v_addc_co_u32_e32 v4, vcc, v0, v4, vcc
	s_waitcnt vmcnt(0)
	global_store_dwordx2 v[3:4], v[5:6], off
	s_branch .LBB31_62
.LBB31_72:
	s_endpgm
	.section	.rodata,"a",@progbits
	.p2align	6, 0x0
	.amdhsa_kernel _ZN9rocsparseL14kernel_freerunILi1024ELi8E21rocsparse_complex_numIfEiiEEvT3_S3_T2_PKS4_S6_PKS3_PKT1_21rocsparse_index_base_S6_S6_S8_PS9_SD_SC_S6_S6_S8_SD_SD_SC_SD_SD_
		.amdhsa_group_segment_fixed_size 0
		.amdhsa_private_segment_fixed_size 0
		.amdhsa_kernarg_size 168
		.amdhsa_user_sgpr_count 6
		.amdhsa_user_sgpr_private_segment_buffer 1
		.amdhsa_user_sgpr_dispatch_ptr 0
		.amdhsa_user_sgpr_queue_ptr 0
		.amdhsa_user_sgpr_kernarg_segment_ptr 1
		.amdhsa_user_sgpr_dispatch_id 0
		.amdhsa_user_sgpr_flat_scratch_init 0
		.amdhsa_user_sgpr_private_segment_size 0
		.amdhsa_uses_dynamic_stack 0
		.amdhsa_system_sgpr_private_segment_wavefront_offset 0
		.amdhsa_system_sgpr_workgroup_id_x 1
		.amdhsa_system_sgpr_workgroup_id_y 0
		.amdhsa_system_sgpr_workgroup_id_z 0
		.amdhsa_system_sgpr_workgroup_info 0
		.amdhsa_system_vgpr_workitem_id 0
		.amdhsa_next_free_vgpr 35
		.amdhsa_next_free_sgpr 76
		.amdhsa_reserve_vcc 1
		.amdhsa_reserve_flat_scratch 0
		.amdhsa_float_round_mode_32 0
		.amdhsa_float_round_mode_16_64 0
		.amdhsa_float_denorm_mode_32 3
		.amdhsa_float_denorm_mode_16_64 3
		.amdhsa_dx10_clamp 1
		.amdhsa_ieee_mode 1
		.amdhsa_fp16_overflow 0
		.amdhsa_exception_fp_ieee_invalid_op 0
		.amdhsa_exception_fp_denorm_src 0
		.amdhsa_exception_fp_ieee_div_zero 0
		.amdhsa_exception_fp_ieee_overflow 0
		.amdhsa_exception_fp_ieee_underflow 0
		.amdhsa_exception_fp_ieee_inexact 0
		.amdhsa_exception_int_div_zero 0
	.end_amdhsa_kernel
	.section	.text._ZN9rocsparseL14kernel_freerunILi1024ELi8E21rocsparse_complex_numIfEiiEEvT3_S3_T2_PKS4_S6_PKS3_PKT1_21rocsparse_index_base_S6_S6_S8_PS9_SD_SC_S6_S6_S8_SD_SD_SC_SD_SD_,"axG",@progbits,_ZN9rocsparseL14kernel_freerunILi1024ELi8E21rocsparse_complex_numIfEiiEEvT3_S3_T2_PKS4_S6_PKS3_PKT1_21rocsparse_index_base_S6_S6_S8_PS9_SD_SC_S6_S6_S8_SD_SD_SC_SD_SD_,comdat
.Lfunc_end31:
	.size	_ZN9rocsparseL14kernel_freerunILi1024ELi8E21rocsparse_complex_numIfEiiEEvT3_S3_T2_PKS4_S6_PKS3_PKT1_21rocsparse_index_base_S6_S6_S8_PS9_SD_SC_S6_S6_S8_SD_SD_SC_SD_SD_, .Lfunc_end31-_ZN9rocsparseL14kernel_freerunILi1024ELi8E21rocsparse_complex_numIfEiiEEvT3_S3_T2_PKS4_S6_PKS3_PKT1_21rocsparse_index_base_S6_S6_S8_PS9_SD_SC_S6_S6_S8_SD_SD_SC_SD_SD_
                                        ; -- End function
	.set _ZN9rocsparseL14kernel_freerunILi1024ELi8E21rocsparse_complex_numIfEiiEEvT3_S3_T2_PKS4_S6_PKS3_PKT1_21rocsparse_index_base_S6_S6_S8_PS9_SD_SC_S6_S6_S8_SD_SD_SC_SD_SD_.num_vgpr, 35
	.set _ZN9rocsparseL14kernel_freerunILi1024ELi8E21rocsparse_complex_numIfEiiEEvT3_S3_T2_PKS4_S6_PKS3_PKT1_21rocsparse_index_base_S6_S6_S8_PS9_SD_SC_S6_S6_S8_SD_SD_SC_SD_SD_.num_agpr, 0
	.set _ZN9rocsparseL14kernel_freerunILi1024ELi8E21rocsparse_complex_numIfEiiEEvT3_S3_T2_PKS4_S6_PKS3_PKT1_21rocsparse_index_base_S6_S6_S8_PS9_SD_SC_S6_S6_S8_SD_SD_SC_SD_SD_.numbered_sgpr, 76
	.set _ZN9rocsparseL14kernel_freerunILi1024ELi8E21rocsparse_complex_numIfEiiEEvT3_S3_T2_PKS4_S6_PKS3_PKT1_21rocsparse_index_base_S6_S6_S8_PS9_SD_SC_S6_S6_S8_SD_SD_SC_SD_SD_.num_named_barrier, 0
	.set _ZN9rocsparseL14kernel_freerunILi1024ELi8E21rocsparse_complex_numIfEiiEEvT3_S3_T2_PKS4_S6_PKS3_PKT1_21rocsparse_index_base_S6_S6_S8_PS9_SD_SC_S6_S6_S8_SD_SD_SC_SD_SD_.private_seg_size, 0
	.set _ZN9rocsparseL14kernel_freerunILi1024ELi8E21rocsparse_complex_numIfEiiEEvT3_S3_T2_PKS4_S6_PKS3_PKT1_21rocsparse_index_base_S6_S6_S8_PS9_SD_SC_S6_S6_S8_SD_SD_SC_SD_SD_.uses_vcc, 1
	.set _ZN9rocsparseL14kernel_freerunILi1024ELi8E21rocsparse_complex_numIfEiiEEvT3_S3_T2_PKS4_S6_PKS3_PKT1_21rocsparse_index_base_S6_S6_S8_PS9_SD_SC_S6_S6_S8_SD_SD_SC_SD_SD_.uses_flat_scratch, 0
	.set _ZN9rocsparseL14kernel_freerunILi1024ELi8E21rocsparse_complex_numIfEiiEEvT3_S3_T2_PKS4_S6_PKS3_PKT1_21rocsparse_index_base_S6_S6_S8_PS9_SD_SC_S6_S6_S8_SD_SD_SC_SD_SD_.has_dyn_sized_stack, 0
	.set _ZN9rocsparseL14kernel_freerunILi1024ELi8E21rocsparse_complex_numIfEiiEEvT3_S3_T2_PKS4_S6_PKS3_PKT1_21rocsparse_index_base_S6_S6_S8_PS9_SD_SC_S6_S6_S8_SD_SD_SC_SD_SD_.has_recursion, 0
	.set _ZN9rocsparseL14kernel_freerunILi1024ELi8E21rocsparse_complex_numIfEiiEEvT3_S3_T2_PKS4_S6_PKS3_PKT1_21rocsparse_index_base_S6_S6_S8_PS9_SD_SC_S6_S6_S8_SD_SD_SC_SD_SD_.has_indirect_call, 0
	.section	.AMDGPU.csdata,"",@progbits
; Kernel info:
; codeLenInByte = 3144
; TotalNumSgprs: 80
; NumVgprs: 35
; ScratchSize: 0
; MemoryBound: 0
; FloatMode: 240
; IeeeMode: 1
; LDSByteSize: 0 bytes/workgroup (compile time only)
; SGPRBlocks: 9
; VGPRBlocks: 8
; NumSGPRsForWavesPerEU: 80
; NumVGPRsForWavesPerEU: 35
; Occupancy: 7
; WaveLimiterHint : 1
; COMPUTE_PGM_RSRC2:SCRATCH_EN: 0
; COMPUTE_PGM_RSRC2:USER_SGPR: 6
; COMPUTE_PGM_RSRC2:TRAP_HANDLER: 0
; COMPUTE_PGM_RSRC2:TGID_X_EN: 1
; COMPUTE_PGM_RSRC2:TGID_Y_EN: 0
; COMPUTE_PGM_RSRC2:TGID_Z_EN: 0
; COMPUTE_PGM_RSRC2:TIDIG_COMP_CNT: 0
	.section	.text._ZN9rocsparseL14kernel_freerunILi1024ELi16E21rocsparse_complex_numIfEiiEEvT3_S3_T2_PKS4_S6_PKS3_PKT1_21rocsparse_index_base_S6_S6_S8_PS9_SD_SC_S6_S6_S8_SD_SD_SC_SD_SD_,"axG",@progbits,_ZN9rocsparseL14kernel_freerunILi1024ELi16E21rocsparse_complex_numIfEiiEEvT3_S3_T2_PKS4_S6_PKS3_PKT1_21rocsparse_index_base_S6_S6_S8_PS9_SD_SC_S6_S6_S8_SD_SD_SC_SD_SD_,comdat
	.globl	_ZN9rocsparseL14kernel_freerunILi1024ELi16E21rocsparse_complex_numIfEiiEEvT3_S3_T2_PKS4_S6_PKS3_PKT1_21rocsparse_index_base_S6_S6_S8_PS9_SD_SC_S6_S6_S8_SD_SD_SC_SD_SD_ ; -- Begin function _ZN9rocsparseL14kernel_freerunILi1024ELi16E21rocsparse_complex_numIfEiiEEvT3_S3_T2_PKS4_S6_PKS3_PKT1_21rocsparse_index_base_S6_S6_S8_PS9_SD_SC_S6_S6_S8_SD_SD_SC_SD_SD_
	.p2align	8
	.type	_ZN9rocsparseL14kernel_freerunILi1024ELi16E21rocsparse_complex_numIfEiiEEvT3_S3_T2_PKS4_S6_PKS3_PKT1_21rocsparse_index_base_S6_S6_S8_PS9_SD_SC_S6_S6_S8_SD_SD_SC_SD_SD_,@function
_ZN9rocsparseL14kernel_freerunILi1024ELi16E21rocsparse_complex_numIfEiiEEvT3_S3_T2_PKS4_S6_PKS3_PKT1_21rocsparse_index_base_S6_S6_S8_PS9_SD_SC_S6_S6_S8_SD_SD_SC_SD_SD_: ; @_ZN9rocsparseL14kernel_freerunILi1024ELi16E21rocsparse_complex_numIfEiiEEvT3_S3_T2_PKS4_S6_PKS3_PKT1_21rocsparse_index_base_S6_S6_S8_PS9_SD_SC_S6_S6_S8_SD_SD_SC_SD_SD_
; %bb.0:
	s_load_dwordx2 s[10:11], s[4:5], 0x0
	v_lshrrev_b32_e32 v1, 4, v0
	s_lshl_b32 s69, s6, 10
	v_or_b32_e32 v12, s69, v1
	s_mov_b32 s33, 0
	s_waitcnt lgkmcnt(0)
	s_cmp_gt_i32 s10, 0
	v_cmp_gt_i32_e32 vcc, s11, v12
	s_cselect_b64 s[0:1], -1, 0
	s_and_b64 s[0:1], vcc, s[0:1]
	s_and_saveexec_b64 s[2:3], s[0:1]
	s_cbranch_execz .LBB32_72
; %bb.1:
	s_load_dwordx4 s[28:31], s[4:5], 0x98
	s_load_dwordx8 s[12:19], s[4:5], 0x68
	s_load_dwordx8 s[20:27], s[4:5], 0x38
	;; [unrolled: 1-line block ×3, first 2 shown]
	s_load_dword s66, s[4:5], 0x30
	s_load_dwordx2 s[34:35], s[4:5], 0x58
	s_load_dword s67, s[4:5], 0x60
	s_load_dwordx2 s[44:45], s[4:5], 0x88
	s_load_dword s68, s[4:5], 0x90
	v_and_b32_e32 v0, 15, v0
	s_addk_i32 s69, 0x400
	s_waitcnt lgkmcnt(0)
	v_subrev_u32_e32 v13, s66, v0
	v_cmp_gt_u32_e64 s[0:1], s69, v12
	v_subrev_u32_e32 v14, s67, v0
	v_subrev_u32_e32 v15, s68, v0
	v_cmp_eq_u32_e64 s[2:3], 0, v0
	v_mov_b32_e32 v1, 0
	s_mov_b32 s70, 0xf800000
	v_mov_b32_e32 v16, 0x260
	s_movk_i32 s71, 0x1f8
	s_branch .LBB32_3
.LBB32_2:                               ;   in Loop: Header=BB32_3 Depth=1
	s_or_b64 exec, exec, s[4:5]
	s_add_i32 s33, s33, 1
	s_cmp_eq_u32 s33, s10
	s_cbranch_scc1 .LBB32_72
.LBB32_3:                               ; =>This Loop Header: Depth=1
                                        ;     Child Loop BB32_5 Depth 2
                                        ;       Child Loop BB32_9 Depth 3
                                        ;         Child Loop BB32_13 Depth 4
                                        ;         Child Loop BB32_43 Depth 4
	;; [unrolled: 1-line block ×3, first 2 shown]
                                        ;     Child Loop BB32_63 Depth 2
                                        ;       Child Loop BB32_66 Depth 3
                                        ;       Child Loop BB32_69 Depth 3
	s_mov_b32 s72, 0
	s_branch .LBB32_5
.LBB32_4:                               ;   in Loop: Header=BB32_5 Depth=2
	s_or_b64 exec, exec, s[46:47]
	s_add_i32 s72, s72, 1
	s_cmp_eq_u32 s72, 16
	s_cbranch_scc1 .LBB32_60
.LBB32_5:                               ;   Parent Loop BB32_3 Depth=1
                                        ; =>  This Loop Header: Depth=2
                                        ;       Child Loop BB32_9 Depth 3
                                        ;         Child Loop BB32_13 Depth 4
                                        ;         Child Loop BB32_43 Depth 4
	;; [unrolled: 1-line block ×3, first 2 shown]
	v_lshl_add_u32 v2, s72, 6, v12
	v_cmp_gt_i32_e32 vcc, s11, v2
	s_and_saveexec_b64 s[46:47], vcc
	s_cbranch_execz .LBB32_4
; %bb.6:                                ;   in Loop: Header=BB32_5 Depth=2
	v_ashrrev_i32_e32 v3, 31, v2
	v_lshlrev_b64 v[4:5], 2, v[2:3]
	v_mov_b32_e32 v0, s37
	v_add_co_u32_e32 v6, vcc, s36, v4
	v_addc_co_u32_e32 v7, vcc, v0, v5, vcc
	global_load_dword v0, v[6:7], off
	v_mov_b32_e32 v3, s39
	v_add_co_u32_e32 v6, vcc, s38, v4
	v_addc_co_u32_e32 v7, vcc, v3, v5, vcc
	global_load_dword v6, v[6:7], off
	s_waitcnt vmcnt(1)
	v_add_u32_e32 v3, v13, v0
	s_waitcnt vmcnt(0)
	v_subrev_u32_e32 v17, s66, v6
	v_cmp_lt_i32_e32 vcc, v3, v17
	s_and_b64 exec, exec, vcc
	s_cbranch_execz .LBB32_4
; %bb.7:                                ;   in Loop: Header=BB32_5 Depth=2
	v_mov_b32_e32 v0, s23
	v_add_co_u32_e32 v6, vcc, s22, v4
	v_addc_co_u32_e32 v7, vcc, v0, v5, vcc
	v_mov_b32_e32 v0, s21
	v_add_co_u32_e32 v4, vcc, s20, v4
	v_addc_co_u32_e32 v5, vcc, v0, v5, vcc
	global_load_dword v0, v[4:5], off
	s_nop 0
	global_load_dword v4, v[6:7], off
	v_mov_b32_e32 v11, s25
	v_mov_b32_e32 v22, s27
	s_mov_b64 s[48:49], 0
	s_waitcnt vmcnt(1)
	v_subrev_u32_e32 v5, s67, v0
	v_ashrrev_i32_e32 v6, 31, v5
	v_lshlrev_b64 v[7:8], 2, v[5:6]
	v_lshlrev_b64 v[9:10], 3, v[5:6]
	v_add_co_u32_e32 v19, vcc, s24, v7
	v_addc_co_u32_e32 v20, vcc, v11, v8, vcc
	s_waitcnt vmcnt(0)
	v_sub_u32_e32 v18, v4, v0
	v_add_co_u32_e32 v21, vcc, s26, v9
	v_cmp_lt_i32_e64 s[4:5], 0, v18
	v_addc_co_u32_e32 v22, vcc, v22, v10, vcc
	s_branch .LBB32_9
.LBB32_8:                               ;   in Loop: Header=BB32_9 Depth=3
	s_or_b64 exec, exec, s[8:9]
	v_add_u32_e32 v3, 16, v3
	v_cmp_ge_i32_e32 vcc, v3, v17
	s_or_b64 s[48:49], vcc, s[48:49]
	s_andn2_b64 exec, exec, s[48:49]
	s_cbranch_execz .LBB32_4
.LBB32_9:                               ;   Parent Loop BB32_3 Depth=1
                                        ;     Parent Loop BB32_5 Depth=2
                                        ; =>    This Loop Header: Depth=3
                                        ;         Child Loop BB32_13 Depth 4
                                        ;         Child Loop BB32_43 Depth 4
	;; [unrolled: 1-line block ×3, first 2 shown]
	v_ashrrev_i32_e32 v4, 31, v3
	v_lshlrev_b64 v[6:7], 2, v[3:4]
	v_mov_b32_e32 v0, s41
	v_add_co_u32_e32 v6, vcc, s40, v6
	v_addc_co_u32_e32 v7, vcc, v0, v7, vcc
	global_load_dword v0, v[6:7], off
	v_mov_b32_e32 v11, s13
	v_mov_b32_e32 v23, s15
	;; [unrolled: 1-line block ×3, first 2 shown]
	s_waitcnt vmcnt(0)
	v_subrev_u32_e32 v6, s66, v0
	v_ashrrev_i32_e32 v7, 31, v6
	v_lshlrev_b64 v[8:9], 2, v[6:7]
	v_mov_b32_e32 v0, 0
	v_add_co_u32_e32 v10, vcc, s12, v8
	v_addc_co_u32_e32 v11, vcc, v11, v9, vcc
	v_add_co_u32_e32 v8, vcc, s14, v8
	v_addc_co_u32_e32 v9, vcc, v23, v9, vcc
	global_load_dword v10, v[10:11], off
	s_nop 0
	global_load_dword v9, v[8:9], off
	v_mov_b32_e32 v11, 0
	s_waitcnt vmcnt(1)
	v_subrev_u32_e32 v8, s68, v10
	s_waitcnt vmcnt(0)
	v_sub_u32_e32 v23, v9, v10
	v_mov_b32_e32 v9, v0
	s_and_saveexec_b64 s[6:7], s[4:5]
	s_cbranch_execz .LBB32_17
; %bb.10:                               ;   in Loop: Header=BB32_9 Depth=3
	v_ashrrev_i32_e32 v9, 31, v8
	v_lshlrev_b64 v[10:11], 2, v[8:9]
	v_mov_b32_e32 v0, s17
	v_add_co_u32_e32 v24, vcc, s16, v10
	v_lshlrev_b64 v[9:10], 3, v[8:9]
	v_addc_co_u32_e32 v26, vcc, v0, v11, vcc
	v_mov_b32_e32 v0, s19
	v_add_co_u32_e32 v27, vcc, s18, v9
	v_mov_b32_e32 v9, 0
	v_addc_co_u32_e32 v28, vcc, v0, v10, vcc
	v_mov_b32_e32 v11, 0
	s_mov_b64 s[8:9], 0
	v_mov_b32_e32 v0, v9
	v_mov_b32_e32 v25, 0
                                        ; implicit-def: $sgpr50_sgpr51
	s_branch .LBB32_13
.LBB32_11:                              ;   in Loop: Header=BB32_13 Depth=4
	s_or_b64 exec, exec, s[54:55]
	v_cmp_le_i32_e32 vcc, v29, v30
	v_addc_co_u32_e32 v0, vcc, 0, v0, vcc
	v_cmp_ge_i32_e32 vcc, v29, v30
	v_addc_co_u32_e32 v9, vcc, 0, v9, vcc
	v_cmp_ge_i32_e32 vcc, v0, v18
	s_andn2_b64 s[50:51], s[50:51], exec
	s_and_b64 s[54:55], vcc, exec
	s_or_b64 s[50:51], s[50:51], s[54:55]
.LBB32_12:                              ;   in Loop: Header=BB32_13 Depth=4
	s_or_b64 exec, exec, s[52:53]
	s_and_b64 s[52:53], exec, s[50:51]
	s_or_b64 s[8:9], s[52:53], s[8:9]
	s_andn2_b64 exec, exec, s[8:9]
	s_cbranch_execz .LBB32_16
.LBB32_13:                              ;   Parent Loop BB32_3 Depth=1
                                        ;     Parent Loop BB32_5 Depth=2
                                        ;       Parent Loop BB32_9 Depth=3
                                        ; =>      This Inner Loop Header: Depth=4
	v_cmp_lt_i32_e32 vcc, v9, v23
	s_or_b64 s[50:51], s[50:51], exec
	s_and_saveexec_b64 s[52:53], vcc
	s_cbranch_execz .LBB32_12
; %bb.14:                               ;   in Loop: Header=BB32_13 Depth=4
	v_lshlrev_b64 v[29:30], 2, v[0:1]
	v_mov_b32_e32 v10, v1
	v_add_co_u32_e32 v29, vcc, v19, v29
	v_addc_co_u32_e32 v30, vcc, v20, v30, vcc
	global_load_dword v31, v[29:30], off
	v_lshlrev_b64 v[29:30], 2, v[9:10]
	v_add_co_u32_e32 v29, vcc, v24, v29
	v_addc_co_u32_e32 v30, vcc, v26, v30, vcc
	global_load_dword v30, v[29:30], off
	s_waitcnt vmcnt(1)
	v_subrev_u32_e32 v29, s67, v31
	s_waitcnt vmcnt(0)
	v_subrev_u32_e32 v30, s68, v30
	v_cmp_eq_u32_e32 vcc, v29, v30
	s_and_saveexec_b64 s[54:55], vcc
	s_cbranch_execz .LBB32_11
; %bb.15:                               ;   in Loop: Header=BB32_13 Depth=4
	v_lshlrev_b64 v[31:32], 3, v[0:1]
	v_lshlrev_b64 v[33:34], 3, v[9:10]
	v_add_co_u32_e32 v31, vcc, v21, v31
	v_addc_co_u32_e32 v32, vcc, v22, v32, vcc
	v_add_co_u32_e32 v33, vcc, v27, v33
	v_addc_co_u32_e32 v34, vcc, v28, v34, vcc
	global_load_dwordx2 v[31:32], v[31:32], off
	s_nop 0
	global_load_dwordx2 v[33:34], v[33:34], off
	s_waitcnt vmcnt(0)
	v_fmac_f32_e32 v11, v31, v33
	v_fmac_f32_e32 v25, v32, v33
	v_fma_f32 v11, -v32, v34, v11
	v_fmac_f32_e32 v25, v31, v34
	s_branch .LBB32_11
.LBB32_16:                              ;   in Loop: Header=BB32_9 Depth=3
	s_or_b64 exec, exec, s[8:9]
.LBB32_17:                              ;   in Loop: Header=BB32_9 Depth=3
	s_or_b64 exec, exec, s[6:7]
	v_lshlrev_b64 v[26:27], 3, v[3:4]
	v_mov_b32_e32 v4, s43
	v_add_co_u32_e32 v26, vcc, s42, v26
	v_addc_co_u32_e32 v27, vcc, v4, v27, vcc
	global_load_dwordx2 v[26:27], v[26:27], off
	v_cmp_le_i32_e64 s[6:7], v2, v6
	v_cmp_gt_i32_e32 vcc, v2, v6
	s_waitcnt vmcnt(0)
	v_sub_f32_e32 v24, v26, v11
	v_sub_f32_e32 v4, v27, v25
	s_and_saveexec_b64 s[50:51], vcc
	s_cbranch_execz .LBB32_27
; %bb.18:                               ;   in Loop: Header=BB32_9 Depth=3
	v_lshlrev_b64 v[10:11], 3, v[6:7]
	v_mov_b32_e32 v25, s29
	v_add_co_u32_e32 v10, vcc, s28, v10
	v_addc_co_u32_e32 v11, vcc, v25, v11, vcc
	global_load_dwordx2 v[10:11], v[10:11], off
                                        ; implicit-def: $vgpr27
	s_waitcnt vmcnt(0)
	v_cmp_gt_f32_e32 vcc, 0, v10
	v_cndmask_b32_e64 v25, v10, -v10, vcc
	v_cmp_gt_f32_e32 vcc, 0, v11
	v_cndmask_b32_e64 v26, v11, -v11, vcc
	v_cmp_ngt_f32_e32 vcc, v25, v26
	s_and_saveexec_b64 s[8:9], vcc
	s_xor_b64 s[52:53], exec, s[8:9]
	s_cbranch_execz .LBB32_22
; %bb.19:                               ;   in Loop: Header=BB32_9 Depth=3
	v_mov_b32_e32 v27, 0
	v_cmp_neq_f32_e32 vcc, 0, v11
	s_and_saveexec_b64 s[54:55], vcc
	s_cbranch_execz .LBB32_21
; %bb.20:                               ;   in Loop: Header=BB32_9 Depth=3
	v_div_scale_f32 v27, s[8:9], v26, v26, v25
	v_div_scale_f32 v28, vcc, v25, v26, v25
	v_rcp_f32_e32 v29, v27
	v_fma_f32 v30, -v27, v29, 1.0
	v_fmac_f32_e32 v29, v30, v29
	v_mul_f32_e32 v30, v28, v29
	v_fma_f32 v31, -v27, v30, v28
	v_fmac_f32_e32 v30, v31, v29
	v_fma_f32 v27, -v27, v30, v28
	v_div_fmas_f32 v27, v27, v29, v30
	v_div_fixup_f32 v25, v27, v26, v25
	v_fma_f32 v25, v25, v25, 1.0
	v_mul_f32_e32 v27, 0x4f800000, v25
	v_cmp_gt_f32_e32 vcc, s70, v25
	v_cndmask_b32_e32 v25, v25, v27, vcc
	v_sqrt_f32_e32 v27, v25
	v_add_u32_e32 v28, -1, v27
	v_add_u32_e32 v29, 1, v27
	v_fma_f32 v30, -v28, v27, v25
	v_fma_f32 v31, -v29, v27, v25
	v_cmp_ge_f32_e64 s[8:9], 0, v30
	v_cndmask_b32_e64 v27, v27, v28, s[8:9]
	v_cmp_lt_f32_e64 s[8:9], 0, v31
	v_cndmask_b32_e64 v27, v27, v29, s[8:9]
	v_mul_f32_e32 v28, 0x37800000, v27
	v_cndmask_b32_e32 v27, v27, v28, vcc
	v_cmp_class_f32_e32 vcc, v25, v16
	v_cndmask_b32_e32 v25, v27, v25, vcc
	v_mul_f32_e32 v27, v26, v25
.LBB32_21:                              ;   in Loop: Header=BB32_9 Depth=3
	s_or_b64 exec, exec, s[54:55]
                                        ; implicit-def: $vgpr25
                                        ; implicit-def: $vgpr26
.LBB32_22:                              ;   in Loop: Header=BB32_9 Depth=3
	s_andn2_saveexec_b64 s[52:53], s[52:53]
	s_cbranch_execz .LBB32_24
; %bb.23:                               ;   in Loop: Header=BB32_9 Depth=3
	v_div_scale_f32 v27, s[8:9], v25, v25, v26
	v_div_scale_f32 v28, vcc, v26, v25, v26
	v_rcp_f32_e32 v29, v27
	v_fma_f32 v30, -v27, v29, 1.0
	v_fmac_f32_e32 v29, v30, v29
	v_mul_f32_e32 v30, v28, v29
	v_fma_f32 v31, -v27, v30, v28
	v_fmac_f32_e32 v30, v31, v29
	v_fma_f32 v27, -v27, v30, v28
	v_div_fmas_f32 v27, v27, v29, v30
	v_div_fixup_f32 v26, v27, v25, v26
	v_fma_f32 v26, v26, v26, 1.0
	v_mul_f32_e32 v27, 0x4f800000, v26
	v_cmp_gt_f32_e32 vcc, s70, v26
	v_cndmask_b32_e32 v26, v26, v27, vcc
	v_sqrt_f32_e32 v27, v26
	v_add_u32_e32 v28, -1, v27
	v_add_u32_e32 v29, 1, v27
	v_fma_f32 v30, -v28, v27, v26
	v_fma_f32 v31, -v29, v27, v26
	v_cmp_ge_f32_e64 s[8:9], 0, v30
	v_cndmask_b32_e64 v27, v27, v28, s[8:9]
	v_cmp_lt_f32_e64 s[8:9], 0, v31
	v_cndmask_b32_e64 v27, v27, v29, s[8:9]
	v_mul_f32_e32 v28, 0x37800000, v27
	v_cndmask_b32_e32 v27, v27, v28, vcc
	v_cmp_class_f32_e32 vcc, v26, v16
	v_cndmask_b32_e32 v26, v27, v26, vcc
	v_mul_f32_e32 v27, v25, v26
.LBB32_24:                              ;   in Loop: Header=BB32_9 Depth=3
	s_or_b64 exec, exec, s[52:53]
	v_mov_b32_e32 v25, 0
	v_cmp_lt_f32_e32 vcc, 0, v27
	v_mov_b32_e32 v26, 0
	s_and_saveexec_b64 s[8:9], vcc
	s_cbranch_execz .LBB32_26
; %bb.25:                               ;   in Loop: Header=BB32_9 Depth=3
	v_mul_f32_e32 v25, v11, v11
	v_fmac_f32_e32 v25, v10, v10
	v_div_scale_f32 v26, s[52:53], v25, v25, 1.0
	v_div_scale_f32 v27, vcc, 1.0, v25, 1.0
	v_rcp_f32_e32 v28, v26
	v_fma_f32 v29, -v26, v28, 1.0
	v_fmac_f32_e32 v28, v29, v28
	v_mul_f32_e32 v29, v27, v28
	v_fma_f32 v30, -v26, v29, v27
	v_fmac_f32_e32 v29, v30, v28
	v_fma_f32 v26, -v26, v29, v27
	v_div_fmas_f32 v26, v26, v28, v29
	v_mul_f32_e32 v27, v4, v11
	v_mul_f32_e64 v11, v11, -v24
	v_fmac_f32_e32 v27, v24, v10
	v_fmac_f32_e32 v11, v4, v10
	v_div_fixup_f32 v4, v26, v25, 1.0
	v_mul_f32_e32 v25, v27, v4
	v_mul_f32_e32 v26, v11, v4
.LBB32_26:                              ;   in Loop: Header=BB32_9 Depth=3
	s_or_b64 exec, exec, s[8:9]
	v_mov_b32_e32 v24, v25
	v_mov_b32_e32 v4, v26
.LBB32_27:                              ;   in Loop: Header=BB32_9 Depth=3
	s_or_b64 exec, exec, s[50:51]
	v_cmp_gt_f32_e32 vcc, 0, v24
	v_cndmask_b32_e64 v10, v24, -v24, vcc
	v_cmp_gt_f32_e32 vcc, 0, v4
	v_cndmask_b32_e64 v11, v4, -v4, vcc
	v_cmp_ngt_f32_e32 vcc, v10, v11
                                        ; implicit-def: $vgpr25
	s_and_saveexec_b64 s[8:9], vcc
	s_xor_b64 s[50:51], exec, s[8:9]
	s_cbranch_execnz .LBB32_30
; %bb.28:                               ;   in Loop: Header=BB32_9 Depth=3
	s_andn2_saveexec_b64 s[50:51], s[50:51]
	s_cbranch_execnz .LBB32_33
.LBB32_29:                              ;   in Loop: Header=BB32_9 Depth=3
	s_or_b64 exec, exec, s[50:51]
	v_cmp_class_f32_e64 s[50:51], v25, s71
	s_and_saveexec_b64 s[8:9], s[50:51]
	s_cbranch_execz .LBB32_8
	s_branch .LBB32_34
.LBB32_30:                              ;   in Loop: Header=BB32_9 Depth=3
	v_mov_b32_e32 v25, 0
	v_cmp_neq_f32_e32 vcc, 0, v4
	s_and_saveexec_b64 s[52:53], vcc
	s_cbranch_execz .LBB32_32
; %bb.31:                               ;   in Loop: Header=BB32_9 Depth=3
	v_div_scale_f32 v25, s[8:9], v11, v11, v10
	v_div_scale_f32 v26, vcc, v10, v11, v10
	v_rcp_f32_e32 v27, v25
	v_fma_f32 v28, -v25, v27, 1.0
	v_fmac_f32_e32 v27, v28, v27
	v_mul_f32_e32 v28, v26, v27
	v_fma_f32 v29, -v25, v28, v26
	v_fmac_f32_e32 v28, v29, v27
	v_fma_f32 v25, -v25, v28, v26
	v_div_fmas_f32 v25, v25, v27, v28
	v_div_fixup_f32 v10, v25, v11, v10
	v_fma_f32 v10, v10, v10, 1.0
	v_mul_f32_e32 v25, 0x4f800000, v10
	v_cmp_gt_f32_e32 vcc, s70, v10
	v_cndmask_b32_e32 v10, v10, v25, vcc
	v_sqrt_f32_e32 v25, v10
	v_add_u32_e32 v26, -1, v25
	v_add_u32_e32 v27, 1, v25
	v_fma_f32 v28, -v26, v25, v10
	v_fma_f32 v29, -v27, v25, v10
	v_cmp_ge_f32_e64 s[8:9], 0, v28
	v_cndmask_b32_e64 v25, v25, v26, s[8:9]
	v_cmp_lt_f32_e64 s[8:9], 0, v29
	v_cndmask_b32_e64 v25, v25, v27, s[8:9]
	v_mul_f32_e32 v26, 0x37800000, v25
	v_cndmask_b32_e32 v25, v25, v26, vcc
	v_cmp_class_f32_e32 vcc, v10, v16
	v_cndmask_b32_e32 v10, v25, v10, vcc
	v_mul_f32_e32 v25, v11, v10
.LBB32_32:                              ;   in Loop: Header=BB32_9 Depth=3
	s_or_b64 exec, exec, s[52:53]
                                        ; implicit-def: $vgpr10
                                        ; implicit-def: $vgpr11
	s_andn2_saveexec_b64 s[50:51], s[50:51]
	s_cbranch_execz .LBB32_29
.LBB32_33:                              ;   in Loop: Header=BB32_9 Depth=3
	v_div_scale_f32 v25, s[8:9], v10, v10, v11
	v_div_scale_f32 v26, vcc, v11, v10, v11
	v_rcp_f32_e32 v27, v25
	v_fma_f32 v28, -v25, v27, 1.0
	v_fmac_f32_e32 v27, v28, v27
	v_mul_f32_e32 v28, v26, v27
	v_fma_f32 v29, -v25, v28, v26
	v_fmac_f32_e32 v28, v29, v27
	v_fma_f32 v25, -v25, v28, v26
	v_div_fmas_f32 v25, v25, v27, v28
	v_div_fixup_f32 v11, v25, v10, v11
	v_fma_f32 v11, v11, v11, 1.0
	v_mul_f32_e32 v25, 0x4f800000, v11
	v_cmp_gt_f32_e32 vcc, s70, v11
	v_cndmask_b32_e32 v11, v11, v25, vcc
	v_sqrt_f32_e32 v25, v11
	v_add_u32_e32 v26, -1, v25
	v_add_u32_e32 v27, 1, v25
	v_fma_f32 v28, -v26, v25, v11
	v_fma_f32 v29, -v27, v25, v11
	v_cmp_ge_f32_e64 s[8:9], 0, v28
	v_cndmask_b32_e64 v25, v25, v26, s[8:9]
	v_cmp_lt_f32_e64 s[8:9], 0, v29
	v_cndmask_b32_e64 v25, v25, v27, s[8:9]
	v_mul_f32_e32 v26, 0x37800000, v25
	v_cndmask_b32_e32 v25, v25, v26, vcc
	v_cmp_class_f32_e32 vcc, v11, v16
	v_cndmask_b32_e32 v11, v25, v11, vcc
	v_mul_f32_e32 v25, v10, v11
	s_or_b64 exec, exec, s[50:51]
	v_cmp_class_f32_e64 s[50:51], v25, s71
	s_and_saveexec_b64 s[8:9], s[50:51]
	s_cbranch_execz .LBB32_8
.LBB32_34:                              ;   in Loop: Header=BB32_9 Depth=3
	s_mov_b64 s[50:51], 0
                                        ; implicit-def: $vgpr10_vgpr11
	s_and_saveexec_b64 s[52:53], s[6:7]
	s_xor_b64 s[6:7], exec, s[52:53]
	s_cbranch_execnz .LBB32_37
; %bb.35:                               ;   in Loop: Header=BB32_9 Depth=3
	s_andn2_saveexec_b64 s[6:7], s[6:7]
	s_cbranch_execnz .LBB32_50
.LBB32_36:                              ;   in Loop: Header=BB32_9 Depth=3
	s_or_b64 exec, exec, s[6:7]
	s_and_b64 exec, exec, s[50:51]
	s_cbranch_execz .LBB32_8
	s_branch .LBB32_59
.LBB32_37:                              ;   in Loop: Header=BB32_9 Depth=3
	v_cmp_ge_i32_e32 vcc, v2, v6
                                        ; implicit-def: $vgpr10_vgpr11
	s_and_saveexec_b64 s[52:53], vcc
	s_xor_b64 s[52:53], exec, s[52:53]
	s_cbranch_execz .LBB32_39
; %bb.38:                               ;   in Loop: Header=BB32_9 Depth=3
	v_lshlrev_b64 v[6:7], 3, v[6:7]
	v_mov_b32_e32 v0, s31
	v_add_co_u32_e32 v10, vcc, s30, v6
	v_addc_co_u32_e32 v11, vcc, v0, v7, vcc
	s_mov_b64 s[50:51], exec
	global_store_dword v[10:11], v24, off
                                        ; implicit-def: $vgpr9
                                        ; implicit-def: $vgpr23
                                        ; implicit-def: $vgpr24
                                        ; implicit-def: $vgpr8
.LBB32_39:                              ;   in Loop: Header=BB32_9 Depth=3
	s_andn2_saveexec_b64 s[52:53], s[52:53]
	s_cbranch_execz .LBB32_49
; %bb.40:                               ;   in Loop: Header=BB32_9 Depth=3
	v_cmp_lt_i32_e32 vcc, v9, v23
	s_mov_b64 s[56:57], s[50:51]
                                        ; implicit-def: $vgpr10_vgpr11
	s_and_saveexec_b64 s[54:55], vcc
	s_cbranch_execz .LBB32_48
; %bb.41:                               ;   in Loop: Header=BB32_9 Depth=3
	s_mov_b64 s[58:59], 0
                                        ; implicit-def: $sgpr56_sgpr57
                                        ; implicit-def: $sgpr62_sgpr63
                                        ; implicit-def: $sgpr60_sgpr61
	s_branch .LBB32_43
.LBB32_42:                              ;   in Loop: Header=BB32_43 Depth=4
	s_or_b64 exec, exec, s[64:65]
	s_and_b64 s[64:65], exec, s[62:63]
	s_or_b64 s[58:59], s[64:65], s[58:59]
	s_andn2_b64 s[56:57], s[56:57], exec
	s_and_b64 s[64:65], s[60:61], exec
	s_or_b64 s[56:57], s[56:57], s[64:65]
	s_andn2_b64 exec, exec, s[58:59]
	s_cbranch_execz .LBB32_45
.LBB32_43:                              ;   Parent Loop BB32_3 Depth=1
                                        ;     Parent Loop BB32_5 Depth=2
                                        ;       Parent Loop BB32_9 Depth=3
                                        ; =>      This Inner Loop Header: Depth=4
	v_add_u32_e32 v6, v8, v9
	v_ashrrev_i32_e32 v7, 31, v6
	v_lshlrev_b64 v[10:11], 2, v[6:7]
	v_mov_b32_e32 v0, s17
	v_add_co_u32_e32 v10, vcc, s16, v10
	v_addc_co_u32_e32 v11, vcc, v0, v11, vcc
	global_load_dword v0, v[10:11], off
	s_or_b64 s[60:61], s[60:61], exec
	s_or_b64 s[62:63], s[62:63], exec
	s_waitcnt vmcnt(0)
	v_subrev_u32_e32 v0, s68, v0
	v_cmp_ne_u32_e32 vcc, v0, v2
	s_and_saveexec_b64 s[64:65], vcc
	s_cbranch_execz .LBB32_42
; %bb.44:                               ;   in Loop: Header=BB32_43 Depth=4
	v_add_u32_e32 v9, 1, v9
	v_cmp_ge_i32_e32 vcc, v9, v23
	s_andn2_b64 s[62:63], s[62:63], exec
	s_and_b64 s[74:75], vcc, exec
	s_andn2_b64 s[60:61], s[60:61], exec
	s_or_b64 s[62:63], s[62:63], s[74:75]
	s_branch .LBB32_42
.LBB32_45:                              ;   in Loop: Header=BB32_9 Depth=3
	s_or_b64 exec, exec, s[58:59]
	s_mov_b64 s[58:59], s[50:51]
                                        ; implicit-def: $vgpr10_vgpr11
	s_and_saveexec_b64 s[60:61], s[56:57]
	s_xor_b64 s[56:57], exec, s[60:61]
	s_cbranch_execz .LBB32_47
; %bb.46:                               ;   in Loop: Header=BB32_9 Depth=3
	v_lshlrev_b64 v[6:7], 3, v[6:7]
	v_mov_b32_e32 v0, s45
	v_add_co_u32_e32 v10, vcc, s44, v6
	v_addc_co_u32_e32 v11, vcc, v0, v7, vcc
	s_or_b64 s[58:59], s[50:51], exec
	global_store_dword v[10:11], v24, off
.LBB32_47:                              ;   in Loop: Header=BB32_9 Depth=3
	s_or_b64 exec, exec, s[56:57]
	s_andn2_b64 s[56:57], s[50:51], exec
	s_and_b64 s[58:59], s[58:59], exec
	s_or_b64 s[56:57], s[56:57], s[58:59]
.LBB32_48:                              ;   in Loop: Header=BB32_9 Depth=3
	s_or_b64 exec, exec, s[54:55]
	s_andn2_b64 s[50:51], s[50:51], exec
	s_and_b64 s[54:55], s[56:57], exec
	s_or_b64 s[50:51], s[50:51], s[54:55]
.LBB32_49:                              ;   in Loop: Header=BB32_9 Depth=3
	s_or_b64 exec, exec, s[52:53]
	s_and_b64 s[50:51], s[50:51], exec
                                        ; implicit-def: $vgpr24
                                        ; implicit-def: $vgpr6_vgpr7
	s_andn2_saveexec_b64 s[6:7], s[6:7]
	s_cbranch_execz .LBB32_36
.LBB32_50:                              ;   in Loop: Header=BB32_9 Depth=3
	v_cmp_lt_i32_e32 vcc, v0, v18
	s_mov_b64 s[54:55], s[50:51]
                                        ; implicit-def: $vgpr10_vgpr11
	s_and_saveexec_b64 s[52:53], vcc
	s_cbranch_execz .LBB32_58
; %bb.51:                               ;   in Loop: Header=BB32_9 Depth=3
	s_mov_b64 s[56:57], 0
                                        ; implicit-def: $sgpr54_sgpr55
                                        ; implicit-def: $sgpr60_sgpr61
                                        ; implicit-def: $sgpr58_sgpr59
	s_branch .LBB32_53
.LBB32_52:                              ;   in Loop: Header=BB32_53 Depth=4
	s_or_b64 exec, exec, s[62:63]
	s_and_b64 s[62:63], exec, s[60:61]
	s_or_b64 s[56:57], s[62:63], s[56:57]
	s_andn2_b64 s[54:55], s[54:55], exec
	s_and_b64 s[62:63], s[58:59], exec
	s_or_b64 s[54:55], s[54:55], s[62:63]
	s_andn2_b64 exec, exec, s[56:57]
	s_cbranch_execz .LBB32_55
.LBB32_53:                              ;   Parent Loop BB32_3 Depth=1
                                        ;     Parent Loop BB32_5 Depth=2
                                        ;       Parent Loop BB32_9 Depth=3
                                        ; =>      This Inner Loop Header: Depth=4
	v_add_u32_e32 v7, v5, v0
	v_ashrrev_i32_e32 v8, 31, v7
	v_lshlrev_b64 v[9:10], 2, v[7:8]
	v_mov_b32_e32 v11, s25
	v_add_co_u32_e32 v9, vcc, s24, v9
	v_addc_co_u32_e32 v10, vcc, v11, v10, vcc
	global_load_dword v9, v[9:10], off
	s_or_b64 s[58:59], s[58:59], exec
	s_or_b64 s[60:61], s[60:61], exec
	s_waitcnt vmcnt(0)
	v_subrev_u32_e32 v9, s67, v9
	v_cmp_ne_u32_e32 vcc, v9, v6
	s_and_saveexec_b64 s[62:63], vcc
	s_cbranch_execz .LBB32_52
; %bb.54:                               ;   in Loop: Header=BB32_53 Depth=4
	v_add_u32_e32 v0, 1, v0
	v_cmp_ge_i32_e32 vcc, v0, v18
	s_andn2_b64 s[60:61], s[60:61], exec
	s_and_b64 s[64:65], vcc, exec
	s_andn2_b64 s[58:59], s[58:59], exec
	s_or_b64 s[60:61], s[60:61], s[64:65]
	s_branch .LBB32_52
.LBB32_55:                              ;   in Loop: Header=BB32_9 Depth=3
	s_or_b64 exec, exec, s[56:57]
	s_mov_b64 s[56:57], s[50:51]
                                        ; implicit-def: $vgpr10_vgpr11
	s_and_saveexec_b64 s[58:59], s[54:55]
	s_xor_b64 s[54:55], exec, s[58:59]
	s_cbranch_execz .LBB32_57
; %bb.56:                               ;   in Loop: Header=BB32_9 Depth=3
	v_lshlrev_b64 v[6:7], 3, v[7:8]
	v_mov_b32_e32 v0, s35
	v_add_co_u32_e32 v10, vcc, s34, v6
	v_addc_co_u32_e32 v11, vcc, v0, v7, vcc
	s_or_b64 s[56:57], s[50:51], exec
	global_store_dword v[10:11], v24, off
.LBB32_57:                              ;   in Loop: Header=BB32_9 Depth=3
	s_or_b64 exec, exec, s[54:55]
	s_andn2_b64 s[54:55], s[50:51], exec
	s_and_b64 s[56:57], s[56:57], exec
	s_or_b64 s[54:55], s[54:55], s[56:57]
.LBB32_58:                              ;   in Loop: Header=BB32_9 Depth=3
	s_or_b64 exec, exec, s[52:53]
	s_andn2_b64 s[50:51], s[50:51], exec
	s_and_b64 s[52:53], s[54:55], exec
	s_or_b64 s[50:51], s[50:51], s[52:53]
	s_or_b64 exec, exec, s[6:7]
	s_and_b64 exec, exec, s[50:51]
	s_cbranch_execz .LBB32_8
.LBB32_59:                              ;   in Loop: Header=BB32_9 Depth=3
	global_store_dword v[10:11], v4, off offset:4
	s_branch .LBB32_8
.LBB32_60:                              ;   in Loop: Header=BB32_3 Depth=1
	s_and_saveexec_b64 s[4:5], s[0:1]
	s_cbranch_execz .LBB32_2
; %bb.61:                               ;   in Loop: Header=BB32_3 Depth=1
	s_mov_b64 s[6:7], 0
	v_mov_b32_e32 v2, v12
	s_branch .LBB32_63
.LBB32_62:                              ;   in Loop: Header=BB32_63 Depth=2
	s_or_b64 exec, exec, s[8:9]
	v_add_u32_e32 v2, 64, v2
	v_cmp_le_u32_e32 vcc, s69, v2
	s_or_b64 s[6:7], vcc, s[6:7]
	s_andn2_b64 exec, exec, s[6:7]
	s_cbranch_execz .LBB32_2
.LBB32_63:                              ;   Parent Loop BB32_3 Depth=1
                                        ; =>  This Loop Header: Depth=2
                                        ;       Child Loop BB32_66 Depth 3
                                        ;       Child Loop BB32_69 Depth 3
	v_cmp_gt_i32_e32 vcc, s11, v2
	s_and_saveexec_b64 s[8:9], vcc
	s_cbranch_execz .LBB32_62
; %bb.64:                               ;   in Loop: Header=BB32_63 Depth=2
	v_ashrrev_i32_e32 v3, 31, v2
	v_lshlrev_b64 v[4:5], 2, v[2:3]
	v_mov_b32_e32 v0, s21
	v_add_co_u32_e32 v6, vcc, s20, v4
	v_addc_co_u32_e32 v7, vcc, v0, v5, vcc
	global_load_dword v0, v[6:7], off
	v_mov_b32_e32 v7, s23
	v_add_co_u32_e32 v6, vcc, s22, v4
	v_addc_co_u32_e32 v7, vcc, v7, v5, vcc
	global_load_dword v7, v[6:7], off
	s_waitcnt vmcnt(1)
	v_add_u32_e32 v6, v14, v0
	s_waitcnt vmcnt(0)
	v_subrev_u32_e32 v0, s67, v7
	v_cmp_lt_i32_e32 vcc, v6, v0
	s_and_saveexec_b64 s[46:47], vcc
	s_cbranch_execz .LBB32_67
; %bb.65:                               ;   in Loop: Header=BB32_63 Depth=2
	v_ashrrev_i32_e32 v7, 31, v6
	v_lshlrev_b64 v[9:10], 3, v[6:7]
	v_mov_b32_e32 v8, s35
	v_add_co_u32_e32 v7, vcc, s34, v9
	v_addc_co_u32_e32 v8, vcc, v8, v10, vcc
	v_mov_b32_e32 v11, s27
	v_add_co_u32_e32 v9, vcc, s26, v9
	v_addc_co_u32_e32 v10, vcc, v11, v10, vcc
	s_mov_b64 s[48:49], 0
.LBB32_66:                              ;   Parent Loop BB32_3 Depth=1
                                        ;     Parent Loop BB32_63 Depth=2
                                        ; =>    This Inner Loop Header: Depth=3
	global_load_dwordx2 v[17:18], v[7:8], off
	v_add_co_u32_e32 v7, vcc, 0x80, v7
	v_add_u32_e32 v6, 16, v6
	v_addc_co_u32_e32 v8, vcc, 0, v8, vcc
	v_cmp_ge_i32_e32 vcc, v6, v0
	s_or_b64 s[48:49], vcc, s[48:49]
	s_waitcnt vmcnt(0)
	global_store_dwordx2 v[9:10], v[17:18], off
	v_add_co_u32_e32 v9, vcc, 0x80, v9
	v_addc_co_u32_e32 v10, vcc, 0, v10, vcc
	s_andn2_b64 exec, exec, s[48:49]
	s_cbranch_execnz .LBB32_66
.LBB32_67:                              ;   in Loop: Header=BB32_63 Depth=2
	s_or_b64 exec, exec, s[46:47]
	v_mov_b32_e32 v0, s13
	v_add_co_u32_e32 v6, vcc, s12, v4
	v_addc_co_u32_e32 v7, vcc, v0, v5, vcc
	global_load_dword v0, v[6:7], off
	v_mov_b32_e32 v6, s15
	v_add_co_u32_e32 v4, vcc, s14, v4
	v_addc_co_u32_e32 v5, vcc, v6, v5, vcc
	global_load_dword v5, v[4:5], off
	s_waitcnt vmcnt(1)
	v_add_u32_e32 v4, v15, v0
	s_waitcnt vmcnt(0)
	v_subrev_u32_e32 v0, s68, v5
	v_cmp_lt_i32_e32 vcc, v4, v0
	s_and_saveexec_b64 s[46:47], vcc
	s_cbranch_execz .LBB32_70
; %bb.68:                               ;   in Loop: Header=BB32_63 Depth=2
	v_ashrrev_i32_e32 v5, 31, v4
	v_lshlrev_b64 v[7:8], 3, v[4:5]
	v_mov_b32_e32 v6, s45
	v_add_co_u32_e32 v5, vcc, s44, v7
	v_addc_co_u32_e32 v6, vcc, v6, v8, vcc
	v_mov_b32_e32 v9, s19
	v_add_co_u32_e32 v7, vcc, s18, v7
	v_addc_co_u32_e32 v8, vcc, v9, v8, vcc
	s_mov_b64 s[48:49], 0
.LBB32_69:                              ;   Parent Loop BB32_3 Depth=1
                                        ;     Parent Loop BB32_63 Depth=2
                                        ; =>    This Inner Loop Header: Depth=3
	global_load_dwordx2 v[9:10], v[5:6], off
	v_add_co_u32_e32 v5, vcc, 0x80, v5
	v_add_u32_e32 v4, 16, v4
	v_addc_co_u32_e32 v6, vcc, 0, v6, vcc
	v_cmp_ge_i32_e32 vcc, v4, v0
	s_or_b64 s[48:49], vcc, s[48:49]
	s_waitcnt vmcnt(0)
	global_store_dwordx2 v[7:8], v[9:10], off
	v_add_co_u32_e32 v7, vcc, 0x80, v7
	v_addc_co_u32_e32 v8, vcc, 0, v8, vcc
	s_andn2_b64 exec, exec, s[48:49]
	s_cbranch_execnz .LBB32_69
.LBB32_70:                              ;   in Loop: Header=BB32_63 Depth=2
	s_or_b64 exec, exec, s[46:47]
	s_and_b64 exec, exec, s[2:3]
	s_cbranch_execz .LBB32_62
; %bb.71:                               ;   in Loop: Header=BB32_63 Depth=2
	v_lshlrev_b64 v[3:4], 3, v[2:3]
	v_mov_b32_e32 v0, s31
	v_add_co_u32_e32 v5, vcc, s30, v3
	v_addc_co_u32_e32 v6, vcc, v0, v4, vcc
	global_load_dwordx2 v[5:6], v[5:6], off
	v_mov_b32_e32 v0, s29
	v_add_co_u32_e32 v3, vcc, s28, v3
	v_addc_co_u32_e32 v4, vcc, v0, v4, vcc
	s_waitcnt vmcnt(0)
	global_store_dwordx2 v[3:4], v[5:6], off
	s_branch .LBB32_62
.LBB32_72:
	s_endpgm
	.section	.rodata,"a",@progbits
	.p2align	6, 0x0
	.amdhsa_kernel _ZN9rocsparseL14kernel_freerunILi1024ELi16E21rocsparse_complex_numIfEiiEEvT3_S3_T2_PKS4_S6_PKS3_PKT1_21rocsparse_index_base_S6_S6_S8_PS9_SD_SC_S6_S6_S8_SD_SD_SC_SD_SD_
		.amdhsa_group_segment_fixed_size 0
		.amdhsa_private_segment_fixed_size 0
		.amdhsa_kernarg_size 168
		.amdhsa_user_sgpr_count 6
		.amdhsa_user_sgpr_private_segment_buffer 1
		.amdhsa_user_sgpr_dispatch_ptr 0
		.amdhsa_user_sgpr_queue_ptr 0
		.amdhsa_user_sgpr_kernarg_segment_ptr 1
		.amdhsa_user_sgpr_dispatch_id 0
		.amdhsa_user_sgpr_flat_scratch_init 0
		.amdhsa_user_sgpr_private_segment_size 0
		.amdhsa_uses_dynamic_stack 0
		.amdhsa_system_sgpr_private_segment_wavefront_offset 0
		.amdhsa_system_sgpr_workgroup_id_x 1
		.amdhsa_system_sgpr_workgroup_id_y 0
		.amdhsa_system_sgpr_workgroup_id_z 0
		.amdhsa_system_sgpr_workgroup_info 0
		.amdhsa_system_vgpr_workitem_id 0
		.amdhsa_next_free_vgpr 35
		.amdhsa_next_free_sgpr 76
		.amdhsa_reserve_vcc 1
		.amdhsa_reserve_flat_scratch 0
		.amdhsa_float_round_mode_32 0
		.amdhsa_float_round_mode_16_64 0
		.amdhsa_float_denorm_mode_32 3
		.amdhsa_float_denorm_mode_16_64 3
		.amdhsa_dx10_clamp 1
		.amdhsa_ieee_mode 1
		.amdhsa_fp16_overflow 0
		.amdhsa_exception_fp_ieee_invalid_op 0
		.amdhsa_exception_fp_denorm_src 0
		.amdhsa_exception_fp_ieee_div_zero 0
		.amdhsa_exception_fp_ieee_overflow 0
		.amdhsa_exception_fp_ieee_underflow 0
		.amdhsa_exception_fp_ieee_inexact 0
		.amdhsa_exception_int_div_zero 0
	.end_amdhsa_kernel
	.section	.text._ZN9rocsparseL14kernel_freerunILi1024ELi16E21rocsparse_complex_numIfEiiEEvT3_S3_T2_PKS4_S6_PKS3_PKT1_21rocsparse_index_base_S6_S6_S8_PS9_SD_SC_S6_S6_S8_SD_SD_SC_SD_SD_,"axG",@progbits,_ZN9rocsparseL14kernel_freerunILi1024ELi16E21rocsparse_complex_numIfEiiEEvT3_S3_T2_PKS4_S6_PKS3_PKT1_21rocsparse_index_base_S6_S6_S8_PS9_SD_SC_S6_S6_S8_SD_SD_SC_SD_SD_,comdat
.Lfunc_end32:
	.size	_ZN9rocsparseL14kernel_freerunILi1024ELi16E21rocsparse_complex_numIfEiiEEvT3_S3_T2_PKS4_S6_PKS3_PKT1_21rocsparse_index_base_S6_S6_S8_PS9_SD_SC_S6_S6_S8_SD_SD_SC_SD_SD_, .Lfunc_end32-_ZN9rocsparseL14kernel_freerunILi1024ELi16E21rocsparse_complex_numIfEiiEEvT3_S3_T2_PKS4_S6_PKS3_PKT1_21rocsparse_index_base_S6_S6_S8_PS9_SD_SC_S6_S6_S8_SD_SD_SC_SD_SD_
                                        ; -- End function
	.set _ZN9rocsparseL14kernel_freerunILi1024ELi16E21rocsparse_complex_numIfEiiEEvT3_S3_T2_PKS4_S6_PKS3_PKT1_21rocsparse_index_base_S6_S6_S8_PS9_SD_SC_S6_S6_S8_SD_SD_SC_SD_SD_.num_vgpr, 35
	.set _ZN9rocsparseL14kernel_freerunILi1024ELi16E21rocsparse_complex_numIfEiiEEvT3_S3_T2_PKS4_S6_PKS3_PKT1_21rocsparse_index_base_S6_S6_S8_PS9_SD_SC_S6_S6_S8_SD_SD_SC_SD_SD_.num_agpr, 0
	.set _ZN9rocsparseL14kernel_freerunILi1024ELi16E21rocsparse_complex_numIfEiiEEvT3_S3_T2_PKS4_S6_PKS3_PKT1_21rocsparse_index_base_S6_S6_S8_PS9_SD_SC_S6_S6_S8_SD_SD_SC_SD_SD_.numbered_sgpr, 76
	.set _ZN9rocsparseL14kernel_freerunILi1024ELi16E21rocsparse_complex_numIfEiiEEvT3_S3_T2_PKS4_S6_PKS3_PKT1_21rocsparse_index_base_S6_S6_S8_PS9_SD_SC_S6_S6_S8_SD_SD_SC_SD_SD_.num_named_barrier, 0
	.set _ZN9rocsparseL14kernel_freerunILi1024ELi16E21rocsparse_complex_numIfEiiEEvT3_S3_T2_PKS4_S6_PKS3_PKT1_21rocsparse_index_base_S6_S6_S8_PS9_SD_SC_S6_S6_S8_SD_SD_SC_SD_SD_.private_seg_size, 0
	.set _ZN9rocsparseL14kernel_freerunILi1024ELi16E21rocsparse_complex_numIfEiiEEvT3_S3_T2_PKS4_S6_PKS3_PKT1_21rocsparse_index_base_S6_S6_S8_PS9_SD_SC_S6_S6_S8_SD_SD_SC_SD_SD_.uses_vcc, 1
	.set _ZN9rocsparseL14kernel_freerunILi1024ELi16E21rocsparse_complex_numIfEiiEEvT3_S3_T2_PKS4_S6_PKS3_PKT1_21rocsparse_index_base_S6_S6_S8_PS9_SD_SC_S6_S6_S8_SD_SD_SC_SD_SD_.uses_flat_scratch, 0
	.set _ZN9rocsparseL14kernel_freerunILi1024ELi16E21rocsparse_complex_numIfEiiEEvT3_S3_T2_PKS4_S6_PKS3_PKT1_21rocsparse_index_base_S6_S6_S8_PS9_SD_SC_S6_S6_S8_SD_SD_SC_SD_SD_.has_dyn_sized_stack, 0
	.set _ZN9rocsparseL14kernel_freerunILi1024ELi16E21rocsparse_complex_numIfEiiEEvT3_S3_T2_PKS4_S6_PKS3_PKT1_21rocsparse_index_base_S6_S6_S8_PS9_SD_SC_S6_S6_S8_SD_SD_SC_SD_SD_.has_recursion, 0
	.set _ZN9rocsparseL14kernel_freerunILi1024ELi16E21rocsparse_complex_numIfEiiEEvT3_S3_T2_PKS4_S6_PKS3_PKT1_21rocsparse_index_base_S6_S6_S8_PS9_SD_SC_S6_S6_S8_SD_SD_SC_SD_SD_.has_indirect_call, 0
	.section	.AMDGPU.csdata,"",@progbits
; Kernel info:
; codeLenInByte = 3156
; TotalNumSgprs: 80
; NumVgprs: 35
; ScratchSize: 0
; MemoryBound: 0
; FloatMode: 240
; IeeeMode: 1
; LDSByteSize: 0 bytes/workgroup (compile time only)
; SGPRBlocks: 9
; VGPRBlocks: 8
; NumSGPRsForWavesPerEU: 80
; NumVGPRsForWavesPerEU: 35
; Occupancy: 7
; WaveLimiterHint : 1
; COMPUTE_PGM_RSRC2:SCRATCH_EN: 0
; COMPUTE_PGM_RSRC2:USER_SGPR: 6
; COMPUTE_PGM_RSRC2:TRAP_HANDLER: 0
; COMPUTE_PGM_RSRC2:TGID_X_EN: 1
; COMPUTE_PGM_RSRC2:TGID_Y_EN: 0
; COMPUTE_PGM_RSRC2:TGID_Z_EN: 0
; COMPUTE_PGM_RSRC2:TIDIG_COMP_CNT: 0
	.section	.text._ZN9rocsparseL14kernel_freerunILi1024ELi32E21rocsparse_complex_numIfEiiEEvT3_S3_T2_PKS4_S6_PKS3_PKT1_21rocsparse_index_base_S6_S6_S8_PS9_SD_SC_S6_S6_S8_SD_SD_SC_SD_SD_,"axG",@progbits,_ZN9rocsparseL14kernel_freerunILi1024ELi32E21rocsparse_complex_numIfEiiEEvT3_S3_T2_PKS4_S6_PKS3_PKT1_21rocsparse_index_base_S6_S6_S8_PS9_SD_SC_S6_S6_S8_SD_SD_SC_SD_SD_,comdat
	.globl	_ZN9rocsparseL14kernel_freerunILi1024ELi32E21rocsparse_complex_numIfEiiEEvT3_S3_T2_PKS4_S6_PKS3_PKT1_21rocsparse_index_base_S6_S6_S8_PS9_SD_SC_S6_S6_S8_SD_SD_SC_SD_SD_ ; -- Begin function _ZN9rocsparseL14kernel_freerunILi1024ELi32E21rocsparse_complex_numIfEiiEEvT3_S3_T2_PKS4_S6_PKS3_PKT1_21rocsparse_index_base_S6_S6_S8_PS9_SD_SC_S6_S6_S8_SD_SD_SC_SD_SD_
	.p2align	8
	.type	_ZN9rocsparseL14kernel_freerunILi1024ELi32E21rocsparse_complex_numIfEiiEEvT3_S3_T2_PKS4_S6_PKS3_PKT1_21rocsparse_index_base_S6_S6_S8_PS9_SD_SC_S6_S6_S8_SD_SD_SC_SD_SD_,@function
_ZN9rocsparseL14kernel_freerunILi1024ELi32E21rocsparse_complex_numIfEiiEEvT3_S3_T2_PKS4_S6_PKS3_PKT1_21rocsparse_index_base_S6_S6_S8_PS9_SD_SC_S6_S6_S8_SD_SD_SC_SD_SD_: ; @_ZN9rocsparseL14kernel_freerunILi1024ELi32E21rocsparse_complex_numIfEiiEEvT3_S3_T2_PKS4_S6_PKS3_PKT1_21rocsparse_index_base_S6_S6_S8_PS9_SD_SC_S6_S6_S8_SD_SD_SC_SD_SD_
; %bb.0:
	s_load_dwordx2 s[10:11], s[4:5], 0x0
	v_lshrrev_b32_e32 v1, 5, v0
	s_lshl_b32 s69, s6, 10
	v_or_b32_e32 v12, s69, v1
	s_mov_b32 s33, 0
	s_waitcnt lgkmcnt(0)
	s_cmp_gt_i32 s10, 0
	v_cmp_gt_i32_e32 vcc, s11, v12
	s_cselect_b64 s[0:1], -1, 0
	s_and_b64 s[0:1], vcc, s[0:1]
	s_and_saveexec_b64 s[2:3], s[0:1]
	s_cbranch_execz .LBB33_72
; %bb.1:
	s_load_dwordx4 s[28:31], s[4:5], 0x98
	s_load_dwordx8 s[12:19], s[4:5], 0x68
	s_load_dwordx8 s[20:27], s[4:5], 0x38
	;; [unrolled: 1-line block ×3, first 2 shown]
	s_load_dword s66, s[4:5], 0x30
	s_load_dwordx2 s[34:35], s[4:5], 0x58
	s_load_dword s67, s[4:5], 0x60
	s_load_dwordx2 s[44:45], s[4:5], 0x88
	s_load_dword s68, s[4:5], 0x90
	v_and_b32_e32 v0, 31, v0
	s_addk_i32 s69, 0x400
	s_waitcnt lgkmcnt(0)
	v_subrev_u32_e32 v13, s66, v0
	v_cmp_gt_u32_e64 s[0:1], s69, v12
	v_subrev_u32_e32 v14, s67, v0
	v_subrev_u32_e32 v15, s68, v0
	v_cmp_eq_u32_e64 s[2:3], 0, v0
	v_mov_b32_e32 v1, 0
	s_mov_b32 s70, 0xf800000
	v_mov_b32_e32 v16, 0x260
	s_movk_i32 s71, 0x1f8
	s_branch .LBB33_3
.LBB33_2:                               ;   in Loop: Header=BB33_3 Depth=1
	s_or_b64 exec, exec, s[4:5]
	s_add_i32 s33, s33, 1
	s_cmp_eq_u32 s33, s10
	s_cbranch_scc1 .LBB33_72
.LBB33_3:                               ; =>This Loop Header: Depth=1
                                        ;     Child Loop BB33_5 Depth 2
                                        ;       Child Loop BB33_9 Depth 3
                                        ;         Child Loop BB33_13 Depth 4
                                        ;         Child Loop BB33_43 Depth 4
	;; [unrolled: 1-line block ×3, first 2 shown]
                                        ;     Child Loop BB33_63 Depth 2
                                        ;       Child Loop BB33_66 Depth 3
                                        ;       Child Loop BB33_69 Depth 3
	s_mov_b32 s72, 0
	s_branch .LBB33_5
.LBB33_4:                               ;   in Loop: Header=BB33_5 Depth=2
	s_or_b64 exec, exec, s[46:47]
	s_add_i32 s72, s72, 1
	s_cmp_eq_u32 s72, 32
	s_cbranch_scc1 .LBB33_60
.LBB33_5:                               ;   Parent Loop BB33_3 Depth=1
                                        ; =>  This Loop Header: Depth=2
                                        ;       Child Loop BB33_9 Depth 3
                                        ;         Child Loop BB33_13 Depth 4
                                        ;         Child Loop BB33_43 Depth 4
                                        ;         Child Loop BB33_53 Depth 4
	v_lshl_add_u32 v2, s72, 5, v12
	v_cmp_gt_i32_e32 vcc, s11, v2
	s_and_saveexec_b64 s[46:47], vcc
	s_cbranch_execz .LBB33_4
; %bb.6:                                ;   in Loop: Header=BB33_5 Depth=2
	v_ashrrev_i32_e32 v3, 31, v2
	v_lshlrev_b64 v[4:5], 2, v[2:3]
	v_mov_b32_e32 v0, s37
	v_add_co_u32_e32 v6, vcc, s36, v4
	v_addc_co_u32_e32 v7, vcc, v0, v5, vcc
	global_load_dword v0, v[6:7], off
	v_mov_b32_e32 v3, s39
	v_add_co_u32_e32 v6, vcc, s38, v4
	v_addc_co_u32_e32 v7, vcc, v3, v5, vcc
	global_load_dword v6, v[6:7], off
	s_waitcnt vmcnt(1)
	v_add_u32_e32 v3, v13, v0
	s_waitcnt vmcnt(0)
	v_subrev_u32_e32 v17, s66, v6
	v_cmp_lt_i32_e32 vcc, v3, v17
	s_and_b64 exec, exec, vcc
	s_cbranch_execz .LBB33_4
; %bb.7:                                ;   in Loop: Header=BB33_5 Depth=2
	v_mov_b32_e32 v0, s23
	v_add_co_u32_e32 v6, vcc, s22, v4
	v_addc_co_u32_e32 v7, vcc, v0, v5, vcc
	v_mov_b32_e32 v0, s21
	v_add_co_u32_e32 v4, vcc, s20, v4
	v_addc_co_u32_e32 v5, vcc, v0, v5, vcc
	global_load_dword v0, v[4:5], off
	s_nop 0
	global_load_dword v4, v[6:7], off
	v_mov_b32_e32 v11, s25
	v_mov_b32_e32 v22, s27
	s_mov_b64 s[48:49], 0
	s_waitcnt vmcnt(1)
	v_subrev_u32_e32 v5, s67, v0
	v_ashrrev_i32_e32 v6, 31, v5
	v_lshlrev_b64 v[7:8], 2, v[5:6]
	v_lshlrev_b64 v[9:10], 3, v[5:6]
	v_add_co_u32_e32 v19, vcc, s24, v7
	v_addc_co_u32_e32 v20, vcc, v11, v8, vcc
	s_waitcnt vmcnt(0)
	v_sub_u32_e32 v18, v4, v0
	v_add_co_u32_e32 v21, vcc, s26, v9
	v_cmp_lt_i32_e64 s[4:5], 0, v18
	v_addc_co_u32_e32 v22, vcc, v22, v10, vcc
	s_branch .LBB33_9
.LBB33_8:                               ;   in Loop: Header=BB33_9 Depth=3
	s_or_b64 exec, exec, s[8:9]
	v_add_u32_e32 v3, 32, v3
	v_cmp_ge_i32_e32 vcc, v3, v17
	s_or_b64 s[48:49], vcc, s[48:49]
	s_andn2_b64 exec, exec, s[48:49]
	s_cbranch_execz .LBB33_4
.LBB33_9:                               ;   Parent Loop BB33_3 Depth=1
                                        ;     Parent Loop BB33_5 Depth=2
                                        ; =>    This Loop Header: Depth=3
                                        ;         Child Loop BB33_13 Depth 4
                                        ;         Child Loop BB33_43 Depth 4
	;; [unrolled: 1-line block ×3, first 2 shown]
	v_ashrrev_i32_e32 v4, 31, v3
	v_lshlrev_b64 v[6:7], 2, v[3:4]
	v_mov_b32_e32 v0, s41
	v_add_co_u32_e32 v6, vcc, s40, v6
	v_addc_co_u32_e32 v7, vcc, v0, v7, vcc
	global_load_dword v0, v[6:7], off
	v_mov_b32_e32 v11, s13
	v_mov_b32_e32 v23, s15
	;; [unrolled: 1-line block ×3, first 2 shown]
	s_waitcnt vmcnt(0)
	v_subrev_u32_e32 v6, s66, v0
	v_ashrrev_i32_e32 v7, 31, v6
	v_lshlrev_b64 v[8:9], 2, v[6:7]
	v_mov_b32_e32 v0, 0
	v_add_co_u32_e32 v10, vcc, s12, v8
	v_addc_co_u32_e32 v11, vcc, v11, v9, vcc
	v_add_co_u32_e32 v8, vcc, s14, v8
	v_addc_co_u32_e32 v9, vcc, v23, v9, vcc
	global_load_dword v10, v[10:11], off
	s_nop 0
	global_load_dword v9, v[8:9], off
	v_mov_b32_e32 v11, 0
	s_waitcnt vmcnt(1)
	v_subrev_u32_e32 v8, s68, v10
	s_waitcnt vmcnt(0)
	v_sub_u32_e32 v23, v9, v10
	v_mov_b32_e32 v9, v0
	s_and_saveexec_b64 s[6:7], s[4:5]
	s_cbranch_execz .LBB33_17
; %bb.10:                               ;   in Loop: Header=BB33_9 Depth=3
	v_ashrrev_i32_e32 v9, 31, v8
	v_lshlrev_b64 v[10:11], 2, v[8:9]
	v_mov_b32_e32 v0, s17
	v_add_co_u32_e32 v24, vcc, s16, v10
	v_lshlrev_b64 v[9:10], 3, v[8:9]
	v_addc_co_u32_e32 v26, vcc, v0, v11, vcc
	v_mov_b32_e32 v0, s19
	v_add_co_u32_e32 v27, vcc, s18, v9
	v_mov_b32_e32 v9, 0
	v_addc_co_u32_e32 v28, vcc, v0, v10, vcc
	v_mov_b32_e32 v11, 0
	s_mov_b64 s[8:9], 0
	v_mov_b32_e32 v0, v9
	v_mov_b32_e32 v25, 0
                                        ; implicit-def: $sgpr50_sgpr51
	s_branch .LBB33_13
.LBB33_11:                              ;   in Loop: Header=BB33_13 Depth=4
	s_or_b64 exec, exec, s[54:55]
	v_cmp_le_i32_e32 vcc, v29, v30
	v_addc_co_u32_e32 v0, vcc, 0, v0, vcc
	v_cmp_ge_i32_e32 vcc, v29, v30
	v_addc_co_u32_e32 v9, vcc, 0, v9, vcc
	v_cmp_ge_i32_e32 vcc, v0, v18
	s_andn2_b64 s[50:51], s[50:51], exec
	s_and_b64 s[54:55], vcc, exec
	s_or_b64 s[50:51], s[50:51], s[54:55]
.LBB33_12:                              ;   in Loop: Header=BB33_13 Depth=4
	s_or_b64 exec, exec, s[52:53]
	s_and_b64 s[52:53], exec, s[50:51]
	s_or_b64 s[8:9], s[52:53], s[8:9]
	s_andn2_b64 exec, exec, s[8:9]
	s_cbranch_execz .LBB33_16
.LBB33_13:                              ;   Parent Loop BB33_3 Depth=1
                                        ;     Parent Loop BB33_5 Depth=2
                                        ;       Parent Loop BB33_9 Depth=3
                                        ; =>      This Inner Loop Header: Depth=4
	v_cmp_lt_i32_e32 vcc, v9, v23
	s_or_b64 s[50:51], s[50:51], exec
	s_and_saveexec_b64 s[52:53], vcc
	s_cbranch_execz .LBB33_12
; %bb.14:                               ;   in Loop: Header=BB33_13 Depth=4
	v_lshlrev_b64 v[29:30], 2, v[0:1]
	v_mov_b32_e32 v10, v1
	v_add_co_u32_e32 v29, vcc, v19, v29
	v_addc_co_u32_e32 v30, vcc, v20, v30, vcc
	global_load_dword v31, v[29:30], off
	v_lshlrev_b64 v[29:30], 2, v[9:10]
	v_add_co_u32_e32 v29, vcc, v24, v29
	v_addc_co_u32_e32 v30, vcc, v26, v30, vcc
	global_load_dword v30, v[29:30], off
	s_waitcnt vmcnt(1)
	v_subrev_u32_e32 v29, s67, v31
	s_waitcnt vmcnt(0)
	v_subrev_u32_e32 v30, s68, v30
	v_cmp_eq_u32_e32 vcc, v29, v30
	s_and_saveexec_b64 s[54:55], vcc
	s_cbranch_execz .LBB33_11
; %bb.15:                               ;   in Loop: Header=BB33_13 Depth=4
	v_lshlrev_b64 v[31:32], 3, v[0:1]
	v_lshlrev_b64 v[33:34], 3, v[9:10]
	v_add_co_u32_e32 v31, vcc, v21, v31
	v_addc_co_u32_e32 v32, vcc, v22, v32, vcc
	v_add_co_u32_e32 v33, vcc, v27, v33
	v_addc_co_u32_e32 v34, vcc, v28, v34, vcc
	global_load_dwordx2 v[31:32], v[31:32], off
	s_nop 0
	global_load_dwordx2 v[33:34], v[33:34], off
	s_waitcnt vmcnt(0)
	v_fmac_f32_e32 v11, v31, v33
	v_fmac_f32_e32 v25, v32, v33
	v_fma_f32 v11, -v32, v34, v11
	v_fmac_f32_e32 v25, v31, v34
	s_branch .LBB33_11
.LBB33_16:                              ;   in Loop: Header=BB33_9 Depth=3
	s_or_b64 exec, exec, s[8:9]
.LBB33_17:                              ;   in Loop: Header=BB33_9 Depth=3
	s_or_b64 exec, exec, s[6:7]
	v_lshlrev_b64 v[26:27], 3, v[3:4]
	v_mov_b32_e32 v4, s43
	v_add_co_u32_e32 v26, vcc, s42, v26
	v_addc_co_u32_e32 v27, vcc, v4, v27, vcc
	global_load_dwordx2 v[26:27], v[26:27], off
	v_cmp_le_i32_e64 s[6:7], v2, v6
	v_cmp_gt_i32_e32 vcc, v2, v6
	s_waitcnt vmcnt(0)
	v_sub_f32_e32 v24, v26, v11
	v_sub_f32_e32 v4, v27, v25
	s_and_saveexec_b64 s[50:51], vcc
	s_cbranch_execz .LBB33_27
; %bb.18:                               ;   in Loop: Header=BB33_9 Depth=3
	v_lshlrev_b64 v[10:11], 3, v[6:7]
	v_mov_b32_e32 v25, s29
	v_add_co_u32_e32 v10, vcc, s28, v10
	v_addc_co_u32_e32 v11, vcc, v25, v11, vcc
	global_load_dwordx2 v[10:11], v[10:11], off
                                        ; implicit-def: $vgpr27
	s_waitcnt vmcnt(0)
	v_cmp_gt_f32_e32 vcc, 0, v10
	v_cndmask_b32_e64 v25, v10, -v10, vcc
	v_cmp_gt_f32_e32 vcc, 0, v11
	v_cndmask_b32_e64 v26, v11, -v11, vcc
	v_cmp_ngt_f32_e32 vcc, v25, v26
	s_and_saveexec_b64 s[8:9], vcc
	s_xor_b64 s[52:53], exec, s[8:9]
	s_cbranch_execz .LBB33_22
; %bb.19:                               ;   in Loop: Header=BB33_9 Depth=3
	v_mov_b32_e32 v27, 0
	v_cmp_neq_f32_e32 vcc, 0, v11
	s_and_saveexec_b64 s[54:55], vcc
	s_cbranch_execz .LBB33_21
; %bb.20:                               ;   in Loop: Header=BB33_9 Depth=3
	v_div_scale_f32 v27, s[8:9], v26, v26, v25
	v_div_scale_f32 v28, vcc, v25, v26, v25
	v_rcp_f32_e32 v29, v27
	v_fma_f32 v30, -v27, v29, 1.0
	v_fmac_f32_e32 v29, v30, v29
	v_mul_f32_e32 v30, v28, v29
	v_fma_f32 v31, -v27, v30, v28
	v_fmac_f32_e32 v30, v31, v29
	v_fma_f32 v27, -v27, v30, v28
	v_div_fmas_f32 v27, v27, v29, v30
	v_div_fixup_f32 v25, v27, v26, v25
	v_fma_f32 v25, v25, v25, 1.0
	v_mul_f32_e32 v27, 0x4f800000, v25
	v_cmp_gt_f32_e32 vcc, s70, v25
	v_cndmask_b32_e32 v25, v25, v27, vcc
	v_sqrt_f32_e32 v27, v25
	v_add_u32_e32 v28, -1, v27
	v_add_u32_e32 v29, 1, v27
	v_fma_f32 v30, -v28, v27, v25
	v_fma_f32 v31, -v29, v27, v25
	v_cmp_ge_f32_e64 s[8:9], 0, v30
	v_cndmask_b32_e64 v27, v27, v28, s[8:9]
	v_cmp_lt_f32_e64 s[8:9], 0, v31
	v_cndmask_b32_e64 v27, v27, v29, s[8:9]
	v_mul_f32_e32 v28, 0x37800000, v27
	v_cndmask_b32_e32 v27, v27, v28, vcc
	v_cmp_class_f32_e32 vcc, v25, v16
	v_cndmask_b32_e32 v25, v27, v25, vcc
	v_mul_f32_e32 v27, v26, v25
.LBB33_21:                              ;   in Loop: Header=BB33_9 Depth=3
	s_or_b64 exec, exec, s[54:55]
                                        ; implicit-def: $vgpr25
                                        ; implicit-def: $vgpr26
.LBB33_22:                              ;   in Loop: Header=BB33_9 Depth=3
	s_andn2_saveexec_b64 s[52:53], s[52:53]
	s_cbranch_execz .LBB33_24
; %bb.23:                               ;   in Loop: Header=BB33_9 Depth=3
	v_div_scale_f32 v27, s[8:9], v25, v25, v26
	v_div_scale_f32 v28, vcc, v26, v25, v26
	v_rcp_f32_e32 v29, v27
	v_fma_f32 v30, -v27, v29, 1.0
	v_fmac_f32_e32 v29, v30, v29
	v_mul_f32_e32 v30, v28, v29
	v_fma_f32 v31, -v27, v30, v28
	v_fmac_f32_e32 v30, v31, v29
	v_fma_f32 v27, -v27, v30, v28
	v_div_fmas_f32 v27, v27, v29, v30
	v_div_fixup_f32 v26, v27, v25, v26
	v_fma_f32 v26, v26, v26, 1.0
	v_mul_f32_e32 v27, 0x4f800000, v26
	v_cmp_gt_f32_e32 vcc, s70, v26
	v_cndmask_b32_e32 v26, v26, v27, vcc
	v_sqrt_f32_e32 v27, v26
	v_add_u32_e32 v28, -1, v27
	v_add_u32_e32 v29, 1, v27
	v_fma_f32 v30, -v28, v27, v26
	v_fma_f32 v31, -v29, v27, v26
	v_cmp_ge_f32_e64 s[8:9], 0, v30
	v_cndmask_b32_e64 v27, v27, v28, s[8:9]
	v_cmp_lt_f32_e64 s[8:9], 0, v31
	v_cndmask_b32_e64 v27, v27, v29, s[8:9]
	v_mul_f32_e32 v28, 0x37800000, v27
	v_cndmask_b32_e32 v27, v27, v28, vcc
	v_cmp_class_f32_e32 vcc, v26, v16
	v_cndmask_b32_e32 v26, v27, v26, vcc
	v_mul_f32_e32 v27, v25, v26
.LBB33_24:                              ;   in Loop: Header=BB33_9 Depth=3
	s_or_b64 exec, exec, s[52:53]
	v_mov_b32_e32 v25, 0
	v_cmp_lt_f32_e32 vcc, 0, v27
	v_mov_b32_e32 v26, 0
	s_and_saveexec_b64 s[8:9], vcc
	s_cbranch_execz .LBB33_26
; %bb.25:                               ;   in Loop: Header=BB33_9 Depth=3
	v_mul_f32_e32 v25, v11, v11
	v_fmac_f32_e32 v25, v10, v10
	v_div_scale_f32 v26, s[52:53], v25, v25, 1.0
	v_div_scale_f32 v27, vcc, 1.0, v25, 1.0
	v_rcp_f32_e32 v28, v26
	v_fma_f32 v29, -v26, v28, 1.0
	v_fmac_f32_e32 v28, v29, v28
	v_mul_f32_e32 v29, v27, v28
	v_fma_f32 v30, -v26, v29, v27
	v_fmac_f32_e32 v29, v30, v28
	v_fma_f32 v26, -v26, v29, v27
	v_div_fmas_f32 v26, v26, v28, v29
	v_mul_f32_e32 v27, v4, v11
	v_mul_f32_e64 v11, v11, -v24
	v_fmac_f32_e32 v27, v24, v10
	v_fmac_f32_e32 v11, v4, v10
	v_div_fixup_f32 v4, v26, v25, 1.0
	v_mul_f32_e32 v25, v27, v4
	v_mul_f32_e32 v26, v11, v4
.LBB33_26:                              ;   in Loop: Header=BB33_9 Depth=3
	s_or_b64 exec, exec, s[8:9]
	v_mov_b32_e32 v24, v25
	v_mov_b32_e32 v4, v26
.LBB33_27:                              ;   in Loop: Header=BB33_9 Depth=3
	s_or_b64 exec, exec, s[50:51]
	v_cmp_gt_f32_e32 vcc, 0, v24
	v_cndmask_b32_e64 v10, v24, -v24, vcc
	v_cmp_gt_f32_e32 vcc, 0, v4
	v_cndmask_b32_e64 v11, v4, -v4, vcc
	v_cmp_ngt_f32_e32 vcc, v10, v11
                                        ; implicit-def: $vgpr25
	s_and_saveexec_b64 s[8:9], vcc
	s_xor_b64 s[50:51], exec, s[8:9]
	s_cbranch_execnz .LBB33_30
; %bb.28:                               ;   in Loop: Header=BB33_9 Depth=3
	s_andn2_saveexec_b64 s[50:51], s[50:51]
	s_cbranch_execnz .LBB33_33
.LBB33_29:                              ;   in Loop: Header=BB33_9 Depth=3
	s_or_b64 exec, exec, s[50:51]
	v_cmp_class_f32_e64 s[50:51], v25, s71
	s_and_saveexec_b64 s[8:9], s[50:51]
	s_cbranch_execz .LBB33_8
	s_branch .LBB33_34
.LBB33_30:                              ;   in Loop: Header=BB33_9 Depth=3
	v_mov_b32_e32 v25, 0
	v_cmp_neq_f32_e32 vcc, 0, v4
	s_and_saveexec_b64 s[52:53], vcc
	s_cbranch_execz .LBB33_32
; %bb.31:                               ;   in Loop: Header=BB33_9 Depth=3
	v_div_scale_f32 v25, s[8:9], v11, v11, v10
	v_div_scale_f32 v26, vcc, v10, v11, v10
	v_rcp_f32_e32 v27, v25
	v_fma_f32 v28, -v25, v27, 1.0
	v_fmac_f32_e32 v27, v28, v27
	v_mul_f32_e32 v28, v26, v27
	v_fma_f32 v29, -v25, v28, v26
	v_fmac_f32_e32 v28, v29, v27
	v_fma_f32 v25, -v25, v28, v26
	v_div_fmas_f32 v25, v25, v27, v28
	v_div_fixup_f32 v10, v25, v11, v10
	v_fma_f32 v10, v10, v10, 1.0
	v_mul_f32_e32 v25, 0x4f800000, v10
	v_cmp_gt_f32_e32 vcc, s70, v10
	v_cndmask_b32_e32 v10, v10, v25, vcc
	v_sqrt_f32_e32 v25, v10
	v_add_u32_e32 v26, -1, v25
	v_add_u32_e32 v27, 1, v25
	v_fma_f32 v28, -v26, v25, v10
	v_fma_f32 v29, -v27, v25, v10
	v_cmp_ge_f32_e64 s[8:9], 0, v28
	v_cndmask_b32_e64 v25, v25, v26, s[8:9]
	v_cmp_lt_f32_e64 s[8:9], 0, v29
	v_cndmask_b32_e64 v25, v25, v27, s[8:9]
	v_mul_f32_e32 v26, 0x37800000, v25
	v_cndmask_b32_e32 v25, v25, v26, vcc
	v_cmp_class_f32_e32 vcc, v10, v16
	v_cndmask_b32_e32 v10, v25, v10, vcc
	v_mul_f32_e32 v25, v11, v10
.LBB33_32:                              ;   in Loop: Header=BB33_9 Depth=3
	s_or_b64 exec, exec, s[52:53]
                                        ; implicit-def: $vgpr10
                                        ; implicit-def: $vgpr11
	s_andn2_saveexec_b64 s[50:51], s[50:51]
	s_cbranch_execz .LBB33_29
.LBB33_33:                              ;   in Loop: Header=BB33_9 Depth=3
	v_div_scale_f32 v25, s[8:9], v10, v10, v11
	v_div_scale_f32 v26, vcc, v11, v10, v11
	v_rcp_f32_e32 v27, v25
	v_fma_f32 v28, -v25, v27, 1.0
	v_fmac_f32_e32 v27, v28, v27
	v_mul_f32_e32 v28, v26, v27
	v_fma_f32 v29, -v25, v28, v26
	v_fmac_f32_e32 v28, v29, v27
	v_fma_f32 v25, -v25, v28, v26
	v_div_fmas_f32 v25, v25, v27, v28
	v_div_fixup_f32 v11, v25, v10, v11
	v_fma_f32 v11, v11, v11, 1.0
	v_mul_f32_e32 v25, 0x4f800000, v11
	v_cmp_gt_f32_e32 vcc, s70, v11
	v_cndmask_b32_e32 v11, v11, v25, vcc
	v_sqrt_f32_e32 v25, v11
	v_add_u32_e32 v26, -1, v25
	v_add_u32_e32 v27, 1, v25
	v_fma_f32 v28, -v26, v25, v11
	v_fma_f32 v29, -v27, v25, v11
	v_cmp_ge_f32_e64 s[8:9], 0, v28
	v_cndmask_b32_e64 v25, v25, v26, s[8:9]
	v_cmp_lt_f32_e64 s[8:9], 0, v29
	v_cndmask_b32_e64 v25, v25, v27, s[8:9]
	v_mul_f32_e32 v26, 0x37800000, v25
	v_cndmask_b32_e32 v25, v25, v26, vcc
	v_cmp_class_f32_e32 vcc, v11, v16
	v_cndmask_b32_e32 v11, v25, v11, vcc
	v_mul_f32_e32 v25, v10, v11
	s_or_b64 exec, exec, s[50:51]
	v_cmp_class_f32_e64 s[50:51], v25, s71
	s_and_saveexec_b64 s[8:9], s[50:51]
	s_cbranch_execz .LBB33_8
.LBB33_34:                              ;   in Loop: Header=BB33_9 Depth=3
	s_mov_b64 s[50:51], 0
                                        ; implicit-def: $vgpr10_vgpr11
	s_and_saveexec_b64 s[52:53], s[6:7]
	s_xor_b64 s[6:7], exec, s[52:53]
	s_cbranch_execnz .LBB33_37
; %bb.35:                               ;   in Loop: Header=BB33_9 Depth=3
	s_andn2_saveexec_b64 s[6:7], s[6:7]
	s_cbranch_execnz .LBB33_50
.LBB33_36:                              ;   in Loop: Header=BB33_9 Depth=3
	s_or_b64 exec, exec, s[6:7]
	s_and_b64 exec, exec, s[50:51]
	s_cbranch_execz .LBB33_8
	s_branch .LBB33_59
.LBB33_37:                              ;   in Loop: Header=BB33_9 Depth=3
	v_cmp_ge_i32_e32 vcc, v2, v6
                                        ; implicit-def: $vgpr10_vgpr11
	s_and_saveexec_b64 s[52:53], vcc
	s_xor_b64 s[52:53], exec, s[52:53]
	s_cbranch_execz .LBB33_39
; %bb.38:                               ;   in Loop: Header=BB33_9 Depth=3
	v_lshlrev_b64 v[6:7], 3, v[6:7]
	v_mov_b32_e32 v0, s31
	v_add_co_u32_e32 v10, vcc, s30, v6
	v_addc_co_u32_e32 v11, vcc, v0, v7, vcc
	s_mov_b64 s[50:51], exec
	global_store_dword v[10:11], v24, off
                                        ; implicit-def: $vgpr9
                                        ; implicit-def: $vgpr23
                                        ; implicit-def: $vgpr24
                                        ; implicit-def: $vgpr8
.LBB33_39:                              ;   in Loop: Header=BB33_9 Depth=3
	s_andn2_saveexec_b64 s[52:53], s[52:53]
	s_cbranch_execz .LBB33_49
; %bb.40:                               ;   in Loop: Header=BB33_9 Depth=3
	v_cmp_lt_i32_e32 vcc, v9, v23
	s_mov_b64 s[56:57], s[50:51]
                                        ; implicit-def: $vgpr10_vgpr11
	s_and_saveexec_b64 s[54:55], vcc
	s_cbranch_execz .LBB33_48
; %bb.41:                               ;   in Loop: Header=BB33_9 Depth=3
	s_mov_b64 s[58:59], 0
                                        ; implicit-def: $sgpr56_sgpr57
                                        ; implicit-def: $sgpr62_sgpr63
                                        ; implicit-def: $sgpr60_sgpr61
	s_branch .LBB33_43
.LBB33_42:                              ;   in Loop: Header=BB33_43 Depth=4
	s_or_b64 exec, exec, s[64:65]
	s_and_b64 s[64:65], exec, s[62:63]
	s_or_b64 s[58:59], s[64:65], s[58:59]
	s_andn2_b64 s[56:57], s[56:57], exec
	s_and_b64 s[64:65], s[60:61], exec
	s_or_b64 s[56:57], s[56:57], s[64:65]
	s_andn2_b64 exec, exec, s[58:59]
	s_cbranch_execz .LBB33_45
.LBB33_43:                              ;   Parent Loop BB33_3 Depth=1
                                        ;     Parent Loop BB33_5 Depth=2
                                        ;       Parent Loop BB33_9 Depth=3
                                        ; =>      This Inner Loop Header: Depth=4
	v_add_u32_e32 v6, v8, v9
	v_ashrrev_i32_e32 v7, 31, v6
	v_lshlrev_b64 v[10:11], 2, v[6:7]
	v_mov_b32_e32 v0, s17
	v_add_co_u32_e32 v10, vcc, s16, v10
	v_addc_co_u32_e32 v11, vcc, v0, v11, vcc
	global_load_dword v0, v[10:11], off
	s_or_b64 s[60:61], s[60:61], exec
	s_or_b64 s[62:63], s[62:63], exec
	s_waitcnt vmcnt(0)
	v_subrev_u32_e32 v0, s68, v0
	v_cmp_ne_u32_e32 vcc, v0, v2
	s_and_saveexec_b64 s[64:65], vcc
	s_cbranch_execz .LBB33_42
; %bb.44:                               ;   in Loop: Header=BB33_43 Depth=4
	v_add_u32_e32 v9, 1, v9
	v_cmp_ge_i32_e32 vcc, v9, v23
	s_andn2_b64 s[62:63], s[62:63], exec
	s_and_b64 s[74:75], vcc, exec
	s_andn2_b64 s[60:61], s[60:61], exec
	s_or_b64 s[62:63], s[62:63], s[74:75]
	s_branch .LBB33_42
.LBB33_45:                              ;   in Loop: Header=BB33_9 Depth=3
	s_or_b64 exec, exec, s[58:59]
	s_mov_b64 s[58:59], s[50:51]
                                        ; implicit-def: $vgpr10_vgpr11
	s_and_saveexec_b64 s[60:61], s[56:57]
	s_xor_b64 s[56:57], exec, s[60:61]
	s_cbranch_execz .LBB33_47
; %bb.46:                               ;   in Loop: Header=BB33_9 Depth=3
	v_lshlrev_b64 v[6:7], 3, v[6:7]
	v_mov_b32_e32 v0, s45
	v_add_co_u32_e32 v10, vcc, s44, v6
	v_addc_co_u32_e32 v11, vcc, v0, v7, vcc
	s_or_b64 s[58:59], s[50:51], exec
	global_store_dword v[10:11], v24, off
.LBB33_47:                              ;   in Loop: Header=BB33_9 Depth=3
	s_or_b64 exec, exec, s[56:57]
	s_andn2_b64 s[56:57], s[50:51], exec
	s_and_b64 s[58:59], s[58:59], exec
	s_or_b64 s[56:57], s[56:57], s[58:59]
.LBB33_48:                              ;   in Loop: Header=BB33_9 Depth=3
	s_or_b64 exec, exec, s[54:55]
	s_andn2_b64 s[50:51], s[50:51], exec
	s_and_b64 s[54:55], s[56:57], exec
	s_or_b64 s[50:51], s[50:51], s[54:55]
.LBB33_49:                              ;   in Loop: Header=BB33_9 Depth=3
	s_or_b64 exec, exec, s[52:53]
	s_and_b64 s[50:51], s[50:51], exec
                                        ; implicit-def: $vgpr24
                                        ; implicit-def: $vgpr6_vgpr7
	s_andn2_saveexec_b64 s[6:7], s[6:7]
	s_cbranch_execz .LBB33_36
.LBB33_50:                              ;   in Loop: Header=BB33_9 Depth=3
	v_cmp_lt_i32_e32 vcc, v0, v18
	s_mov_b64 s[54:55], s[50:51]
                                        ; implicit-def: $vgpr10_vgpr11
	s_and_saveexec_b64 s[52:53], vcc
	s_cbranch_execz .LBB33_58
; %bb.51:                               ;   in Loop: Header=BB33_9 Depth=3
	s_mov_b64 s[56:57], 0
                                        ; implicit-def: $sgpr54_sgpr55
                                        ; implicit-def: $sgpr60_sgpr61
                                        ; implicit-def: $sgpr58_sgpr59
	s_branch .LBB33_53
.LBB33_52:                              ;   in Loop: Header=BB33_53 Depth=4
	s_or_b64 exec, exec, s[62:63]
	s_and_b64 s[62:63], exec, s[60:61]
	s_or_b64 s[56:57], s[62:63], s[56:57]
	s_andn2_b64 s[54:55], s[54:55], exec
	s_and_b64 s[62:63], s[58:59], exec
	s_or_b64 s[54:55], s[54:55], s[62:63]
	s_andn2_b64 exec, exec, s[56:57]
	s_cbranch_execz .LBB33_55
.LBB33_53:                              ;   Parent Loop BB33_3 Depth=1
                                        ;     Parent Loop BB33_5 Depth=2
                                        ;       Parent Loop BB33_9 Depth=3
                                        ; =>      This Inner Loop Header: Depth=4
	v_add_u32_e32 v7, v5, v0
	v_ashrrev_i32_e32 v8, 31, v7
	v_lshlrev_b64 v[9:10], 2, v[7:8]
	v_mov_b32_e32 v11, s25
	v_add_co_u32_e32 v9, vcc, s24, v9
	v_addc_co_u32_e32 v10, vcc, v11, v10, vcc
	global_load_dword v9, v[9:10], off
	s_or_b64 s[58:59], s[58:59], exec
	s_or_b64 s[60:61], s[60:61], exec
	s_waitcnt vmcnt(0)
	v_subrev_u32_e32 v9, s67, v9
	v_cmp_ne_u32_e32 vcc, v9, v6
	s_and_saveexec_b64 s[62:63], vcc
	s_cbranch_execz .LBB33_52
; %bb.54:                               ;   in Loop: Header=BB33_53 Depth=4
	v_add_u32_e32 v0, 1, v0
	v_cmp_ge_i32_e32 vcc, v0, v18
	s_andn2_b64 s[60:61], s[60:61], exec
	s_and_b64 s[64:65], vcc, exec
	s_andn2_b64 s[58:59], s[58:59], exec
	s_or_b64 s[60:61], s[60:61], s[64:65]
	s_branch .LBB33_52
.LBB33_55:                              ;   in Loop: Header=BB33_9 Depth=3
	s_or_b64 exec, exec, s[56:57]
	s_mov_b64 s[56:57], s[50:51]
                                        ; implicit-def: $vgpr10_vgpr11
	s_and_saveexec_b64 s[58:59], s[54:55]
	s_xor_b64 s[54:55], exec, s[58:59]
	s_cbranch_execz .LBB33_57
; %bb.56:                               ;   in Loop: Header=BB33_9 Depth=3
	v_lshlrev_b64 v[6:7], 3, v[7:8]
	v_mov_b32_e32 v0, s35
	v_add_co_u32_e32 v10, vcc, s34, v6
	v_addc_co_u32_e32 v11, vcc, v0, v7, vcc
	s_or_b64 s[56:57], s[50:51], exec
	global_store_dword v[10:11], v24, off
.LBB33_57:                              ;   in Loop: Header=BB33_9 Depth=3
	s_or_b64 exec, exec, s[54:55]
	s_andn2_b64 s[54:55], s[50:51], exec
	s_and_b64 s[56:57], s[56:57], exec
	s_or_b64 s[54:55], s[54:55], s[56:57]
.LBB33_58:                              ;   in Loop: Header=BB33_9 Depth=3
	s_or_b64 exec, exec, s[52:53]
	s_andn2_b64 s[50:51], s[50:51], exec
	s_and_b64 s[52:53], s[54:55], exec
	s_or_b64 s[50:51], s[50:51], s[52:53]
	s_or_b64 exec, exec, s[6:7]
	s_and_b64 exec, exec, s[50:51]
	s_cbranch_execz .LBB33_8
.LBB33_59:                              ;   in Loop: Header=BB33_9 Depth=3
	global_store_dword v[10:11], v4, off offset:4
	s_branch .LBB33_8
.LBB33_60:                              ;   in Loop: Header=BB33_3 Depth=1
	s_and_saveexec_b64 s[4:5], s[0:1]
	s_cbranch_execz .LBB33_2
; %bb.61:                               ;   in Loop: Header=BB33_3 Depth=1
	s_mov_b64 s[6:7], 0
	v_mov_b32_e32 v2, v12
	s_branch .LBB33_63
.LBB33_62:                              ;   in Loop: Header=BB33_63 Depth=2
	s_or_b64 exec, exec, s[8:9]
	v_add_u32_e32 v2, 32, v2
	v_cmp_le_u32_e32 vcc, s69, v2
	s_or_b64 s[6:7], vcc, s[6:7]
	s_andn2_b64 exec, exec, s[6:7]
	s_cbranch_execz .LBB33_2
.LBB33_63:                              ;   Parent Loop BB33_3 Depth=1
                                        ; =>  This Loop Header: Depth=2
                                        ;       Child Loop BB33_66 Depth 3
                                        ;       Child Loop BB33_69 Depth 3
	v_cmp_gt_i32_e32 vcc, s11, v2
	s_and_saveexec_b64 s[8:9], vcc
	s_cbranch_execz .LBB33_62
; %bb.64:                               ;   in Loop: Header=BB33_63 Depth=2
	v_ashrrev_i32_e32 v3, 31, v2
	v_lshlrev_b64 v[4:5], 2, v[2:3]
	v_mov_b32_e32 v0, s21
	v_add_co_u32_e32 v6, vcc, s20, v4
	v_addc_co_u32_e32 v7, vcc, v0, v5, vcc
	global_load_dword v0, v[6:7], off
	v_mov_b32_e32 v7, s23
	v_add_co_u32_e32 v6, vcc, s22, v4
	v_addc_co_u32_e32 v7, vcc, v7, v5, vcc
	global_load_dword v7, v[6:7], off
	s_waitcnt vmcnt(1)
	v_add_u32_e32 v6, v14, v0
	s_waitcnt vmcnt(0)
	v_subrev_u32_e32 v0, s67, v7
	v_cmp_lt_i32_e32 vcc, v6, v0
	s_and_saveexec_b64 s[46:47], vcc
	s_cbranch_execz .LBB33_67
; %bb.65:                               ;   in Loop: Header=BB33_63 Depth=2
	v_ashrrev_i32_e32 v7, 31, v6
	v_lshlrev_b64 v[9:10], 3, v[6:7]
	v_mov_b32_e32 v8, s35
	v_add_co_u32_e32 v7, vcc, s34, v9
	v_addc_co_u32_e32 v8, vcc, v8, v10, vcc
	v_mov_b32_e32 v11, s27
	v_add_co_u32_e32 v9, vcc, s26, v9
	v_addc_co_u32_e32 v10, vcc, v11, v10, vcc
	s_mov_b64 s[48:49], 0
.LBB33_66:                              ;   Parent Loop BB33_3 Depth=1
                                        ;     Parent Loop BB33_63 Depth=2
                                        ; =>    This Inner Loop Header: Depth=3
	global_load_dwordx2 v[17:18], v[7:8], off
	v_add_co_u32_e32 v7, vcc, 0x100, v7
	v_add_u32_e32 v6, 32, v6
	v_addc_co_u32_e32 v8, vcc, 0, v8, vcc
	v_cmp_ge_i32_e32 vcc, v6, v0
	s_or_b64 s[48:49], vcc, s[48:49]
	s_waitcnt vmcnt(0)
	global_store_dwordx2 v[9:10], v[17:18], off
	v_add_co_u32_e32 v9, vcc, 0x100, v9
	v_addc_co_u32_e32 v10, vcc, 0, v10, vcc
	s_andn2_b64 exec, exec, s[48:49]
	s_cbranch_execnz .LBB33_66
.LBB33_67:                              ;   in Loop: Header=BB33_63 Depth=2
	s_or_b64 exec, exec, s[46:47]
	v_mov_b32_e32 v0, s13
	v_add_co_u32_e32 v6, vcc, s12, v4
	v_addc_co_u32_e32 v7, vcc, v0, v5, vcc
	global_load_dword v0, v[6:7], off
	v_mov_b32_e32 v6, s15
	v_add_co_u32_e32 v4, vcc, s14, v4
	v_addc_co_u32_e32 v5, vcc, v6, v5, vcc
	global_load_dword v5, v[4:5], off
	s_waitcnt vmcnt(1)
	v_add_u32_e32 v4, v15, v0
	s_waitcnt vmcnt(0)
	v_subrev_u32_e32 v0, s68, v5
	v_cmp_lt_i32_e32 vcc, v4, v0
	s_and_saveexec_b64 s[46:47], vcc
	s_cbranch_execz .LBB33_70
; %bb.68:                               ;   in Loop: Header=BB33_63 Depth=2
	v_ashrrev_i32_e32 v5, 31, v4
	v_lshlrev_b64 v[7:8], 3, v[4:5]
	v_mov_b32_e32 v6, s45
	v_add_co_u32_e32 v5, vcc, s44, v7
	v_addc_co_u32_e32 v6, vcc, v6, v8, vcc
	v_mov_b32_e32 v9, s19
	v_add_co_u32_e32 v7, vcc, s18, v7
	v_addc_co_u32_e32 v8, vcc, v9, v8, vcc
	s_mov_b64 s[48:49], 0
.LBB33_69:                              ;   Parent Loop BB33_3 Depth=1
                                        ;     Parent Loop BB33_63 Depth=2
                                        ; =>    This Inner Loop Header: Depth=3
	global_load_dwordx2 v[9:10], v[5:6], off
	v_add_co_u32_e32 v5, vcc, 0x100, v5
	v_add_u32_e32 v4, 32, v4
	v_addc_co_u32_e32 v6, vcc, 0, v6, vcc
	v_cmp_ge_i32_e32 vcc, v4, v0
	s_or_b64 s[48:49], vcc, s[48:49]
	s_waitcnt vmcnt(0)
	global_store_dwordx2 v[7:8], v[9:10], off
	v_add_co_u32_e32 v7, vcc, 0x100, v7
	v_addc_co_u32_e32 v8, vcc, 0, v8, vcc
	s_andn2_b64 exec, exec, s[48:49]
	s_cbranch_execnz .LBB33_69
.LBB33_70:                              ;   in Loop: Header=BB33_63 Depth=2
	s_or_b64 exec, exec, s[46:47]
	s_and_b64 exec, exec, s[2:3]
	s_cbranch_execz .LBB33_62
; %bb.71:                               ;   in Loop: Header=BB33_63 Depth=2
	v_lshlrev_b64 v[3:4], 3, v[2:3]
	v_mov_b32_e32 v0, s31
	v_add_co_u32_e32 v5, vcc, s30, v3
	v_addc_co_u32_e32 v6, vcc, v0, v4, vcc
	global_load_dwordx2 v[5:6], v[5:6], off
	v_mov_b32_e32 v0, s29
	v_add_co_u32_e32 v3, vcc, s28, v3
	v_addc_co_u32_e32 v4, vcc, v0, v4, vcc
	s_waitcnt vmcnt(0)
	global_store_dwordx2 v[3:4], v[5:6], off
	s_branch .LBB33_62
.LBB33_72:
	s_endpgm
	.section	.rodata,"a",@progbits
	.p2align	6, 0x0
	.amdhsa_kernel _ZN9rocsparseL14kernel_freerunILi1024ELi32E21rocsparse_complex_numIfEiiEEvT3_S3_T2_PKS4_S6_PKS3_PKT1_21rocsparse_index_base_S6_S6_S8_PS9_SD_SC_S6_S6_S8_SD_SD_SC_SD_SD_
		.amdhsa_group_segment_fixed_size 0
		.amdhsa_private_segment_fixed_size 0
		.amdhsa_kernarg_size 168
		.amdhsa_user_sgpr_count 6
		.amdhsa_user_sgpr_private_segment_buffer 1
		.amdhsa_user_sgpr_dispatch_ptr 0
		.amdhsa_user_sgpr_queue_ptr 0
		.amdhsa_user_sgpr_kernarg_segment_ptr 1
		.amdhsa_user_sgpr_dispatch_id 0
		.amdhsa_user_sgpr_flat_scratch_init 0
		.amdhsa_user_sgpr_private_segment_size 0
		.amdhsa_uses_dynamic_stack 0
		.amdhsa_system_sgpr_private_segment_wavefront_offset 0
		.amdhsa_system_sgpr_workgroup_id_x 1
		.amdhsa_system_sgpr_workgroup_id_y 0
		.amdhsa_system_sgpr_workgroup_id_z 0
		.amdhsa_system_sgpr_workgroup_info 0
		.amdhsa_system_vgpr_workitem_id 0
		.amdhsa_next_free_vgpr 35
		.amdhsa_next_free_sgpr 76
		.amdhsa_reserve_vcc 1
		.amdhsa_reserve_flat_scratch 0
		.amdhsa_float_round_mode_32 0
		.amdhsa_float_round_mode_16_64 0
		.amdhsa_float_denorm_mode_32 3
		.amdhsa_float_denorm_mode_16_64 3
		.amdhsa_dx10_clamp 1
		.amdhsa_ieee_mode 1
		.amdhsa_fp16_overflow 0
		.amdhsa_exception_fp_ieee_invalid_op 0
		.amdhsa_exception_fp_denorm_src 0
		.amdhsa_exception_fp_ieee_div_zero 0
		.amdhsa_exception_fp_ieee_overflow 0
		.amdhsa_exception_fp_ieee_underflow 0
		.amdhsa_exception_fp_ieee_inexact 0
		.amdhsa_exception_int_div_zero 0
	.end_amdhsa_kernel
	.section	.text._ZN9rocsparseL14kernel_freerunILi1024ELi32E21rocsparse_complex_numIfEiiEEvT3_S3_T2_PKS4_S6_PKS3_PKT1_21rocsparse_index_base_S6_S6_S8_PS9_SD_SC_S6_S6_S8_SD_SD_SC_SD_SD_,"axG",@progbits,_ZN9rocsparseL14kernel_freerunILi1024ELi32E21rocsparse_complex_numIfEiiEEvT3_S3_T2_PKS4_S6_PKS3_PKT1_21rocsparse_index_base_S6_S6_S8_PS9_SD_SC_S6_S6_S8_SD_SD_SC_SD_SD_,comdat
.Lfunc_end33:
	.size	_ZN9rocsparseL14kernel_freerunILi1024ELi32E21rocsparse_complex_numIfEiiEEvT3_S3_T2_PKS4_S6_PKS3_PKT1_21rocsparse_index_base_S6_S6_S8_PS9_SD_SC_S6_S6_S8_SD_SD_SC_SD_SD_, .Lfunc_end33-_ZN9rocsparseL14kernel_freerunILi1024ELi32E21rocsparse_complex_numIfEiiEEvT3_S3_T2_PKS4_S6_PKS3_PKT1_21rocsparse_index_base_S6_S6_S8_PS9_SD_SC_S6_S6_S8_SD_SD_SC_SD_SD_
                                        ; -- End function
	.set _ZN9rocsparseL14kernel_freerunILi1024ELi32E21rocsparse_complex_numIfEiiEEvT3_S3_T2_PKS4_S6_PKS3_PKT1_21rocsparse_index_base_S6_S6_S8_PS9_SD_SC_S6_S6_S8_SD_SD_SC_SD_SD_.num_vgpr, 35
	.set _ZN9rocsparseL14kernel_freerunILi1024ELi32E21rocsparse_complex_numIfEiiEEvT3_S3_T2_PKS4_S6_PKS3_PKT1_21rocsparse_index_base_S6_S6_S8_PS9_SD_SC_S6_S6_S8_SD_SD_SC_SD_SD_.num_agpr, 0
	.set _ZN9rocsparseL14kernel_freerunILi1024ELi32E21rocsparse_complex_numIfEiiEEvT3_S3_T2_PKS4_S6_PKS3_PKT1_21rocsparse_index_base_S6_S6_S8_PS9_SD_SC_S6_S6_S8_SD_SD_SC_SD_SD_.numbered_sgpr, 76
	.set _ZN9rocsparseL14kernel_freerunILi1024ELi32E21rocsparse_complex_numIfEiiEEvT3_S3_T2_PKS4_S6_PKS3_PKT1_21rocsparse_index_base_S6_S6_S8_PS9_SD_SC_S6_S6_S8_SD_SD_SC_SD_SD_.num_named_barrier, 0
	.set _ZN9rocsparseL14kernel_freerunILi1024ELi32E21rocsparse_complex_numIfEiiEEvT3_S3_T2_PKS4_S6_PKS3_PKT1_21rocsparse_index_base_S6_S6_S8_PS9_SD_SC_S6_S6_S8_SD_SD_SC_SD_SD_.private_seg_size, 0
	.set _ZN9rocsparseL14kernel_freerunILi1024ELi32E21rocsparse_complex_numIfEiiEEvT3_S3_T2_PKS4_S6_PKS3_PKT1_21rocsparse_index_base_S6_S6_S8_PS9_SD_SC_S6_S6_S8_SD_SD_SC_SD_SD_.uses_vcc, 1
	.set _ZN9rocsparseL14kernel_freerunILi1024ELi32E21rocsparse_complex_numIfEiiEEvT3_S3_T2_PKS4_S6_PKS3_PKT1_21rocsparse_index_base_S6_S6_S8_PS9_SD_SC_S6_S6_S8_SD_SD_SC_SD_SD_.uses_flat_scratch, 0
	.set _ZN9rocsparseL14kernel_freerunILi1024ELi32E21rocsparse_complex_numIfEiiEEvT3_S3_T2_PKS4_S6_PKS3_PKT1_21rocsparse_index_base_S6_S6_S8_PS9_SD_SC_S6_S6_S8_SD_SD_SC_SD_SD_.has_dyn_sized_stack, 0
	.set _ZN9rocsparseL14kernel_freerunILi1024ELi32E21rocsparse_complex_numIfEiiEEvT3_S3_T2_PKS4_S6_PKS3_PKT1_21rocsparse_index_base_S6_S6_S8_PS9_SD_SC_S6_S6_S8_SD_SD_SC_SD_SD_.has_recursion, 0
	.set _ZN9rocsparseL14kernel_freerunILi1024ELi32E21rocsparse_complex_numIfEiiEEvT3_S3_T2_PKS4_S6_PKS3_PKT1_21rocsparse_index_base_S6_S6_S8_PS9_SD_SC_S6_S6_S8_SD_SD_SC_SD_SD_.has_indirect_call, 0
	.section	.AMDGPU.csdata,"",@progbits
; Kernel info:
; codeLenInByte = 3156
; TotalNumSgprs: 80
; NumVgprs: 35
; ScratchSize: 0
; MemoryBound: 0
; FloatMode: 240
; IeeeMode: 1
; LDSByteSize: 0 bytes/workgroup (compile time only)
; SGPRBlocks: 9
; VGPRBlocks: 8
; NumSGPRsForWavesPerEU: 80
; NumVGPRsForWavesPerEU: 35
; Occupancy: 7
; WaveLimiterHint : 1
; COMPUTE_PGM_RSRC2:SCRATCH_EN: 0
; COMPUTE_PGM_RSRC2:USER_SGPR: 6
; COMPUTE_PGM_RSRC2:TRAP_HANDLER: 0
; COMPUTE_PGM_RSRC2:TGID_X_EN: 1
; COMPUTE_PGM_RSRC2:TGID_Y_EN: 0
; COMPUTE_PGM_RSRC2:TGID_Z_EN: 0
; COMPUTE_PGM_RSRC2:TIDIG_COMP_CNT: 0
	.section	.text._ZN9rocsparseL14kernel_freerunILi1024ELi64E21rocsparse_complex_numIfEiiEEvT3_S3_T2_PKS4_S6_PKS3_PKT1_21rocsparse_index_base_S6_S6_S8_PS9_SD_SC_S6_S6_S8_SD_SD_SC_SD_SD_,"axG",@progbits,_ZN9rocsparseL14kernel_freerunILi1024ELi64E21rocsparse_complex_numIfEiiEEvT3_S3_T2_PKS4_S6_PKS3_PKT1_21rocsparse_index_base_S6_S6_S8_PS9_SD_SC_S6_S6_S8_SD_SD_SC_SD_SD_,comdat
	.globl	_ZN9rocsparseL14kernel_freerunILi1024ELi64E21rocsparse_complex_numIfEiiEEvT3_S3_T2_PKS4_S6_PKS3_PKT1_21rocsparse_index_base_S6_S6_S8_PS9_SD_SC_S6_S6_S8_SD_SD_SC_SD_SD_ ; -- Begin function _ZN9rocsparseL14kernel_freerunILi1024ELi64E21rocsparse_complex_numIfEiiEEvT3_S3_T2_PKS4_S6_PKS3_PKT1_21rocsparse_index_base_S6_S6_S8_PS9_SD_SC_S6_S6_S8_SD_SD_SC_SD_SD_
	.p2align	8
	.type	_ZN9rocsparseL14kernel_freerunILi1024ELi64E21rocsparse_complex_numIfEiiEEvT3_S3_T2_PKS4_S6_PKS3_PKT1_21rocsparse_index_base_S6_S6_S8_PS9_SD_SC_S6_S6_S8_SD_SD_SC_SD_SD_,@function
_ZN9rocsparseL14kernel_freerunILi1024ELi64E21rocsparse_complex_numIfEiiEEvT3_S3_T2_PKS4_S6_PKS3_PKT1_21rocsparse_index_base_S6_S6_S8_PS9_SD_SC_S6_S6_S8_SD_SD_SC_SD_SD_: ; @_ZN9rocsparseL14kernel_freerunILi1024ELi64E21rocsparse_complex_numIfEiiEEvT3_S3_T2_PKS4_S6_PKS3_PKT1_21rocsparse_index_base_S6_S6_S8_PS9_SD_SC_S6_S6_S8_SD_SD_SC_SD_SD_
; %bb.0:
	s_load_dwordx2 s[10:11], s[4:5], 0x0
	v_lshrrev_b32_e32 v1, 6, v0
	s_lshl_b32 s69, s6, 10
	v_or_b32_e32 v12, s69, v1
	s_mov_b32 s33, 0
	s_waitcnt lgkmcnt(0)
	s_cmp_gt_i32 s10, 0
	v_cmp_gt_i32_e32 vcc, s11, v12
	s_cselect_b64 s[0:1], -1, 0
	s_and_b64 s[0:1], vcc, s[0:1]
	s_and_saveexec_b64 s[2:3], s[0:1]
	s_cbranch_execz .LBB34_72
; %bb.1:
	s_load_dwordx4 s[28:31], s[4:5], 0x98
	s_load_dwordx8 s[12:19], s[4:5], 0x68
	s_load_dwordx8 s[20:27], s[4:5], 0x38
	;; [unrolled: 1-line block ×3, first 2 shown]
	s_load_dword s66, s[4:5], 0x30
	s_load_dwordx2 s[34:35], s[4:5], 0x58
	s_load_dword s67, s[4:5], 0x60
	s_load_dwordx2 s[44:45], s[4:5], 0x88
	s_load_dword s68, s[4:5], 0x90
	v_and_b32_e32 v0, 63, v0
	s_addk_i32 s69, 0x400
	s_waitcnt lgkmcnt(0)
	v_subrev_u32_e32 v13, s66, v0
	v_cmp_gt_u32_e64 s[0:1], s69, v12
	v_subrev_u32_e32 v14, s67, v0
	v_subrev_u32_e32 v15, s68, v0
	v_cmp_eq_u32_e64 s[2:3], 0, v0
	v_mov_b32_e32 v1, 0
	s_mov_b32 s70, 0xf800000
	v_mov_b32_e32 v16, 0x260
	s_movk_i32 s71, 0x1f8
	s_branch .LBB34_3
.LBB34_2:                               ;   in Loop: Header=BB34_3 Depth=1
	s_or_b64 exec, exec, s[4:5]
	s_add_i32 s33, s33, 1
	s_cmp_eq_u32 s33, s10
	s_cbranch_scc1 .LBB34_72
.LBB34_3:                               ; =>This Loop Header: Depth=1
                                        ;     Child Loop BB34_5 Depth 2
                                        ;       Child Loop BB34_9 Depth 3
                                        ;         Child Loop BB34_13 Depth 4
                                        ;         Child Loop BB34_43 Depth 4
	;; [unrolled: 1-line block ×3, first 2 shown]
                                        ;     Child Loop BB34_63 Depth 2
                                        ;       Child Loop BB34_66 Depth 3
                                        ;       Child Loop BB34_69 Depth 3
	s_mov_b32 s72, 0
	s_branch .LBB34_5
.LBB34_4:                               ;   in Loop: Header=BB34_5 Depth=2
	s_or_b64 exec, exec, s[46:47]
	s_add_i32 s72, s72, 1
	s_cmp_eq_u32 s72, 64
	s_cbranch_scc1 .LBB34_60
.LBB34_5:                               ;   Parent Loop BB34_3 Depth=1
                                        ; =>  This Loop Header: Depth=2
                                        ;       Child Loop BB34_9 Depth 3
                                        ;         Child Loop BB34_13 Depth 4
                                        ;         Child Loop BB34_43 Depth 4
                                        ;         Child Loop BB34_53 Depth 4
	v_lshl_add_u32 v2, s72, 4, v12
	v_cmp_gt_i32_e32 vcc, s11, v2
	s_and_saveexec_b64 s[46:47], vcc
	s_cbranch_execz .LBB34_4
; %bb.6:                                ;   in Loop: Header=BB34_5 Depth=2
	v_ashrrev_i32_e32 v3, 31, v2
	v_lshlrev_b64 v[4:5], 2, v[2:3]
	v_mov_b32_e32 v0, s37
	v_add_co_u32_e32 v6, vcc, s36, v4
	v_addc_co_u32_e32 v7, vcc, v0, v5, vcc
	global_load_dword v0, v[6:7], off
	v_mov_b32_e32 v3, s39
	v_add_co_u32_e32 v6, vcc, s38, v4
	v_addc_co_u32_e32 v7, vcc, v3, v5, vcc
	global_load_dword v6, v[6:7], off
	s_waitcnt vmcnt(1)
	v_add_u32_e32 v3, v13, v0
	s_waitcnt vmcnt(0)
	v_subrev_u32_e32 v17, s66, v6
	v_cmp_lt_i32_e32 vcc, v3, v17
	s_and_b64 exec, exec, vcc
	s_cbranch_execz .LBB34_4
; %bb.7:                                ;   in Loop: Header=BB34_5 Depth=2
	v_mov_b32_e32 v0, s23
	v_add_co_u32_e32 v6, vcc, s22, v4
	v_addc_co_u32_e32 v7, vcc, v0, v5, vcc
	v_mov_b32_e32 v0, s21
	v_add_co_u32_e32 v4, vcc, s20, v4
	v_addc_co_u32_e32 v5, vcc, v0, v5, vcc
	global_load_dword v0, v[4:5], off
	s_nop 0
	global_load_dword v4, v[6:7], off
	v_mov_b32_e32 v11, s25
	v_mov_b32_e32 v22, s27
	s_mov_b64 s[48:49], 0
	s_waitcnt vmcnt(1)
	v_subrev_u32_e32 v5, s67, v0
	v_ashrrev_i32_e32 v6, 31, v5
	v_lshlrev_b64 v[7:8], 2, v[5:6]
	v_lshlrev_b64 v[9:10], 3, v[5:6]
	v_add_co_u32_e32 v19, vcc, s24, v7
	v_addc_co_u32_e32 v20, vcc, v11, v8, vcc
	s_waitcnt vmcnt(0)
	v_sub_u32_e32 v18, v4, v0
	v_add_co_u32_e32 v21, vcc, s26, v9
	v_cmp_lt_i32_e64 s[4:5], 0, v18
	v_addc_co_u32_e32 v22, vcc, v22, v10, vcc
	s_branch .LBB34_9
.LBB34_8:                               ;   in Loop: Header=BB34_9 Depth=3
	s_or_b64 exec, exec, s[8:9]
	v_add_u32_e32 v3, 64, v3
	v_cmp_ge_i32_e32 vcc, v3, v17
	s_or_b64 s[48:49], vcc, s[48:49]
	s_andn2_b64 exec, exec, s[48:49]
	s_cbranch_execz .LBB34_4
.LBB34_9:                               ;   Parent Loop BB34_3 Depth=1
                                        ;     Parent Loop BB34_5 Depth=2
                                        ; =>    This Loop Header: Depth=3
                                        ;         Child Loop BB34_13 Depth 4
                                        ;         Child Loop BB34_43 Depth 4
                                        ;         Child Loop BB34_53 Depth 4
	v_ashrrev_i32_e32 v4, 31, v3
	v_lshlrev_b64 v[6:7], 2, v[3:4]
	v_mov_b32_e32 v0, s41
	v_add_co_u32_e32 v6, vcc, s40, v6
	v_addc_co_u32_e32 v7, vcc, v0, v7, vcc
	global_load_dword v0, v[6:7], off
	v_mov_b32_e32 v11, s13
	v_mov_b32_e32 v23, s15
	;; [unrolled: 1-line block ×3, first 2 shown]
	s_waitcnt vmcnt(0)
	v_subrev_u32_e32 v6, s66, v0
	v_ashrrev_i32_e32 v7, 31, v6
	v_lshlrev_b64 v[8:9], 2, v[6:7]
	v_mov_b32_e32 v0, 0
	v_add_co_u32_e32 v10, vcc, s12, v8
	v_addc_co_u32_e32 v11, vcc, v11, v9, vcc
	v_add_co_u32_e32 v8, vcc, s14, v8
	v_addc_co_u32_e32 v9, vcc, v23, v9, vcc
	global_load_dword v10, v[10:11], off
	s_nop 0
	global_load_dword v9, v[8:9], off
	v_mov_b32_e32 v11, 0
	s_waitcnt vmcnt(1)
	v_subrev_u32_e32 v8, s68, v10
	s_waitcnt vmcnt(0)
	v_sub_u32_e32 v23, v9, v10
	v_mov_b32_e32 v9, v0
	s_and_saveexec_b64 s[6:7], s[4:5]
	s_cbranch_execz .LBB34_17
; %bb.10:                               ;   in Loop: Header=BB34_9 Depth=3
	v_ashrrev_i32_e32 v9, 31, v8
	v_lshlrev_b64 v[10:11], 2, v[8:9]
	v_mov_b32_e32 v0, s17
	v_add_co_u32_e32 v24, vcc, s16, v10
	v_lshlrev_b64 v[9:10], 3, v[8:9]
	v_addc_co_u32_e32 v26, vcc, v0, v11, vcc
	v_mov_b32_e32 v0, s19
	v_add_co_u32_e32 v27, vcc, s18, v9
	v_mov_b32_e32 v9, 0
	v_addc_co_u32_e32 v28, vcc, v0, v10, vcc
	v_mov_b32_e32 v11, 0
	s_mov_b64 s[8:9], 0
	v_mov_b32_e32 v0, v9
	v_mov_b32_e32 v25, 0
                                        ; implicit-def: $sgpr50_sgpr51
	s_branch .LBB34_13
.LBB34_11:                              ;   in Loop: Header=BB34_13 Depth=4
	s_or_b64 exec, exec, s[54:55]
	v_cmp_le_i32_e32 vcc, v29, v30
	v_addc_co_u32_e32 v0, vcc, 0, v0, vcc
	v_cmp_ge_i32_e32 vcc, v29, v30
	v_addc_co_u32_e32 v9, vcc, 0, v9, vcc
	v_cmp_ge_i32_e32 vcc, v0, v18
	s_andn2_b64 s[50:51], s[50:51], exec
	s_and_b64 s[54:55], vcc, exec
	s_or_b64 s[50:51], s[50:51], s[54:55]
.LBB34_12:                              ;   in Loop: Header=BB34_13 Depth=4
	s_or_b64 exec, exec, s[52:53]
	s_and_b64 s[52:53], exec, s[50:51]
	s_or_b64 s[8:9], s[52:53], s[8:9]
	s_andn2_b64 exec, exec, s[8:9]
	s_cbranch_execz .LBB34_16
.LBB34_13:                              ;   Parent Loop BB34_3 Depth=1
                                        ;     Parent Loop BB34_5 Depth=2
                                        ;       Parent Loop BB34_9 Depth=3
                                        ; =>      This Inner Loop Header: Depth=4
	v_cmp_lt_i32_e32 vcc, v9, v23
	s_or_b64 s[50:51], s[50:51], exec
	s_and_saveexec_b64 s[52:53], vcc
	s_cbranch_execz .LBB34_12
; %bb.14:                               ;   in Loop: Header=BB34_13 Depth=4
	v_lshlrev_b64 v[29:30], 2, v[0:1]
	v_mov_b32_e32 v10, v1
	v_add_co_u32_e32 v29, vcc, v19, v29
	v_addc_co_u32_e32 v30, vcc, v20, v30, vcc
	global_load_dword v31, v[29:30], off
	v_lshlrev_b64 v[29:30], 2, v[9:10]
	v_add_co_u32_e32 v29, vcc, v24, v29
	v_addc_co_u32_e32 v30, vcc, v26, v30, vcc
	global_load_dword v30, v[29:30], off
	s_waitcnt vmcnt(1)
	v_subrev_u32_e32 v29, s67, v31
	s_waitcnt vmcnt(0)
	v_subrev_u32_e32 v30, s68, v30
	v_cmp_eq_u32_e32 vcc, v29, v30
	s_and_saveexec_b64 s[54:55], vcc
	s_cbranch_execz .LBB34_11
; %bb.15:                               ;   in Loop: Header=BB34_13 Depth=4
	v_lshlrev_b64 v[31:32], 3, v[0:1]
	v_lshlrev_b64 v[33:34], 3, v[9:10]
	v_add_co_u32_e32 v31, vcc, v21, v31
	v_addc_co_u32_e32 v32, vcc, v22, v32, vcc
	v_add_co_u32_e32 v33, vcc, v27, v33
	v_addc_co_u32_e32 v34, vcc, v28, v34, vcc
	global_load_dwordx2 v[31:32], v[31:32], off
	s_nop 0
	global_load_dwordx2 v[33:34], v[33:34], off
	s_waitcnt vmcnt(0)
	v_fmac_f32_e32 v11, v31, v33
	v_fmac_f32_e32 v25, v32, v33
	v_fma_f32 v11, -v32, v34, v11
	v_fmac_f32_e32 v25, v31, v34
	s_branch .LBB34_11
.LBB34_16:                              ;   in Loop: Header=BB34_9 Depth=3
	s_or_b64 exec, exec, s[8:9]
.LBB34_17:                              ;   in Loop: Header=BB34_9 Depth=3
	s_or_b64 exec, exec, s[6:7]
	v_lshlrev_b64 v[26:27], 3, v[3:4]
	v_mov_b32_e32 v4, s43
	v_add_co_u32_e32 v26, vcc, s42, v26
	v_addc_co_u32_e32 v27, vcc, v4, v27, vcc
	global_load_dwordx2 v[26:27], v[26:27], off
	v_cmp_le_i32_e64 s[6:7], v2, v6
	v_cmp_gt_i32_e32 vcc, v2, v6
	s_waitcnt vmcnt(0)
	v_sub_f32_e32 v24, v26, v11
	v_sub_f32_e32 v4, v27, v25
	s_and_saveexec_b64 s[50:51], vcc
	s_cbranch_execz .LBB34_27
; %bb.18:                               ;   in Loop: Header=BB34_9 Depth=3
	v_lshlrev_b64 v[10:11], 3, v[6:7]
	v_mov_b32_e32 v25, s29
	v_add_co_u32_e32 v10, vcc, s28, v10
	v_addc_co_u32_e32 v11, vcc, v25, v11, vcc
	global_load_dwordx2 v[10:11], v[10:11], off
                                        ; implicit-def: $vgpr27
	s_waitcnt vmcnt(0)
	v_cmp_gt_f32_e32 vcc, 0, v10
	v_cndmask_b32_e64 v25, v10, -v10, vcc
	v_cmp_gt_f32_e32 vcc, 0, v11
	v_cndmask_b32_e64 v26, v11, -v11, vcc
	v_cmp_ngt_f32_e32 vcc, v25, v26
	s_and_saveexec_b64 s[8:9], vcc
	s_xor_b64 s[52:53], exec, s[8:9]
	s_cbranch_execz .LBB34_22
; %bb.19:                               ;   in Loop: Header=BB34_9 Depth=3
	v_mov_b32_e32 v27, 0
	v_cmp_neq_f32_e32 vcc, 0, v11
	s_and_saveexec_b64 s[54:55], vcc
	s_cbranch_execz .LBB34_21
; %bb.20:                               ;   in Loop: Header=BB34_9 Depth=3
	v_div_scale_f32 v27, s[8:9], v26, v26, v25
	v_div_scale_f32 v28, vcc, v25, v26, v25
	v_rcp_f32_e32 v29, v27
	v_fma_f32 v30, -v27, v29, 1.0
	v_fmac_f32_e32 v29, v30, v29
	v_mul_f32_e32 v30, v28, v29
	v_fma_f32 v31, -v27, v30, v28
	v_fmac_f32_e32 v30, v31, v29
	v_fma_f32 v27, -v27, v30, v28
	v_div_fmas_f32 v27, v27, v29, v30
	v_div_fixup_f32 v25, v27, v26, v25
	v_fma_f32 v25, v25, v25, 1.0
	v_mul_f32_e32 v27, 0x4f800000, v25
	v_cmp_gt_f32_e32 vcc, s70, v25
	v_cndmask_b32_e32 v25, v25, v27, vcc
	v_sqrt_f32_e32 v27, v25
	v_add_u32_e32 v28, -1, v27
	v_add_u32_e32 v29, 1, v27
	v_fma_f32 v30, -v28, v27, v25
	v_fma_f32 v31, -v29, v27, v25
	v_cmp_ge_f32_e64 s[8:9], 0, v30
	v_cndmask_b32_e64 v27, v27, v28, s[8:9]
	v_cmp_lt_f32_e64 s[8:9], 0, v31
	v_cndmask_b32_e64 v27, v27, v29, s[8:9]
	v_mul_f32_e32 v28, 0x37800000, v27
	v_cndmask_b32_e32 v27, v27, v28, vcc
	v_cmp_class_f32_e32 vcc, v25, v16
	v_cndmask_b32_e32 v25, v27, v25, vcc
	v_mul_f32_e32 v27, v26, v25
.LBB34_21:                              ;   in Loop: Header=BB34_9 Depth=3
	s_or_b64 exec, exec, s[54:55]
                                        ; implicit-def: $vgpr25
                                        ; implicit-def: $vgpr26
.LBB34_22:                              ;   in Loop: Header=BB34_9 Depth=3
	s_andn2_saveexec_b64 s[52:53], s[52:53]
	s_cbranch_execz .LBB34_24
; %bb.23:                               ;   in Loop: Header=BB34_9 Depth=3
	v_div_scale_f32 v27, s[8:9], v25, v25, v26
	v_div_scale_f32 v28, vcc, v26, v25, v26
	v_rcp_f32_e32 v29, v27
	v_fma_f32 v30, -v27, v29, 1.0
	v_fmac_f32_e32 v29, v30, v29
	v_mul_f32_e32 v30, v28, v29
	v_fma_f32 v31, -v27, v30, v28
	v_fmac_f32_e32 v30, v31, v29
	v_fma_f32 v27, -v27, v30, v28
	v_div_fmas_f32 v27, v27, v29, v30
	v_div_fixup_f32 v26, v27, v25, v26
	v_fma_f32 v26, v26, v26, 1.0
	v_mul_f32_e32 v27, 0x4f800000, v26
	v_cmp_gt_f32_e32 vcc, s70, v26
	v_cndmask_b32_e32 v26, v26, v27, vcc
	v_sqrt_f32_e32 v27, v26
	v_add_u32_e32 v28, -1, v27
	v_add_u32_e32 v29, 1, v27
	v_fma_f32 v30, -v28, v27, v26
	v_fma_f32 v31, -v29, v27, v26
	v_cmp_ge_f32_e64 s[8:9], 0, v30
	v_cndmask_b32_e64 v27, v27, v28, s[8:9]
	v_cmp_lt_f32_e64 s[8:9], 0, v31
	v_cndmask_b32_e64 v27, v27, v29, s[8:9]
	v_mul_f32_e32 v28, 0x37800000, v27
	v_cndmask_b32_e32 v27, v27, v28, vcc
	v_cmp_class_f32_e32 vcc, v26, v16
	v_cndmask_b32_e32 v26, v27, v26, vcc
	v_mul_f32_e32 v27, v25, v26
.LBB34_24:                              ;   in Loop: Header=BB34_9 Depth=3
	s_or_b64 exec, exec, s[52:53]
	v_mov_b32_e32 v25, 0
	v_cmp_lt_f32_e32 vcc, 0, v27
	v_mov_b32_e32 v26, 0
	s_and_saveexec_b64 s[8:9], vcc
	s_cbranch_execz .LBB34_26
; %bb.25:                               ;   in Loop: Header=BB34_9 Depth=3
	v_mul_f32_e32 v25, v11, v11
	v_fmac_f32_e32 v25, v10, v10
	v_div_scale_f32 v26, s[52:53], v25, v25, 1.0
	v_div_scale_f32 v27, vcc, 1.0, v25, 1.0
	v_rcp_f32_e32 v28, v26
	v_fma_f32 v29, -v26, v28, 1.0
	v_fmac_f32_e32 v28, v29, v28
	v_mul_f32_e32 v29, v27, v28
	v_fma_f32 v30, -v26, v29, v27
	v_fmac_f32_e32 v29, v30, v28
	v_fma_f32 v26, -v26, v29, v27
	v_div_fmas_f32 v26, v26, v28, v29
	v_mul_f32_e32 v27, v4, v11
	v_mul_f32_e64 v11, v11, -v24
	v_fmac_f32_e32 v27, v24, v10
	v_fmac_f32_e32 v11, v4, v10
	v_div_fixup_f32 v4, v26, v25, 1.0
	v_mul_f32_e32 v25, v27, v4
	v_mul_f32_e32 v26, v11, v4
.LBB34_26:                              ;   in Loop: Header=BB34_9 Depth=3
	s_or_b64 exec, exec, s[8:9]
	v_mov_b32_e32 v24, v25
	v_mov_b32_e32 v4, v26
.LBB34_27:                              ;   in Loop: Header=BB34_9 Depth=3
	s_or_b64 exec, exec, s[50:51]
	v_cmp_gt_f32_e32 vcc, 0, v24
	v_cndmask_b32_e64 v10, v24, -v24, vcc
	v_cmp_gt_f32_e32 vcc, 0, v4
	v_cndmask_b32_e64 v11, v4, -v4, vcc
	v_cmp_ngt_f32_e32 vcc, v10, v11
                                        ; implicit-def: $vgpr25
	s_and_saveexec_b64 s[8:9], vcc
	s_xor_b64 s[50:51], exec, s[8:9]
	s_cbranch_execnz .LBB34_30
; %bb.28:                               ;   in Loop: Header=BB34_9 Depth=3
	s_andn2_saveexec_b64 s[50:51], s[50:51]
	s_cbranch_execnz .LBB34_33
.LBB34_29:                              ;   in Loop: Header=BB34_9 Depth=3
	s_or_b64 exec, exec, s[50:51]
	v_cmp_class_f32_e64 s[50:51], v25, s71
	s_and_saveexec_b64 s[8:9], s[50:51]
	s_cbranch_execz .LBB34_8
	s_branch .LBB34_34
.LBB34_30:                              ;   in Loop: Header=BB34_9 Depth=3
	v_mov_b32_e32 v25, 0
	v_cmp_neq_f32_e32 vcc, 0, v4
	s_and_saveexec_b64 s[52:53], vcc
	s_cbranch_execz .LBB34_32
; %bb.31:                               ;   in Loop: Header=BB34_9 Depth=3
	v_div_scale_f32 v25, s[8:9], v11, v11, v10
	v_div_scale_f32 v26, vcc, v10, v11, v10
	v_rcp_f32_e32 v27, v25
	v_fma_f32 v28, -v25, v27, 1.0
	v_fmac_f32_e32 v27, v28, v27
	v_mul_f32_e32 v28, v26, v27
	v_fma_f32 v29, -v25, v28, v26
	v_fmac_f32_e32 v28, v29, v27
	v_fma_f32 v25, -v25, v28, v26
	v_div_fmas_f32 v25, v25, v27, v28
	v_div_fixup_f32 v10, v25, v11, v10
	v_fma_f32 v10, v10, v10, 1.0
	v_mul_f32_e32 v25, 0x4f800000, v10
	v_cmp_gt_f32_e32 vcc, s70, v10
	v_cndmask_b32_e32 v10, v10, v25, vcc
	v_sqrt_f32_e32 v25, v10
	v_add_u32_e32 v26, -1, v25
	v_add_u32_e32 v27, 1, v25
	v_fma_f32 v28, -v26, v25, v10
	v_fma_f32 v29, -v27, v25, v10
	v_cmp_ge_f32_e64 s[8:9], 0, v28
	v_cndmask_b32_e64 v25, v25, v26, s[8:9]
	v_cmp_lt_f32_e64 s[8:9], 0, v29
	v_cndmask_b32_e64 v25, v25, v27, s[8:9]
	v_mul_f32_e32 v26, 0x37800000, v25
	v_cndmask_b32_e32 v25, v25, v26, vcc
	v_cmp_class_f32_e32 vcc, v10, v16
	v_cndmask_b32_e32 v10, v25, v10, vcc
	v_mul_f32_e32 v25, v11, v10
.LBB34_32:                              ;   in Loop: Header=BB34_9 Depth=3
	s_or_b64 exec, exec, s[52:53]
                                        ; implicit-def: $vgpr10
                                        ; implicit-def: $vgpr11
	s_andn2_saveexec_b64 s[50:51], s[50:51]
	s_cbranch_execz .LBB34_29
.LBB34_33:                              ;   in Loop: Header=BB34_9 Depth=3
	v_div_scale_f32 v25, s[8:9], v10, v10, v11
	v_div_scale_f32 v26, vcc, v11, v10, v11
	v_rcp_f32_e32 v27, v25
	v_fma_f32 v28, -v25, v27, 1.0
	v_fmac_f32_e32 v27, v28, v27
	v_mul_f32_e32 v28, v26, v27
	v_fma_f32 v29, -v25, v28, v26
	v_fmac_f32_e32 v28, v29, v27
	v_fma_f32 v25, -v25, v28, v26
	v_div_fmas_f32 v25, v25, v27, v28
	v_div_fixup_f32 v11, v25, v10, v11
	v_fma_f32 v11, v11, v11, 1.0
	v_mul_f32_e32 v25, 0x4f800000, v11
	v_cmp_gt_f32_e32 vcc, s70, v11
	v_cndmask_b32_e32 v11, v11, v25, vcc
	v_sqrt_f32_e32 v25, v11
	v_add_u32_e32 v26, -1, v25
	v_add_u32_e32 v27, 1, v25
	v_fma_f32 v28, -v26, v25, v11
	v_fma_f32 v29, -v27, v25, v11
	v_cmp_ge_f32_e64 s[8:9], 0, v28
	v_cndmask_b32_e64 v25, v25, v26, s[8:9]
	v_cmp_lt_f32_e64 s[8:9], 0, v29
	v_cndmask_b32_e64 v25, v25, v27, s[8:9]
	v_mul_f32_e32 v26, 0x37800000, v25
	v_cndmask_b32_e32 v25, v25, v26, vcc
	v_cmp_class_f32_e32 vcc, v11, v16
	v_cndmask_b32_e32 v11, v25, v11, vcc
	v_mul_f32_e32 v25, v10, v11
	s_or_b64 exec, exec, s[50:51]
	v_cmp_class_f32_e64 s[50:51], v25, s71
	s_and_saveexec_b64 s[8:9], s[50:51]
	s_cbranch_execz .LBB34_8
.LBB34_34:                              ;   in Loop: Header=BB34_9 Depth=3
	s_mov_b64 s[50:51], 0
                                        ; implicit-def: $vgpr10_vgpr11
	s_and_saveexec_b64 s[52:53], s[6:7]
	s_xor_b64 s[6:7], exec, s[52:53]
	s_cbranch_execnz .LBB34_37
; %bb.35:                               ;   in Loop: Header=BB34_9 Depth=3
	s_andn2_saveexec_b64 s[6:7], s[6:7]
	s_cbranch_execnz .LBB34_50
.LBB34_36:                              ;   in Loop: Header=BB34_9 Depth=3
	s_or_b64 exec, exec, s[6:7]
	s_and_b64 exec, exec, s[50:51]
	s_cbranch_execz .LBB34_8
	s_branch .LBB34_59
.LBB34_37:                              ;   in Loop: Header=BB34_9 Depth=3
	v_cmp_ge_i32_e32 vcc, v2, v6
                                        ; implicit-def: $vgpr10_vgpr11
	s_and_saveexec_b64 s[52:53], vcc
	s_xor_b64 s[52:53], exec, s[52:53]
	s_cbranch_execz .LBB34_39
; %bb.38:                               ;   in Loop: Header=BB34_9 Depth=3
	v_lshlrev_b64 v[6:7], 3, v[6:7]
	v_mov_b32_e32 v0, s31
	v_add_co_u32_e32 v10, vcc, s30, v6
	v_addc_co_u32_e32 v11, vcc, v0, v7, vcc
	s_mov_b64 s[50:51], exec
	global_store_dword v[10:11], v24, off
                                        ; implicit-def: $vgpr9
                                        ; implicit-def: $vgpr23
                                        ; implicit-def: $vgpr24
                                        ; implicit-def: $vgpr8
.LBB34_39:                              ;   in Loop: Header=BB34_9 Depth=3
	s_andn2_saveexec_b64 s[52:53], s[52:53]
	s_cbranch_execz .LBB34_49
; %bb.40:                               ;   in Loop: Header=BB34_9 Depth=3
	v_cmp_lt_i32_e32 vcc, v9, v23
	s_mov_b64 s[56:57], s[50:51]
                                        ; implicit-def: $vgpr10_vgpr11
	s_and_saveexec_b64 s[54:55], vcc
	s_cbranch_execz .LBB34_48
; %bb.41:                               ;   in Loop: Header=BB34_9 Depth=3
	s_mov_b64 s[58:59], 0
                                        ; implicit-def: $sgpr56_sgpr57
                                        ; implicit-def: $sgpr62_sgpr63
                                        ; implicit-def: $sgpr60_sgpr61
	s_branch .LBB34_43
.LBB34_42:                              ;   in Loop: Header=BB34_43 Depth=4
	s_or_b64 exec, exec, s[64:65]
	s_and_b64 s[64:65], exec, s[62:63]
	s_or_b64 s[58:59], s[64:65], s[58:59]
	s_andn2_b64 s[56:57], s[56:57], exec
	s_and_b64 s[64:65], s[60:61], exec
	s_or_b64 s[56:57], s[56:57], s[64:65]
	s_andn2_b64 exec, exec, s[58:59]
	s_cbranch_execz .LBB34_45
.LBB34_43:                              ;   Parent Loop BB34_3 Depth=1
                                        ;     Parent Loop BB34_5 Depth=2
                                        ;       Parent Loop BB34_9 Depth=3
                                        ; =>      This Inner Loop Header: Depth=4
	v_add_u32_e32 v6, v8, v9
	v_ashrrev_i32_e32 v7, 31, v6
	v_lshlrev_b64 v[10:11], 2, v[6:7]
	v_mov_b32_e32 v0, s17
	v_add_co_u32_e32 v10, vcc, s16, v10
	v_addc_co_u32_e32 v11, vcc, v0, v11, vcc
	global_load_dword v0, v[10:11], off
	s_or_b64 s[60:61], s[60:61], exec
	s_or_b64 s[62:63], s[62:63], exec
	s_waitcnt vmcnt(0)
	v_subrev_u32_e32 v0, s68, v0
	v_cmp_ne_u32_e32 vcc, v0, v2
	s_and_saveexec_b64 s[64:65], vcc
	s_cbranch_execz .LBB34_42
; %bb.44:                               ;   in Loop: Header=BB34_43 Depth=4
	v_add_u32_e32 v9, 1, v9
	v_cmp_ge_i32_e32 vcc, v9, v23
	s_andn2_b64 s[62:63], s[62:63], exec
	s_and_b64 s[74:75], vcc, exec
	s_andn2_b64 s[60:61], s[60:61], exec
	s_or_b64 s[62:63], s[62:63], s[74:75]
	s_branch .LBB34_42
.LBB34_45:                              ;   in Loop: Header=BB34_9 Depth=3
	s_or_b64 exec, exec, s[58:59]
	s_mov_b64 s[58:59], s[50:51]
                                        ; implicit-def: $vgpr10_vgpr11
	s_and_saveexec_b64 s[60:61], s[56:57]
	s_xor_b64 s[56:57], exec, s[60:61]
	s_cbranch_execz .LBB34_47
; %bb.46:                               ;   in Loop: Header=BB34_9 Depth=3
	v_lshlrev_b64 v[6:7], 3, v[6:7]
	v_mov_b32_e32 v0, s45
	v_add_co_u32_e32 v10, vcc, s44, v6
	v_addc_co_u32_e32 v11, vcc, v0, v7, vcc
	s_or_b64 s[58:59], s[50:51], exec
	global_store_dword v[10:11], v24, off
.LBB34_47:                              ;   in Loop: Header=BB34_9 Depth=3
	s_or_b64 exec, exec, s[56:57]
	s_andn2_b64 s[56:57], s[50:51], exec
	s_and_b64 s[58:59], s[58:59], exec
	s_or_b64 s[56:57], s[56:57], s[58:59]
.LBB34_48:                              ;   in Loop: Header=BB34_9 Depth=3
	s_or_b64 exec, exec, s[54:55]
	s_andn2_b64 s[50:51], s[50:51], exec
	s_and_b64 s[54:55], s[56:57], exec
	s_or_b64 s[50:51], s[50:51], s[54:55]
.LBB34_49:                              ;   in Loop: Header=BB34_9 Depth=3
	s_or_b64 exec, exec, s[52:53]
	s_and_b64 s[50:51], s[50:51], exec
                                        ; implicit-def: $vgpr24
                                        ; implicit-def: $vgpr6_vgpr7
	s_andn2_saveexec_b64 s[6:7], s[6:7]
	s_cbranch_execz .LBB34_36
.LBB34_50:                              ;   in Loop: Header=BB34_9 Depth=3
	v_cmp_lt_i32_e32 vcc, v0, v18
	s_mov_b64 s[54:55], s[50:51]
                                        ; implicit-def: $vgpr10_vgpr11
	s_and_saveexec_b64 s[52:53], vcc
	s_cbranch_execz .LBB34_58
; %bb.51:                               ;   in Loop: Header=BB34_9 Depth=3
	s_mov_b64 s[56:57], 0
                                        ; implicit-def: $sgpr54_sgpr55
                                        ; implicit-def: $sgpr60_sgpr61
                                        ; implicit-def: $sgpr58_sgpr59
	s_branch .LBB34_53
.LBB34_52:                              ;   in Loop: Header=BB34_53 Depth=4
	s_or_b64 exec, exec, s[62:63]
	s_and_b64 s[62:63], exec, s[60:61]
	s_or_b64 s[56:57], s[62:63], s[56:57]
	s_andn2_b64 s[54:55], s[54:55], exec
	s_and_b64 s[62:63], s[58:59], exec
	s_or_b64 s[54:55], s[54:55], s[62:63]
	s_andn2_b64 exec, exec, s[56:57]
	s_cbranch_execz .LBB34_55
.LBB34_53:                              ;   Parent Loop BB34_3 Depth=1
                                        ;     Parent Loop BB34_5 Depth=2
                                        ;       Parent Loop BB34_9 Depth=3
                                        ; =>      This Inner Loop Header: Depth=4
	v_add_u32_e32 v7, v5, v0
	v_ashrrev_i32_e32 v8, 31, v7
	v_lshlrev_b64 v[9:10], 2, v[7:8]
	v_mov_b32_e32 v11, s25
	v_add_co_u32_e32 v9, vcc, s24, v9
	v_addc_co_u32_e32 v10, vcc, v11, v10, vcc
	global_load_dword v9, v[9:10], off
	s_or_b64 s[58:59], s[58:59], exec
	s_or_b64 s[60:61], s[60:61], exec
	s_waitcnt vmcnt(0)
	v_subrev_u32_e32 v9, s67, v9
	v_cmp_ne_u32_e32 vcc, v9, v6
	s_and_saveexec_b64 s[62:63], vcc
	s_cbranch_execz .LBB34_52
; %bb.54:                               ;   in Loop: Header=BB34_53 Depth=4
	v_add_u32_e32 v0, 1, v0
	v_cmp_ge_i32_e32 vcc, v0, v18
	s_andn2_b64 s[60:61], s[60:61], exec
	s_and_b64 s[64:65], vcc, exec
	s_andn2_b64 s[58:59], s[58:59], exec
	s_or_b64 s[60:61], s[60:61], s[64:65]
	s_branch .LBB34_52
.LBB34_55:                              ;   in Loop: Header=BB34_9 Depth=3
	s_or_b64 exec, exec, s[56:57]
	s_mov_b64 s[56:57], s[50:51]
                                        ; implicit-def: $vgpr10_vgpr11
	s_and_saveexec_b64 s[58:59], s[54:55]
	s_xor_b64 s[54:55], exec, s[58:59]
	s_cbranch_execz .LBB34_57
; %bb.56:                               ;   in Loop: Header=BB34_9 Depth=3
	v_lshlrev_b64 v[6:7], 3, v[7:8]
	v_mov_b32_e32 v0, s35
	v_add_co_u32_e32 v10, vcc, s34, v6
	v_addc_co_u32_e32 v11, vcc, v0, v7, vcc
	s_or_b64 s[56:57], s[50:51], exec
	global_store_dword v[10:11], v24, off
.LBB34_57:                              ;   in Loop: Header=BB34_9 Depth=3
	s_or_b64 exec, exec, s[54:55]
	s_andn2_b64 s[54:55], s[50:51], exec
	s_and_b64 s[56:57], s[56:57], exec
	s_or_b64 s[54:55], s[54:55], s[56:57]
.LBB34_58:                              ;   in Loop: Header=BB34_9 Depth=3
	s_or_b64 exec, exec, s[52:53]
	s_andn2_b64 s[50:51], s[50:51], exec
	s_and_b64 s[52:53], s[54:55], exec
	s_or_b64 s[50:51], s[50:51], s[52:53]
	s_or_b64 exec, exec, s[6:7]
	s_and_b64 exec, exec, s[50:51]
	s_cbranch_execz .LBB34_8
.LBB34_59:                              ;   in Loop: Header=BB34_9 Depth=3
	global_store_dword v[10:11], v4, off offset:4
	s_branch .LBB34_8
.LBB34_60:                              ;   in Loop: Header=BB34_3 Depth=1
	s_and_saveexec_b64 s[4:5], s[0:1]
	s_cbranch_execz .LBB34_2
; %bb.61:                               ;   in Loop: Header=BB34_3 Depth=1
	s_mov_b64 s[6:7], 0
	v_mov_b32_e32 v2, v12
	s_branch .LBB34_63
.LBB34_62:                              ;   in Loop: Header=BB34_63 Depth=2
	s_or_b64 exec, exec, s[8:9]
	v_add_u32_e32 v2, 16, v2
	v_cmp_le_u32_e32 vcc, s69, v2
	s_or_b64 s[6:7], vcc, s[6:7]
	s_andn2_b64 exec, exec, s[6:7]
	s_cbranch_execz .LBB34_2
.LBB34_63:                              ;   Parent Loop BB34_3 Depth=1
                                        ; =>  This Loop Header: Depth=2
                                        ;       Child Loop BB34_66 Depth 3
                                        ;       Child Loop BB34_69 Depth 3
	v_cmp_gt_i32_e32 vcc, s11, v2
	s_and_saveexec_b64 s[8:9], vcc
	s_cbranch_execz .LBB34_62
; %bb.64:                               ;   in Loop: Header=BB34_63 Depth=2
	v_ashrrev_i32_e32 v3, 31, v2
	v_lshlrev_b64 v[4:5], 2, v[2:3]
	v_mov_b32_e32 v0, s21
	v_add_co_u32_e32 v6, vcc, s20, v4
	v_addc_co_u32_e32 v7, vcc, v0, v5, vcc
	global_load_dword v0, v[6:7], off
	v_mov_b32_e32 v7, s23
	v_add_co_u32_e32 v6, vcc, s22, v4
	v_addc_co_u32_e32 v7, vcc, v7, v5, vcc
	global_load_dword v7, v[6:7], off
	s_waitcnt vmcnt(1)
	v_add_u32_e32 v6, v14, v0
	s_waitcnt vmcnt(0)
	v_subrev_u32_e32 v0, s67, v7
	v_cmp_lt_i32_e32 vcc, v6, v0
	s_and_saveexec_b64 s[46:47], vcc
	s_cbranch_execz .LBB34_67
; %bb.65:                               ;   in Loop: Header=BB34_63 Depth=2
	v_ashrrev_i32_e32 v7, 31, v6
	v_lshlrev_b64 v[9:10], 3, v[6:7]
	v_mov_b32_e32 v8, s35
	v_add_co_u32_e32 v7, vcc, s34, v9
	v_addc_co_u32_e32 v8, vcc, v8, v10, vcc
	v_mov_b32_e32 v11, s27
	v_add_co_u32_e32 v9, vcc, s26, v9
	v_addc_co_u32_e32 v10, vcc, v11, v10, vcc
	s_mov_b64 s[48:49], 0
.LBB34_66:                              ;   Parent Loop BB34_3 Depth=1
                                        ;     Parent Loop BB34_63 Depth=2
                                        ; =>    This Inner Loop Header: Depth=3
	global_load_dwordx2 v[17:18], v[7:8], off
	v_add_co_u32_e32 v7, vcc, 0x200, v7
	v_add_u32_e32 v6, 64, v6
	v_addc_co_u32_e32 v8, vcc, 0, v8, vcc
	v_cmp_ge_i32_e32 vcc, v6, v0
	s_or_b64 s[48:49], vcc, s[48:49]
	s_waitcnt vmcnt(0)
	global_store_dwordx2 v[9:10], v[17:18], off
	v_add_co_u32_e32 v9, vcc, 0x200, v9
	v_addc_co_u32_e32 v10, vcc, 0, v10, vcc
	s_andn2_b64 exec, exec, s[48:49]
	s_cbranch_execnz .LBB34_66
.LBB34_67:                              ;   in Loop: Header=BB34_63 Depth=2
	s_or_b64 exec, exec, s[46:47]
	v_mov_b32_e32 v0, s13
	v_add_co_u32_e32 v6, vcc, s12, v4
	v_addc_co_u32_e32 v7, vcc, v0, v5, vcc
	global_load_dword v0, v[6:7], off
	v_mov_b32_e32 v6, s15
	v_add_co_u32_e32 v4, vcc, s14, v4
	v_addc_co_u32_e32 v5, vcc, v6, v5, vcc
	global_load_dword v5, v[4:5], off
	s_waitcnt vmcnt(1)
	v_add_u32_e32 v4, v15, v0
	s_waitcnt vmcnt(0)
	v_subrev_u32_e32 v0, s68, v5
	v_cmp_lt_i32_e32 vcc, v4, v0
	s_and_saveexec_b64 s[46:47], vcc
	s_cbranch_execz .LBB34_70
; %bb.68:                               ;   in Loop: Header=BB34_63 Depth=2
	v_ashrrev_i32_e32 v5, 31, v4
	v_lshlrev_b64 v[7:8], 3, v[4:5]
	v_mov_b32_e32 v6, s45
	v_add_co_u32_e32 v5, vcc, s44, v7
	v_addc_co_u32_e32 v6, vcc, v6, v8, vcc
	v_mov_b32_e32 v9, s19
	v_add_co_u32_e32 v7, vcc, s18, v7
	v_addc_co_u32_e32 v8, vcc, v9, v8, vcc
	s_mov_b64 s[48:49], 0
.LBB34_69:                              ;   Parent Loop BB34_3 Depth=1
                                        ;     Parent Loop BB34_63 Depth=2
                                        ; =>    This Inner Loop Header: Depth=3
	global_load_dwordx2 v[9:10], v[5:6], off
	v_add_co_u32_e32 v5, vcc, 0x200, v5
	v_add_u32_e32 v4, 64, v4
	v_addc_co_u32_e32 v6, vcc, 0, v6, vcc
	v_cmp_ge_i32_e32 vcc, v4, v0
	s_or_b64 s[48:49], vcc, s[48:49]
	s_waitcnt vmcnt(0)
	global_store_dwordx2 v[7:8], v[9:10], off
	v_add_co_u32_e32 v7, vcc, 0x200, v7
	v_addc_co_u32_e32 v8, vcc, 0, v8, vcc
	s_andn2_b64 exec, exec, s[48:49]
	s_cbranch_execnz .LBB34_69
.LBB34_70:                              ;   in Loop: Header=BB34_63 Depth=2
	s_or_b64 exec, exec, s[46:47]
	s_and_b64 exec, exec, s[2:3]
	s_cbranch_execz .LBB34_62
; %bb.71:                               ;   in Loop: Header=BB34_63 Depth=2
	v_lshlrev_b64 v[3:4], 3, v[2:3]
	v_mov_b32_e32 v0, s31
	v_add_co_u32_e32 v5, vcc, s30, v3
	v_addc_co_u32_e32 v6, vcc, v0, v4, vcc
	global_load_dwordx2 v[5:6], v[5:6], off
	v_mov_b32_e32 v0, s29
	v_add_co_u32_e32 v3, vcc, s28, v3
	v_addc_co_u32_e32 v4, vcc, v0, v4, vcc
	s_waitcnt vmcnt(0)
	global_store_dwordx2 v[3:4], v[5:6], off
	s_branch .LBB34_62
.LBB34_72:
	s_endpgm
	.section	.rodata,"a",@progbits
	.p2align	6, 0x0
	.amdhsa_kernel _ZN9rocsparseL14kernel_freerunILi1024ELi64E21rocsparse_complex_numIfEiiEEvT3_S3_T2_PKS4_S6_PKS3_PKT1_21rocsparse_index_base_S6_S6_S8_PS9_SD_SC_S6_S6_S8_SD_SD_SC_SD_SD_
		.amdhsa_group_segment_fixed_size 0
		.amdhsa_private_segment_fixed_size 0
		.amdhsa_kernarg_size 168
		.amdhsa_user_sgpr_count 6
		.amdhsa_user_sgpr_private_segment_buffer 1
		.amdhsa_user_sgpr_dispatch_ptr 0
		.amdhsa_user_sgpr_queue_ptr 0
		.amdhsa_user_sgpr_kernarg_segment_ptr 1
		.amdhsa_user_sgpr_dispatch_id 0
		.amdhsa_user_sgpr_flat_scratch_init 0
		.amdhsa_user_sgpr_private_segment_size 0
		.amdhsa_uses_dynamic_stack 0
		.amdhsa_system_sgpr_private_segment_wavefront_offset 0
		.amdhsa_system_sgpr_workgroup_id_x 1
		.amdhsa_system_sgpr_workgroup_id_y 0
		.amdhsa_system_sgpr_workgroup_id_z 0
		.amdhsa_system_sgpr_workgroup_info 0
		.amdhsa_system_vgpr_workitem_id 0
		.amdhsa_next_free_vgpr 35
		.amdhsa_next_free_sgpr 76
		.amdhsa_reserve_vcc 1
		.amdhsa_reserve_flat_scratch 0
		.amdhsa_float_round_mode_32 0
		.amdhsa_float_round_mode_16_64 0
		.amdhsa_float_denorm_mode_32 3
		.amdhsa_float_denorm_mode_16_64 3
		.amdhsa_dx10_clamp 1
		.amdhsa_ieee_mode 1
		.amdhsa_fp16_overflow 0
		.amdhsa_exception_fp_ieee_invalid_op 0
		.amdhsa_exception_fp_denorm_src 0
		.amdhsa_exception_fp_ieee_div_zero 0
		.amdhsa_exception_fp_ieee_overflow 0
		.amdhsa_exception_fp_ieee_underflow 0
		.amdhsa_exception_fp_ieee_inexact 0
		.amdhsa_exception_int_div_zero 0
	.end_amdhsa_kernel
	.section	.text._ZN9rocsparseL14kernel_freerunILi1024ELi64E21rocsparse_complex_numIfEiiEEvT3_S3_T2_PKS4_S6_PKS3_PKT1_21rocsparse_index_base_S6_S6_S8_PS9_SD_SC_S6_S6_S8_SD_SD_SC_SD_SD_,"axG",@progbits,_ZN9rocsparseL14kernel_freerunILi1024ELi64E21rocsparse_complex_numIfEiiEEvT3_S3_T2_PKS4_S6_PKS3_PKT1_21rocsparse_index_base_S6_S6_S8_PS9_SD_SC_S6_S6_S8_SD_SD_SC_SD_SD_,comdat
.Lfunc_end34:
	.size	_ZN9rocsparseL14kernel_freerunILi1024ELi64E21rocsparse_complex_numIfEiiEEvT3_S3_T2_PKS4_S6_PKS3_PKT1_21rocsparse_index_base_S6_S6_S8_PS9_SD_SC_S6_S6_S8_SD_SD_SC_SD_SD_, .Lfunc_end34-_ZN9rocsparseL14kernel_freerunILi1024ELi64E21rocsparse_complex_numIfEiiEEvT3_S3_T2_PKS4_S6_PKS3_PKT1_21rocsparse_index_base_S6_S6_S8_PS9_SD_SC_S6_S6_S8_SD_SD_SC_SD_SD_
                                        ; -- End function
	.set _ZN9rocsparseL14kernel_freerunILi1024ELi64E21rocsparse_complex_numIfEiiEEvT3_S3_T2_PKS4_S6_PKS3_PKT1_21rocsparse_index_base_S6_S6_S8_PS9_SD_SC_S6_S6_S8_SD_SD_SC_SD_SD_.num_vgpr, 35
	.set _ZN9rocsparseL14kernel_freerunILi1024ELi64E21rocsparse_complex_numIfEiiEEvT3_S3_T2_PKS4_S6_PKS3_PKT1_21rocsparse_index_base_S6_S6_S8_PS9_SD_SC_S6_S6_S8_SD_SD_SC_SD_SD_.num_agpr, 0
	.set _ZN9rocsparseL14kernel_freerunILi1024ELi64E21rocsparse_complex_numIfEiiEEvT3_S3_T2_PKS4_S6_PKS3_PKT1_21rocsparse_index_base_S6_S6_S8_PS9_SD_SC_S6_S6_S8_SD_SD_SC_SD_SD_.numbered_sgpr, 76
	.set _ZN9rocsparseL14kernel_freerunILi1024ELi64E21rocsparse_complex_numIfEiiEEvT3_S3_T2_PKS4_S6_PKS3_PKT1_21rocsparse_index_base_S6_S6_S8_PS9_SD_SC_S6_S6_S8_SD_SD_SC_SD_SD_.num_named_barrier, 0
	.set _ZN9rocsparseL14kernel_freerunILi1024ELi64E21rocsparse_complex_numIfEiiEEvT3_S3_T2_PKS4_S6_PKS3_PKT1_21rocsparse_index_base_S6_S6_S8_PS9_SD_SC_S6_S6_S8_SD_SD_SC_SD_SD_.private_seg_size, 0
	.set _ZN9rocsparseL14kernel_freerunILi1024ELi64E21rocsparse_complex_numIfEiiEEvT3_S3_T2_PKS4_S6_PKS3_PKT1_21rocsparse_index_base_S6_S6_S8_PS9_SD_SC_S6_S6_S8_SD_SD_SC_SD_SD_.uses_vcc, 1
	.set _ZN9rocsparseL14kernel_freerunILi1024ELi64E21rocsparse_complex_numIfEiiEEvT3_S3_T2_PKS4_S6_PKS3_PKT1_21rocsparse_index_base_S6_S6_S8_PS9_SD_SC_S6_S6_S8_SD_SD_SC_SD_SD_.uses_flat_scratch, 0
	.set _ZN9rocsparseL14kernel_freerunILi1024ELi64E21rocsparse_complex_numIfEiiEEvT3_S3_T2_PKS4_S6_PKS3_PKT1_21rocsparse_index_base_S6_S6_S8_PS9_SD_SC_S6_S6_S8_SD_SD_SC_SD_SD_.has_dyn_sized_stack, 0
	.set _ZN9rocsparseL14kernel_freerunILi1024ELi64E21rocsparse_complex_numIfEiiEEvT3_S3_T2_PKS4_S6_PKS3_PKT1_21rocsparse_index_base_S6_S6_S8_PS9_SD_SC_S6_S6_S8_SD_SD_SC_SD_SD_.has_recursion, 0
	.set _ZN9rocsparseL14kernel_freerunILi1024ELi64E21rocsparse_complex_numIfEiiEEvT3_S3_T2_PKS4_S6_PKS3_PKT1_21rocsparse_index_base_S6_S6_S8_PS9_SD_SC_S6_S6_S8_SD_SD_SC_SD_SD_.has_indirect_call, 0
	.section	.AMDGPU.csdata,"",@progbits
; Kernel info:
; codeLenInByte = 3156
; TotalNumSgprs: 80
; NumVgprs: 35
; ScratchSize: 0
; MemoryBound: 0
; FloatMode: 240
; IeeeMode: 1
; LDSByteSize: 0 bytes/workgroup (compile time only)
; SGPRBlocks: 9
; VGPRBlocks: 8
; NumSGPRsForWavesPerEU: 80
; NumVGPRsForWavesPerEU: 35
; Occupancy: 7
; WaveLimiterHint : 1
; COMPUTE_PGM_RSRC2:SCRATCH_EN: 0
; COMPUTE_PGM_RSRC2:USER_SGPR: 6
; COMPUTE_PGM_RSRC2:TRAP_HANDLER: 0
; COMPUTE_PGM_RSRC2:TGID_X_EN: 1
; COMPUTE_PGM_RSRC2:TGID_Y_EN: 0
; COMPUTE_PGM_RSRC2:TGID_Z_EN: 0
; COMPUTE_PGM_RSRC2:TIDIG_COMP_CNT: 0
	.section	.text._ZN9rocsparseL6kernelILi1024ELi1E21rocsparse_complex_numIfEiiEEvbbbT3_PS3_NS_15floating_traitsIT1_E6data_tES3_T2_PKS9_SB_PKS3_PKS6_21rocsparse_index_base_SB_SB_SD_PS6_SH_SG_SB_SB_SD_SH_SH_SG_SH_SH_PS8_SI_PKS8_,"axG",@progbits,_ZN9rocsparseL6kernelILi1024ELi1E21rocsparse_complex_numIfEiiEEvbbbT3_PS3_NS_15floating_traitsIT1_E6data_tES3_T2_PKS9_SB_PKS3_PKS6_21rocsparse_index_base_SB_SB_SD_PS6_SH_SG_SB_SB_SD_SH_SH_SG_SH_SH_PS8_SI_PKS8_,comdat
	.globl	_ZN9rocsparseL6kernelILi1024ELi1E21rocsparse_complex_numIfEiiEEvbbbT3_PS3_NS_15floating_traitsIT1_E6data_tES3_T2_PKS9_SB_PKS3_PKS6_21rocsparse_index_base_SB_SB_SD_PS6_SH_SG_SB_SB_SD_SH_SH_SG_SH_SH_PS8_SI_PKS8_ ; -- Begin function _ZN9rocsparseL6kernelILi1024ELi1E21rocsparse_complex_numIfEiiEEvbbbT3_PS3_NS_15floating_traitsIT1_E6data_tES3_T2_PKS9_SB_PKS3_PKS6_21rocsparse_index_base_SB_SB_SD_PS6_SH_SG_SB_SB_SD_SH_SH_SG_SH_SH_PS8_SI_PKS8_
	.p2align	8
	.type	_ZN9rocsparseL6kernelILi1024ELi1E21rocsparse_complex_numIfEiiEEvbbbT3_PS3_NS_15floating_traitsIT1_E6data_tES3_T2_PKS9_SB_PKS3_PKS6_21rocsparse_index_base_SB_SB_SD_PS6_SH_SG_SB_SB_SD_SH_SH_SG_SH_SH_PS8_SI_PKS8_,@function
_ZN9rocsparseL6kernelILi1024ELi1E21rocsparse_complex_numIfEiiEEvbbbT3_PS3_NS_15floating_traitsIT1_E6data_tES3_T2_PKS9_SB_PKS3_PKS6_21rocsparse_index_base_SB_SB_SD_PS6_SH_SG_SB_SB_SD_SH_SH_SG_SH_SH_PS8_SI_PKS8_: ; @_ZN9rocsparseL6kernelILi1024ELi1E21rocsparse_complex_numIfEiiEEvbbbT3_PS3_NS_15floating_traitsIT1_E6data_tES3_T2_PKS9_SB_PKS3_PKS6_21rocsparse_index_base_SB_SB_SD_PS6_SH_SG_SB_SB_SD_SH_SH_SG_SH_SH_PS8_SI_PKS8_
; %bb.0:
	s_load_dword s0, s[4:5], 0x0
	s_load_dwordx2 s[2:3], s[4:5], 0x0
	s_load_dwordx2 s[70:71], s[4:5], 0x10
	s_load_dwordx4 s[8:11], s[4:5], 0xb8
                                        ; implicit-def: $vgpr37 : SGPR spill to VGPR lane
	v_lshlrev_b32_e32 v17, 2, v0
	s_waitcnt lgkmcnt(0)
	s_bitcmp1_b32 s0, 0
	s_cselect_b64 s[66:67], -1, 0
	s_bitcmp1_b32 s0, 8
	s_cselect_b64 s[64:65], -1, 0
	;; [unrolled: 2-line block ×3, first 2 shown]
	s_lshl_b32 s63, s6, 10
	s_mov_b32 s1, s3
	v_or_b32_e32 v1, s63, v0
	v_writelane_b32 v37, s0, 0
	s_cmp_gt_i32 s3, 0
	v_cmp_gt_i32_e32 vcc, s71, v1
	v_writelane_b32 v37, s1, 1
	s_cselect_b64 s[0:1], -1, 0
	s_mov_b32 s33, 0
	v_mov_b32_e32 v2, 0
	s_and_b64 s[0:1], s[0:1], vcc
	v_mov_b32_e32 v19, 0
	v_mov_b32_e32 v18, 0
	ds_write_b32 v17, v2
	s_waitcnt lgkmcnt(0)
	s_barrier
	s_and_saveexec_b64 s[2:3], s[0:1]
	s_cbranch_execnz .LBB35_3
; %bb.1:
	s_or_b64 exec, exec, s[2:3]
	s_andn2_b64 vcc, exec, s[66:67]
	s_cbranch_vccz .LBB35_185
.LBB35_2:
	v_cmp_eq_u32_e32 vcc, 0, v0
	s_and_b64 s[0:1], vcc, s[64:65]
	s_and_saveexec_b64 s[2:3], s[0:1]
	s_cbranch_execnz .LBB35_209
	s_branch .LBB35_215
.LBB35_3:
	s_load_dwordx8 s[36:43], s[4:5], 0x48
	s_load_dwordx8 s[44:51], s[4:5], 0x20
	v_ashrrev_i32_e32 v2, 31, v1
	v_lshlrev_b64 v[2:3], 2, v[1:2]
	s_load_dwordx2 s[0:1], s[4:5], 0xc8
	s_waitcnt lgkmcnt(0)
	v_mov_b32_e32 v5, s39
	v_add_co_u32_e32 v4, vcc, s38, v2
	v_addc_co_u32_e32 v5, vcc, v5, v3, vcc
	v_mov_b32_e32 v7, s37
	v_add_co_u32_e32 v6, vcc, s36, v2
	v_addc_co_u32_e32 v7, vcc, v7, v3, vcc
	;; [unrolled: 3-line block ×3, first 2 shown]
	v_mov_b32_e32 v10, s47
	v_add_co_u32_e32 v2, vcc, s46, v2
	global_load_dword v11, v[4:5], off
	global_load_dword v12, v[6:7], off
	v_addc_co_u32_e32 v3, vcc, v10, v3, vcc
	global_load_dword v5, v[2:3], off
	global_load_dword v6, v[8:9], off
	v_writelane_b32 v37, s2, 2
	v_writelane_b32 v37, s3, 3
	v_writelane_b32 v37, s0, 4
	v_writelane_b32 v37, s1, 5
	s_xor_b64 s[0:1], s[64:65], -1
	s_load_dwordx4 s[44:47], s[4:5], 0xa8
	s_load_dwordx8 s[52:59], s[4:5], 0x78
	v_writelane_b32 v37, s0, 6
	s_load_dword s60, s[4:5], 0x40
	s_load_dwordx2 s[78:79], s[4:5], 0x68
	s_load_dword s61, s[4:5], 0x70
	s_load_dwordx2 s[80:81], s[4:5], 0x98
	v_writelane_b32 v37, s1, 7
	v_writelane_b32 v37, s4, 8
	s_and_b64 s[24:25], s[64:65], s[34:35]
	v_writelane_b32 v37, s5, 9
	s_xor_b64 s[24:25], s[24:25], -1
	v_writelane_b32 v37, s24, 10
	v_writelane_b32 v37, s25, 11
	s_load_dword s62, s[4:5], 0xa0
	v_mov_b32_e32 v2, s41
	s_addk_i32 s63, 0x400
	s_movk_i32 s18, 0x200
	s_movk_i32 s20, 0x100
	;; [unrolled: 1-line block ×3, first 2 shown]
	v_mov_b32_e32 v10, s43
	v_cmp_gt_u32_e64 s[4:5], 64, v0
	v_cmp_gt_u32_e64 s[2:3], 32, v0
	;; [unrolled: 1-line block ×6, first 2 shown]
	v_cmp_eq_u32_e64 s[14:15], 0, v0
	v_mov_b32_e32 v3, 0
	s_mov_b32 s0, 0xf800000
	v_mov_b32_e32 v20, 0x260
	s_movk_i32 s1, 0x1f8
	v_mov_b32_e32 v18, 0
	v_mov_b32_e32 v19, 0
	v_cmp_gt_u32_e64 s[16:17], s63, v1
	v_cmp_gt_u32_e64 s[18:19], s18, v0
	v_cmp_gt_u32_e64 s[20:21], s20, v0
	v_cmp_gt_u32_e64 s[22:23], s22, v0
	s_mov_b64 s[84:85], 0
	s_waitcnt vmcnt(2) lgkmcnt(0)
	v_subrev_u32_e32 v4, s61, v12
	v_sub_u32_e32 v21, v11, v12
	s_waitcnt vmcnt(1)
	v_subrev_u32_e32 v22, s60, v5
	s_waitcnt vmcnt(0)
	v_cmp_lt_i32_e64 s[24:25], v6, v5
	v_ashrrev_i32_e32 v5, 31, v4
	v_subrev_u32_e32 v23, s60, v6
	v_lshlrev_b64 v[6:7], 2, v[4:5]
	v_lshlrev_b64 v[8:9], 3, v[4:5]
	v_add_co_u32_e32 v24, vcc, s40, v6
	v_addc_co_u32_e32 v25, vcc, v2, v7, vcc
	v_add_co_u32_e32 v26, vcc, s42, v8
	v_cmp_lt_i32_e64 s[26:27], 0, v21
	v_addc_co_u32_e32 v27, vcc, v10, v9, vcc
	s_branch .LBB35_5
.LBB35_4:                               ;   in Loop: Header=BB35_5 Depth=1
	s_or_b64 exec, exec, s[28:29]
	s_and_b64 s[28:29], exec, s[30:31]
	s_or_b64 s[84:85], s[28:29], s[84:85]
	s_andn2_b64 exec, exec, s[84:85]
	s_cbranch_execz .LBB35_184
.LBB35_5:                               ; =>This Loop Header: Depth=1
                                        ;     Child Loop BB35_12 Depth 2
                                        ;       Child Loop BB35_16 Depth 3
                                        ;       Child Loop BB35_51 Depth 3
	;; [unrolled: 1-line block ×5, first 2 shown]
                                        ;     Child Loop BB35_165 Depth 2
                                        ;       Child Loop BB35_168 Depth 3
                                        ;       Child Loop BB35_171 Depth 3
	v_cndmask_b32_e64 v19, v19, 0, s[64:65]
	v_cndmask_b32_e64 v18, v18, 0, s[34:35]
	s_and_saveexec_b64 s[86:87], s[24:25]
	s_cbranch_execnz .LBB35_9
; %bb.6:                                ;   in Loop: Header=BB35_5 Depth=1
	s_or_b64 exec, exec, s[86:87]
	s_andn2_b64 vcc, exec, s[64:65]
	s_cbranch_vccz .LBB35_120
.LBB35_7:                               ;   in Loop: Header=BB35_5 Depth=1
	s_andn2_b64 vcc, exec, s[34:35]
	s_cbranch_vccz .LBB35_141
.LBB35_8:                               ;   in Loop: Header=BB35_5 Depth=1
	s_and_saveexec_b64 s[28:29], s[16:17]
	s_cbranch_execnz .LBB35_162
	s_branch .LBB35_172
.LBB35_9:                               ;   in Loop: Header=BB35_5 Depth=1
	s_mov_b64 s[88:89], 0
	v_mov_b32_e32 v5, v23
	s_branch .LBB35_12
.LBB35_10:                              ;   in Loop: Header=BB35_12 Depth=2
	s_or_b64 exec, exec, s[28:29]
.LBB35_11:                              ;   in Loop: Header=BB35_12 Depth=2
	s_or_b64 exec, exec, s[30:31]
	v_add_u32_e32 v5, 1, v5
	v_cmp_ge_i32_e32 vcc, v5, v22
	s_or_b64 s[88:89], vcc, s[88:89]
	s_andn2_b64 exec, exec, s[88:89]
	s_cbranch_execz .LBB35_119
.LBB35_12:                              ;   Parent Loop BB35_5 Depth=1
                                        ; =>  This Loop Header: Depth=2
                                        ;       Child Loop BB35_16 Depth 3
                                        ;       Child Loop BB35_51 Depth 3
	;; [unrolled: 1-line block ×5, first 2 shown]
	v_ashrrev_i32_e32 v6, 31, v5
	v_lshlrev_b64 v[7:8], 2, v[5:6]
	v_mov_b32_e32 v2, s49
	v_add_co_u32_e32 v7, vcc, s48, v7
	v_addc_co_u32_e32 v8, vcc, v2, v8, vcc
	global_load_dword v2, v[7:8], off
	v_mov_b32_e32 v12, s53
	v_mov_b32_e32 v13, s55
	;; [unrolled: 1-line block ×4, first 2 shown]
	s_waitcnt vmcnt(0)
	v_subrev_u32_e32 v7, s60, v2
	v_ashrrev_i32_e32 v8, 31, v7
	v_lshlrev_b64 v[9:10], 2, v[7:8]
	v_mov_b32_e32 v2, 0
	v_add_co_u32_e32 v11, vcc, s52, v9
	v_addc_co_u32_e32 v12, vcc, v12, v10, vcc
	v_add_co_u32_e32 v9, vcc, s54, v9
	v_addc_co_u32_e32 v10, vcc, v13, v10, vcc
	global_load_dword v12, v[11:12], off
	s_nop 0
	global_load_dword v9, v[9:10], off
	s_waitcnt vmcnt(1)
	v_subrev_u32_e32 v11, s62, v12
	s_waitcnt vmcnt(0)
	v_sub_u32_e32 v30, v9, v12
	v_mov_b32_e32 v12, v2
	s_and_saveexec_b64 s[28:29], s[26:27]
	s_cbranch_execz .LBB35_20
; %bb.13:                               ;   in Loop: Header=BB35_12 Depth=2
	v_ashrrev_i32_e32 v12, 31, v11
	v_lshlrev_b64 v[9:10], 2, v[11:12]
	v_mov_b32_e32 v2, s57
	v_add_co_u32_e32 v9, vcc, s56, v9
	v_lshlrev_b64 v[12:13], 3, v[11:12]
	v_addc_co_u32_e32 v10, vcc, v2, v10, vcc
	v_mov_b32_e32 v2, s59
	v_add_co_u32_e32 v14, vcc, s58, v12
	v_mov_b32_e32 v12, 0
	v_addc_co_u32_e32 v15, vcc, v2, v13, vcc
	v_mov_b32_e32 v28, 0
	s_mov_b64 s[30:31], 0
	v_mov_b32_e32 v2, v12
	v_mov_b32_e32 v29, 0
                                        ; implicit-def: $sgpr72_sgpr73
	s_branch .LBB35_16
.LBB35_14:                              ;   in Loop: Header=BB35_16 Depth=3
	s_or_b64 exec, exec, s[74:75]
	v_cmp_le_i32_e32 vcc, v16, v31
	v_addc_co_u32_e32 v2, vcc, 0, v2, vcc
	v_cmp_ge_i32_e32 vcc, v16, v31
	v_addc_co_u32_e32 v12, vcc, 0, v12, vcc
	v_cmp_ge_i32_e32 vcc, v2, v21
	s_andn2_b64 s[68:69], s[72:73], exec
	s_and_b64 s[72:73], vcc, exec
	s_or_b64 s[72:73], s[68:69], s[72:73]
.LBB35_15:                              ;   in Loop: Header=BB35_16 Depth=3
	s_or_b64 exec, exec, s[76:77]
	s_and_b64 s[68:69], exec, s[72:73]
	s_or_b64 s[30:31], s[68:69], s[30:31]
	s_andn2_b64 exec, exec, s[30:31]
	s_cbranch_execz .LBB35_19
.LBB35_16:                              ;   Parent Loop BB35_5 Depth=1
                                        ;     Parent Loop BB35_12 Depth=2
                                        ; =>    This Inner Loop Header: Depth=3
	v_cmp_lt_i32_e32 vcc, v12, v30
	s_or_b64 s[72:73], s[72:73], exec
	s_and_saveexec_b64 s[76:77], vcc
	s_cbranch_execz .LBB35_15
; %bb.17:                               ;   in Loop: Header=BB35_16 Depth=3
	v_lshlrev_b64 v[31:32], 2, v[2:3]
	v_mov_b32_e32 v13, v3
	v_add_co_u32_e32 v31, vcc, v24, v31
	v_addc_co_u32_e32 v32, vcc, v25, v32, vcc
	global_load_dword v16, v[31:32], off
	v_lshlrev_b64 v[31:32], 2, v[12:13]
	v_add_co_u32_e32 v31, vcc, v9, v31
	v_addc_co_u32_e32 v32, vcc, v10, v32, vcc
	global_load_dword v31, v[31:32], off
	s_waitcnt vmcnt(1)
	v_subrev_u32_e32 v16, s61, v16
	s_waitcnt vmcnt(0)
	v_subrev_u32_e32 v31, s62, v31
	v_cmp_eq_u32_e32 vcc, v16, v31
	s_and_saveexec_b64 s[74:75], vcc
	s_cbranch_execz .LBB35_14
; %bb.18:                               ;   in Loop: Header=BB35_16 Depth=3
	v_lshlrev_b64 v[32:33], 3, v[2:3]
	v_lshlrev_b64 v[34:35], 3, v[12:13]
	v_add_co_u32_e32 v32, vcc, v26, v32
	v_addc_co_u32_e32 v33, vcc, v27, v33, vcc
	v_add_co_u32_e32 v34, vcc, v14, v34
	v_addc_co_u32_e32 v35, vcc, v15, v35, vcc
	global_load_dwordx2 v[32:33], v[32:33], off
	s_nop 0
	global_load_dwordx2 v[34:35], v[34:35], off
	s_waitcnt vmcnt(0)
	v_fmac_f32_e32 v28, v32, v34
	v_fmac_f32_e32 v29, v33, v34
	v_fma_f32 v28, -v33, v35, v28
	v_fmac_f32_e32 v29, v32, v35
	s_branch .LBB35_14
.LBB35_19:                              ;   in Loop: Header=BB35_12 Depth=2
	s_or_b64 exec, exec, s[30:31]
.LBB35_20:                              ;   in Loop: Header=BB35_12 Depth=2
	s_or_b64 exec, exec, s[28:29]
	v_lshlrev_b64 v[9:10], 3, v[5:6]
	v_mov_b32_e32 v6, s51
	v_add_co_u32_e32 v9, vcc, s50, v9
	v_addc_co_u32_e32 v10, vcc, v6, v10, vcc
	global_load_dwordx2 v[9:10], v[9:10], off
	v_cmp_le_i32_e64 s[28:29], v1, v7
	v_cmp_gt_i32_e32 vcc, v1, v7
	s_waitcnt vmcnt(0)
	v_sub_f32_e32 v13, v9, v28
	v_sub_f32_e32 v14, v10, v29
	s_and_saveexec_b64 s[72:73], vcc
	s_cbranch_execz .LBB35_30
; %bb.21:                               ;   in Loop: Header=BB35_12 Depth=2
	v_lshlrev_b64 v[15:16], 3, v[7:8]
	v_mov_b32_e32 v6, s45
	v_add_co_u32_e32 v15, vcc, s44, v15
	v_addc_co_u32_e32 v16, vcc, v6, v16, vcc
	global_load_dwordx2 v[15:16], v[15:16], off
                                        ; implicit-def: $vgpr32
	s_waitcnt vmcnt(0)
	v_cmp_gt_f32_e32 vcc, 0, v15
	v_cndmask_b32_e64 v6, v15, -v15, vcc
	v_cmp_gt_f32_e32 vcc, 0, v16
	v_cndmask_b32_e64 v31, v16, -v16, vcc
	v_cmp_ngt_f32_e32 vcc, v6, v31
	s_and_saveexec_b64 s[30:31], vcc
	s_xor_b64 s[74:75], exec, s[30:31]
	s_cbranch_execz .LBB35_25
; %bb.22:                               ;   in Loop: Header=BB35_12 Depth=2
	v_mov_b32_e32 v32, 0
	v_cmp_neq_f32_e32 vcc, 0, v16
	s_and_saveexec_b64 s[76:77], vcc
	s_cbranch_execz .LBB35_24
; %bb.23:                               ;   in Loop: Header=BB35_12 Depth=2
	v_div_scale_f32 v32, s[30:31], v31, v31, v6
	v_div_scale_f32 v33, vcc, v6, v31, v6
	v_rcp_f32_e32 v34, v32
	v_fma_f32 v35, -v32, v34, 1.0
	v_fmac_f32_e32 v34, v35, v34
	v_mul_f32_e32 v35, v33, v34
	v_fma_f32 v36, -v32, v35, v33
	v_fmac_f32_e32 v35, v36, v34
	v_fma_f32 v32, -v32, v35, v33
	v_div_fmas_f32 v32, v32, v34, v35
	v_div_fixup_f32 v6, v32, v31, v6
	v_fma_f32 v6, v6, v6, 1.0
	v_mul_f32_e32 v32, 0x4f800000, v6
	v_cmp_gt_f32_e32 vcc, s0, v6
	v_cndmask_b32_e32 v6, v6, v32, vcc
	v_sqrt_f32_e32 v32, v6
	v_add_u32_e32 v33, -1, v32
	v_add_u32_e32 v34, 1, v32
	v_fma_f32 v35, -v33, v32, v6
	v_fma_f32 v36, -v34, v32, v6
	v_cmp_ge_f32_e64 s[30:31], 0, v35
	v_cndmask_b32_e64 v32, v32, v33, s[30:31]
	v_cmp_lt_f32_e64 s[30:31], 0, v36
	v_cndmask_b32_e64 v32, v32, v34, s[30:31]
	v_mul_f32_e32 v33, 0x37800000, v32
	v_cndmask_b32_e32 v32, v32, v33, vcc
	v_cmp_class_f32_e32 vcc, v6, v20
	v_cndmask_b32_e32 v6, v32, v6, vcc
	v_mul_f32_e32 v32, v31, v6
.LBB35_24:                              ;   in Loop: Header=BB35_12 Depth=2
	s_or_b64 exec, exec, s[76:77]
                                        ; implicit-def: $vgpr6
                                        ; implicit-def: $vgpr31
.LBB35_25:                              ;   in Loop: Header=BB35_12 Depth=2
	s_andn2_saveexec_b64 s[74:75], s[74:75]
	s_cbranch_execz .LBB35_27
; %bb.26:                               ;   in Loop: Header=BB35_12 Depth=2
	v_div_scale_f32 v32, s[30:31], v6, v6, v31
	v_div_scale_f32 v33, vcc, v31, v6, v31
	v_rcp_f32_e32 v34, v32
	v_fma_f32 v35, -v32, v34, 1.0
	v_fmac_f32_e32 v34, v35, v34
	v_mul_f32_e32 v35, v33, v34
	v_fma_f32 v36, -v32, v35, v33
	v_fmac_f32_e32 v35, v36, v34
	v_fma_f32 v32, -v32, v35, v33
	v_div_fmas_f32 v32, v32, v34, v35
	v_div_fixup_f32 v31, v32, v6, v31
	v_fma_f32 v31, v31, v31, 1.0
	v_mul_f32_e32 v32, 0x4f800000, v31
	v_cmp_gt_f32_e32 vcc, s0, v31
	v_cndmask_b32_e32 v31, v31, v32, vcc
	v_sqrt_f32_e32 v32, v31
	v_add_u32_e32 v33, -1, v32
	v_add_u32_e32 v34, 1, v32
	v_fma_f32 v35, -v33, v32, v31
	v_fma_f32 v36, -v34, v32, v31
	v_cmp_ge_f32_e64 s[30:31], 0, v35
	v_cndmask_b32_e64 v32, v32, v33, s[30:31]
	v_cmp_lt_f32_e64 s[30:31], 0, v36
	v_cndmask_b32_e64 v32, v32, v34, s[30:31]
	v_mul_f32_e32 v33, 0x37800000, v32
	v_cndmask_b32_e32 v32, v32, v33, vcc
	v_cmp_class_f32_e32 vcc, v31, v20
	v_cndmask_b32_e32 v31, v32, v31, vcc
	v_mul_f32_e32 v32, v6, v31
.LBB35_27:                              ;   in Loop: Header=BB35_12 Depth=2
	s_or_b64 exec, exec, s[74:75]
	v_mov_b32_e32 v6, 0
	v_cmp_lt_f32_e32 vcc, 0, v32
	v_mov_b32_e32 v31, 0
	s_and_saveexec_b64 s[30:31], vcc
	s_cbranch_execz .LBB35_29
; %bb.28:                               ;   in Loop: Header=BB35_12 Depth=2
	v_mul_f32_e32 v6, v16, v16
	v_fmac_f32_e32 v6, v15, v15
	v_div_scale_f32 v31, s[68:69], v6, v6, 1.0
	v_div_scale_f32 v32, vcc, 1.0, v6, 1.0
	v_rcp_f32_e32 v33, v31
	v_fma_f32 v34, -v31, v33, 1.0
	v_fmac_f32_e32 v33, v34, v33
	v_mul_f32_e32 v34, v32, v33
	v_fma_f32 v35, -v31, v34, v32
	v_fmac_f32_e32 v34, v35, v33
	v_fma_f32 v31, -v31, v34, v32
	v_div_fmas_f32 v31, v31, v33, v34
	v_mul_f32_e32 v32, v14, v16
	v_mul_f32_e64 v16, v16, -v13
	v_fmac_f32_e32 v32, v13, v15
	v_fmac_f32_e32 v16, v14, v15
	v_div_fixup_f32 v6, v31, v6, 1.0
	v_mul_f32_e32 v31, v32, v6
	v_mul_f32_e32 v6, v16, v6
.LBB35_29:                              ;   in Loop: Header=BB35_12 Depth=2
	s_or_b64 exec, exec, s[30:31]
	v_mov_b32_e32 v14, v6
	v_mov_b32_e32 v13, v31
.LBB35_30:                              ;   in Loop: Header=BB35_12 Depth=2
	s_or_b64 exec, exec, s[72:73]
	v_cmp_gt_f32_e32 vcc, 0, v13
	v_cndmask_b32_e64 v6, v13, -v13, vcc
	v_cmp_gt_f32_e32 vcc, 0, v14
	v_cndmask_b32_e64 v15, v14, -v14, vcc
	v_cmp_ngt_f32_e32 vcc, v6, v15
                                        ; implicit-def: $vgpr16
	s_and_saveexec_b64 s[30:31], vcc
	s_xor_b64 s[72:73], exec, s[30:31]
	s_cbranch_execnz .LBB35_34
; %bb.31:                               ;   in Loop: Header=BB35_12 Depth=2
	s_andn2_saveexec_b64 s[72:73], s[72:73]
	s_cbranch_execnz .LBB35_37
.LBB35_32:                              ;   in Loop: Header=BB35_12 Depth=2
	s_or_b64 exec, exec, s[72:73]
	v_cmp_class_f32_e64 s[30:31], v16, s1
	s_and_saveexec_b64 s[90:91], s[30:31]
	s_cbranch_execnz .LBB35_38
.LBB35_33:                              ;   in Loop: Header=BB35_12 Depth=2
	s_or_b64 exec, exec, s[90:91]
	s_and_b64 s[28:29], s[34:35], s[30:31]
	s_and_saveexec_b64 s[30:31], s[28:29]
	s_cbranch_execz .LBB35_11
	s_branch .LBB35_79
.LBB35_34:                              ;   in Loop: Header=BB35_12 Depth=2
	v_mov_b32_e32 v16, 0
	v_cmp_neq_f32_e32 vcc, 0, v14
	s_and_saveexec_b64 s[74:75], vcc
	s_cbranch_execz .LBB35_36
; %bb.35:                               ;   in Loop: Header=BB35_12 Depth=2
	v_div_scale_f32 v16, s[30:31], v15, v15, v6
	v_div_scale_f32 v31, vcc, v6, v15, v6
	v_rcp_f32_e32 v32, v16
	v_fma_f32 v33, -v16, v32, 1.0
	v_fmac_f32_e32 v32, v33, v32
	v_mul_f32_e32 v33, v31, v32
	v_fma_f32 v34, -v16, v33, v31
	v_fmac_f32_e32 v33, v34, v32
	v_fma_f32 v16, -v16, v33, v31
	v_div_fmas_f32 v16, v16, v32, v33
	v_div_fixup_f32 v6, v16, v15, v6
	v_fma_f32 v6, v6, v6, 1.0
	v_mul_f32_e32 v16, 0x4f800000, v6
	v_cmp_gt_f32_e32 vcc, s0, v6
	v_cndmask_b32_e32 v6, v6, v16, vcc
	v_sqrt_f32_e32 v16, v6
	v_add_u32_e32 v31, -1, v16
	v_add_u32_e32 v32, 1, v16
	v_fma_f32 v33, -v31, v16, v6
	v_fma_f32 v34, -v32, v16, v6
	v_cmp_ge_f32_e64 s[30:31], 0, v33
	v_cndmask_b32_e64 v16, v16, v31, s[30:31]
	v_cmp_lt_f32_e64 s[30:31], 0, v34
	v_cndmask_b32_e64 v16, v16, v32, s[30:31]
	v_mul_f32_e32 v31, 0x37800000, v16
	v_cndmask_b32_e32 v16, v16, v31, vcc
	v_cmp_class_f32_e32 vcc, v6, v20
	v_cndmask_b32_e32 v6, v16, v6, vcc
	v_mul_f32_e32 v16, v15, v6
.LBB35_36:                              ;   in Loop: Header=BB35_12 Depth=2
	s_or_b64 exec, exec, s[74:75]
                                        ; implicit-def: $vgpr6
                                        ; implicit-def: $vgpr15
	s_andn2_saveexec_b64 s[72:73], s[72:73]
	s_cbranch_execz .LBB35_32
.LBB35_37:                              ;   in Loop: Header=BB35_12 Depth=2
	v_div_scale_f32 v16, s[30:31], v6, v6, v15
	v_div_scale_f32 v31, vcc, v15, v6, v15
	v_rcp_f32_e32 v32, v16
	v_fma_f32 v33, -v16, v32, 1.0
	v_fmac_f32_e32 v32, v33, v32
	v_mul_f32_e32 v33, v31, v32
	v_fma_f32 v34, -v16, v33, v31
	v_fmac_f32_e32 v33, v34, v32
	v_fma_f32 v16, -v16, v33, v31
	v_div_fmas_f32 v16, v16, v32, v33
	v_div_fixup_f32 v15, v16, v6, v15
	v_fma_f32 v15, v15, v15, 1.0
	v_mul_f32_e32 v16, 0x4f800000, v15
	v_cmp_gt_f32_e32 vcc, s0, v15
	v_cndmask_b32_e32 v15, v15, v16, vcc
	v_sqrt_f32_e32 v16, v15
	v_add_u32_e32 v31, -1, v16
	v_add_u32_e32 v32, 1, v16
	v_fma_f32 v33, -v31, v16, v15
	v_fma_f32 v34, -v32, v16, v15
	v_cmp_ge_f32_e64 s[30:31], 0, v33
	v_cndmask_b32_e64 v16, v16, v31, s[30:31]
	v_cmp_lt_f32_e64 s[30:31], 0, v34
	v_cndmask_b32_e64 v16, v16, v32, s[30:31]
	v_mul_f32_e32 v31, 0x37800000, v16
	v_cndmask_b32_e32 v16, v16, v31, vcc
	v_cmp_class_f32_e32 vcc, v15, v20
	v_cndmask_b32_e32 v15, v16, v15, vcc
	v_mul_f32_e32 v16, v6, v15
	s_or_b64 exec, exec, s[72:73]
	v_cmp_class_f32_e64 s[30:31], v16, s1
	s_and_saveexec_b64 s[90:91], s[30:31]
	s_cbranch_execz .LBB35_33
.LBB35_38:                              ;   in Loop: Header=BB35_12 Depth=2
	s_and_saveexec_b64 s[68:69], s[28:29]
	s_xor_b64 s[92:93], exec, s[68:69]
	s_cbranch_execz .LBB35_63
; %bb.39:                               ;   in Loop: Header=BB35_12 Depth=2
	v_cmp_ge_i32_e32 vcc, v1, v7
	s_and_saveexec_b64 s[28:29], vcc
	s_xor_b64 s[72:73], exec, s[28:29]
	s_cbranch_execz .LBB35_47
; %bb.40:                               ;   in Loop: Header=BB35_12 Depth=2
	v_lshlrev_b64 v[15:16], 3, v[7:8]
	v_mov_b32_e32 v6, s47
	v_add_co_u32_e32 v31, vcc, s46, v15
	v_addc_co_u32_e32 v32, vcc, v6, v16, vcc
	s_andn2_b64 vcc, exec, s[64:65]
	global_store_dwordx2 v[31:32], v[13:14], off
	s_cbranch_vccnz .LBB35_46
; %bb.41:                               ;   in Loop: Header=BB35_12 Depth=2
	v_mov_b32_e32 v6, s45
	v_add_co_u32_e32 v15, vcc, s44, v15
	v_addc_co_u32_e32 v16, vcc, v6, v16, vcc
	global_load_dwordx2 v[15:16], v[15:16], off
	s_waitcnt vmcnt(0)
	v_sub_f32_e32 v6, v15, v13
	v_sub_f32_e32 v15, v16, v14
	v_cmp_gt_f32_e32 vcc, 0, v6
	v_cndmask_b32_e64 v6, v6, -v6, vcc
	v_cmp_gt_f32_e32 vcc, 0, v15
	v_cndmask_b32_e64 v13, v15, -v15, vcc
	v_cmp_ngt_f32_e32 vcc, v6, v13
                                        ; implicit-def: $vgpr14
	s_and_saveexec_b64 s[28:29], vcc
	s_xor_b64 s[74:75], exec, s[28:29]
	s_cbranch_execnz .LBB35_107
; %bb.42:                               ;   in Loop: Header=BB35_12 Depth=2
	s_andn2_saveexec_b64 s[74:75], s[74:75]
	s_cbranch_execnz .LBB35_110
.LBB35_43:                              ;   in Loop: Header=BB35_12 Depth=2
	s_or_b64 exec, exec, s[74:75]
	v_cmp_class_f32_e64 s[68:69], v14, s1
	s_and_saveexec_b64 s[28:29], s[68:69]
.LBB35_44:                              ;   in Loop: Header=BB35_12 Depth=2
	v_cmp_lt_f32_e32 vcc, v19, v14
	v_cndmask_b32_e32 v19, v19, v14, vcc
.LBB35_45:                              ;   in Loop: Header=BB35_12 Depth=2
	s_or_b64 exec, exec, s[28:29]
.LBB35_46:                              ;   in Loop: Header=BB35_12 Depth=2
                                        ; implicit-def: $vgpr13
.LBB35_47:                              ;   in Loop: Header=BB35_12 Depth=2
	s_andn2_saveexec_b64 s[94:95], s[72:73]
	s_cbranch_execz .LBB35_62
; %bb.48:                               ;   in Loop: Header=BB35_12 Depth=2
	v_cmp_lt_i32_e32 vcc, v12, v30
	s_and_saveexec_b64 s[72:73], vcc
	s_cbranch_execz .LBB35_61
; %bb.49:                               ;   in Loop: Header=BB35_12 Depth=2
	s_mov_b64 s[28:29], 0
	v_mov_b32_e32 v6, v12
                                        ; implicit-def: $sgpr76_sgpr77
                                        ; implicit-def: $sgpr82_sgpr83
                                        ; implicit-def: $sgpr74_sgpr75
	s_branch .LBB35_51
.LBB35_50:                              ;   in Loop: Header=BB35_51 Depth=3
	s_or_b64 exec, exec, s[68:69]
	s_and_b64 s[68:69], exec, s[82:83]
	s_or_b64 s[28:29], s[68:69], s[28:29]
	s_andn2_b64 s[68:69], s[76:77], exec
	s_and_b64 s[76:77], s[74:75], exec
	s_or_b64 s[76:77], s[68:69], s[76:77]
	s_andn2_b64 exec, exec, s[28:29]
	s_cbranch_execz .LBB35_53
.LBB35_51:                              ;   Parent Loop BB35_5 Depth=1
                                        ;     Parent Loop BB35_12 Depth=2
                                        ; =>    This Inner Loop Header: Depth=3
	v_add_u32_e32 v15, v11, v6
	v_ashrrev_i32_e32 v16, 31, v15
	v_lshlrev_b64 v[31:32], 2, v[15:16]
	v_mov_b32_e32 v33, s57
	v_add_co_u32_e32 v31, vcc, s56, v31
	v_addc_co_u32_e32 v32, vcc, v33, v32, vcc
	global_load_dword v31, v[31:32], off
	s_or_b64 s[74:75], s[74:75], exec
	s_or_b64 s[82:83], s[82:83], exec
	s_waitcnt vmcnt(0)
	v_subrev_u32_e32 v31, s62, v31
	v_cmp_ne_u32_e32 vcc, v31, v1
	s_and_saveexec_b64 s[68:69], vcc
	s_cbranch_execz .LBB35_50
; %bb.52:                               ;   in Loop: Header=BB35_51 Depth=3
	v_add_u32_e32 v6, 1, v6
	v_cmp_ge_i32_e32 vcc, v6, v30
	s_andn2_b64 s[82:83], s[82:83], exec
	s_and_b64 vcc, vcc, exec
	s_andn2_b64 s[74:75], s[74:75], exec
	s_or_b64 s[82:83], s[82:83], vcc
	s_branch .LBB35_50
.LBB35_53:                              ;   in Loop: Header=BB35_12 Depth=2
	s_or_b64 exec, exec, s[28:29]
	s_and_saveexec_b64 s[28:29], s[76:77]
	s_xor_b64 s[76:77], exec, s[28:29]
	s_cbranch_execz .LBB35_60
; %bb.54:                               ;   in Loop: Header=BB35_12 Depth=2
	v_lshlrev_b64 v[15:16], 3, v[15:16]
	v_mov_b32_e32 v6, s81
	v_add_co_u32_e32 v31, vcc, s80, v15
	v_addc_co_u32_e32 v32, vcc, v6, v16, vcc
	s_andn2_b64 vcc, exec, s[64:65]
	global_store_dwordx2 v[31:32], v[13:14], off
	s_cbranch_vccnz .LBB35_60
; %bb.55:                               ;   in Loop: Header=BB35_12 Depth=2
	v_mov_b32_e32 v6, s59
	v_add_co_u32_e32 v15, vcc, s58, v15
	v_addc_co_u32_e32 v16, vcc, v6, v16, vcc
	global_load_dwordx2 v[15:16], v[15:16], off
	s_waitcnt vmcnt(0)
	v_sub_f32_e32 v6, v15, v13
	v_sub_f32_e32 v15, v16, v14
	v_cmp_gt_f32_e32 vcc, 0, v6
	v_cndmask_b32_e64 v6, v6, -v6, vcc
	v_cmp_gt_f32_e32 vcc, 0, v15
	v_cndmask_b32_e64 v13, v15, -v15, vcc
	v_cmp_ngt_f32_e32 vcc, v6, v13
                                        ; implicit-def: $vgpr14
	s_and_saveexec_b64 s[28:29], vcc
	s_xor_b64 s[74:75], exec, s[28:29]
	s_cbranch_execnz .LBB35_115
; %bb.56:                               ;   in Loop: Header=BB35_12 Depth=2
	s_andn2_saveexec_b64 s[74:75], s[74:75]
	s_cbranch_execnz .LBB35_118
.LBB35_57:                              ;   in Loop: Header=BB35_12 Depth=2
	s_or_b64 exec, exec, s[74:75]
	v_cmp_class_f32_e64 s[68:69], v14, s1
	s_and_saveexec_b64 s[28:29], s[68:69]
.LBB35_58:                              ;   in Loop: Header=BB35_12 Depth=2
	v_cmp_lt_f32_e32 vcc, v19, v14
	v_cndmask_b32_e32 v19, v19, v14, vcc
.LBB35_59:                              ;   in Loop: Header=BB35_12 Depth=2
	s_or_b64 exec, exec, s[28:29]
.LBB35_60:                              ;   in Loop: Header=BB35_12 Depth=2
	s_or_b64 exec, exec, s[76:77]
.LBB35_61:                              ;   in Loop: Header=BB35_12 Depth=2
	s_or_b64 exec, exec, s[72:73]
.LBB35_62:                              ;   in Loop: Header=BB35_12 Depth=2
	s_or_b64 exec, exec, s[94:95]
                                        ; implicit-def: $vgpr13
.LBB35_63:                              ;   in Loop: Header=BB35_12 Depth=2
	s_andn2_saveexec_b64 s[92:93], s[92:93]
	s_cbranch_execz .LBB35_78
; %bb.64:                               ;   in Loop: Header=BB35_12 Depth=2
	v_cmp_lt_i32_e32 vcc, v2, v21
	s_and_saveexec_b64 s[94:95], vcc
	s_cbranch_execz .LBB35_77
; %bb.65:                               ;   in Loop: Header=BB35_12 Depth=2
	s_mov_b64 s[28:29], 0
	v_mov_b32_e32 v6, v2
                                        ; implicit-def: $sgpr72_sgpr73
                                        ; implicit-def: $sgpr76_sgpr77
                                        ; implicit-def: $sgpr74_sgpr75
	s_branch .LBB35_67
.LBB35_66:                              ;   in Loop: Header=BB35_67 Depth=3
	s_or_b64 exec, exec, s[82:83]
	s_and_b64 s[68:69], exec, s[76:77]
	s_or_b64 s[28:29], s[68:69], s[28:29]
	s_andn2_b64 s[68:69], s[72:73], exec
	s_and_b64 s[72:73], s[74:75], exec
	s_or_b64 s[72:73], s[68:69], s[72:73]
	s_andn2_b64 exec, exec, s[28:29]
	s_cbranch_execz .LBB35_69
.LBB35_67:                              ;   Parent Loop BB35_5 Depth=1
                                        ;     Parent Loop BB35_12 Depth=2
                                        ; =>    This Inner Loop Header: Depth=3
	v_add_u32_e32 v15, v4, v6
	v_ashrrev_i32_e32 v16, 31, v15
	v_lshlrev_b64 v[31:32], 2, v[15:16]
	v_mov_b32_e32 v33, s41
	v_add_co_u32_e32 v31, vcc, s40, v31
	v_addc_co_u32_e32 v32, vcc, v33, v32, vcc
	global_load_dword v31, v[31:32], off
	s_or_b64 s[74:75], s[74:75], exec
	s_or_b64 s[76:77], s[76:77], exec
	s_waitcnt vmcnt(0)
	v_subrev_u32_e32 v31, s61, v31
	v_cmp_ne_u32_e32 vcc, v31, v7
	s_and_saveexec_b64 s[82:83], vcc
	s_cbranch_execz .LBB35_66
; %bb.68:                               ;   in Loop: Header=BB35_67 Depth=3
	v_add_u32_e32 v6, 1, v6
	v_cmp_ge_i32_e32 vcc, v6, v21
	s_andn2_b64 s[68:69], s[76:77], exec
	s_and_b64 s[76:77], vcc, exec
	s_andn2_b64 s[74:75], s[74:75], exec
	s_or_b64 s[76:77], s[68:69], s[76:77]
	s_branch .LBB35_66
.LBB35_69:                              ;   in Loop: Header=BB35_12 Depth=2
	s_or_b64 exec, exec, s[28:29]
	s_and_saveexec_b64 s[28:29], s[72:73]
	s_xor_b64 s[72:73], exec, s[28:29]
	s_cbranch_execz .LBB35_76
; %bb.70:                               ;   in Loop: Header=BB35_12 Depth=2
	v_lshlrev_b64 v[15:16], 3, v[15:16]
	v_mov_b32_e32 v6, s79
	v_add_co_u32_e32 v31, vcc, s78, v15
	v_addc_co_u32_e32 v32, vcc, v6, v16, vcc
	s_andn2_b64 vcc, exec, s[64:65]
	global_store_dwordx2 v[31:32], v[13:14], off
	s_cbranch_vccnz .LBB35_76
; %bb.71:                               ;   in Loop: Header=BB35_12 Depth=2
	v_mov_b32_e32 v6, s43
	v_add_co_u32_e32 v15, vcc, s42, v15
	v_addc_co_u32_e32 v16, vcc, v6, v16, vcc
	global_load_dwordx2 v[15:16], v[15:16], off
	s_waitcnt vmcnt(0)
	v_sub_f32_e32 v6, v15, v13
	v_sub_f32_e32 v15, v16, v14
	v_cmp_gt_f32_e32 vcc, 0, v6
	v_cndmask_b32_e64 v6, v6, -v6, vcc
	v_cmp_gt_f32_e32 vcc, 0, v15
	v_cndmask_b32_e64 v13, v15, -v15, vcc
	v_cmp_ngt_f32_e32 vcc, v6, v13
                                        ; implicit-def: $vgpr14
	s_and_saveexec_b64 s[28:29], vcc
	s_xor_b64 s[74:75], exec, s[28:29]
	s_cbranch_execnz .LBB35_111
; %bb.72:                               ;   in Loop: Header=BB35_12 Depth=2
	s_andn2_saveexec_b64 s[74:75], s[74:75]
	s_cbranch_execnz .LBB35_114
.LBB35_73:                              ;   in Loop: Header=BB35_12 Depth=2
	s_or_b64 exec, exec, s[74:75]
	v_cmp_class_f32_e64 s[68:69], v14, s1
	s_and_saveexec_b64 s[28:29], s[68:69]
.LBB35_74:                              ;   in Loop: Header=BB35_12 Depth=2
	v_cmp_lt_f32_e32 vcc, v19, v14
	v_cndmask_b32_e32 v19, v19, v14, vcc
.LBB35_75:                              ;   in Loop: Header=BB35_12 Depth=2
	s_or_b64 exec, exec, s[28:29]
.LBB35_76:                              ;   in Loop: Header=BB35_12 Depth=2
	s_or_b64 exec, exec, s[72:73]
.LBB35_77:                              ;   in Loop: Header=BB35_12 Depth=2
	s_or_b64 exec, exec, s[94:95]
.LBB35_78:                              ;   in Loop: Header=BB35_12 Depth=2
	s_or_b64 exec, exec, s[92:93]
	s_or_b64 exec, exec, s[90:91]
	s_and_b64 s[28:29], s[34:35], s[30:31]
	s_and_saveexec_b64 s[30:31], s[28:29]
	s_cbranch_execz .LBB35_11
.LBB35_79:                              ;   in Loop: Header=BB35_12 Depth=2
	v_cmp_ge_i32_e32 vcc, v12, v30
	s_and_saveexec_b64 s[28:29], vcc
	s_xor_b64 s[28:29], exec, s[28:29]
	s_cbranch_execnz .LBB35_86
; %bb.80:                               ;   in Loop: Header=BB35_12 Depth=2
	s_andn2_saveexec_b64 s[28:29], s[28:29]
	s_cbranch_execnz .LBB35_100
.LBB35_81:                              ;   in Loop: Header=BB35_12 Depth=2
	s_or_b64 exec, exec, s[28:29]
	v_cmp_eq_u32_e32 vcc, v1, v7
	s_and_saveexec_b64 s[28:29], vcc
	s_cbranch_execz .LBB35_83
.LBB35_82:                              ;   in Loop: Header=BB35_12 Depth=2
	v_lshlrev_b64 v[6:7], 3, v[7:8]
	v_mov_b32_e32 v2, s45
	v_add_co_u32_e32 v6, vcc, s44, v6
	v_addc_co_u32_e32 v7, vcc, v2, v7, vcc
	global_load_dwordx2 v[6:7], v[6:7], off
	s_waitcnt vmcnt(0)
	v_add_f32_e32 v28, v28, v6
	v_add_f32_e32 v29, v29, v7
.LBB35_83:                              ;   in Loop: Header=BB35_12 Depth=2
	s_or_b64 exec, exec, s[28:29]
	v_sub_f32_e32 v2, v9, v28
	v_sub_f32_e32 v8, v10, v29
	v_cmp_gt_f32_e32 vcc, 0, v2
	v_cndmask_b32_e64 v2, v2, -v2, vcc
	v_cmp_gt_f32_e32 vcc, 0, v8
	v_cndmask_b32_e64 v6, v8, -v8, vcc
	v_cmp_ngt_f32_e32 vcc, v2, v6
                                        ; implicit-def: $vgpr7
	s_and_saveexec_b64 s[28:29], vcc
	s_xor_b64 s[72:73], exec, s[28:29]
	s_cbranch_execnz .LBB35_91
; %bb.84:                               ;   in Loop: Header=BB35_12 Depth=2
	s_andn2_saveexec_b64 s[72:73], s[72:73]
	s_cbranch_execnz .LBB35_94
.LBB35_85:                              ;   in Loop: Header=BB35_12 Depth=2
	s_or_b64 exec, exec, s[72:73]
	v_cmp_class_f32_e64 s[68:69], v7, s1
	s_and_saveexec_b64 s[28:29], s[68:69]
	s_cbranch_execz .LBB35_10
	s_branch .LBB35_95
.LBB35_86:                              ;   in Loop: Header=BB35_12 Depth=2
	v_cmp_lt_i32_e32 vcc, v2, v21
	s_and_saveexec_b64 s[72:73], vcc
	s_cbranch_execz .LBB35_99
; %bb.87:                               ;   in Loop: Header=BB35_12 Depth=2
	s_mov_b64 s[90:91], 0
                                        ; implicit-def: $sgpr76_sgpr77
                                        ; implicit-def: $sgpr82_sgpr83
                                        ; implicit-def: $sgpr74_sgpr75
	s_branch .LBB35_89
.LBB35_88:                              ;   in Loop: Header=BB35_89 Depth=3
	s_or_b64 exec, exec, s[68:69]
	s_and_b64 s[68:69], exec, s[82:83]
	s_or_b64 s[90:91], s[68:69], s[90:91]
	s_andn2_b64 s[68:69], s[76:77], exec
	s_and_b64 s[76:77], s[74:75], exec
	s_or_b64 s[76:77], s[68:69], s[76:77]
	s_andn2_b64 exec, exec, s[90:91]
	s_cbranch_execz .LBB35_96
.LBB35_89:                              ;   Parent Loop BB35_5 Depth=1
                                        ;     Parent Loop BB35_12 Depth=2
                                        ; =>    This Inner Loop Header: Depth=3
	v_add_u32_e32 v11, v4, v2
	v_ashrrev_i32_e32 v12, 31, v11
	v_lshlrev_b64 v[13:14], 2, v[11:12]
	v_mov_b32_e32 v6, s41
	v_add_co_u32_e32 v13, vcc, s40, v13
	v_addc_co_u32_e32 v14, vcc, v6, v14, vcc
	global_load_dword v6, v[13:14], off
	s_or_b64 s[74:75], s[74:75], exec
	s_or_b64 s[82:83], s[82:83], exec
	s_waitcnt vmcnt(0)
	v_subrev_u32_e32 v6, s61, v6
	v_cmp_ne_u32_e32 vcc, v6, v7
	s_and_saveexec_b64 s[68:69], vcc
	s_cbranch_execz .LBB35_88
; %bb.90:                               ;   in Loop: Header=BB35_89 Depth=3
	v_add_u32_e32 v2, 1, v2
	v_cmp_ge_i32_e32 vcc, v2, v21
	s_andn2_b64 s[82:83], s[82:83], exec
	s_and_b64 s[92:93], vcc, exec
	s_andn2_b64 s[74:75], s[74:75], exec
	s_or_b64 s[82:83], s[82:83], s[92:93]
	s_branch .LBB35_88
.LBB35_91:                              ;   in Loop: Header=BB35_12 Depth=2
	v_mov_b32_e32 v7, 0
	v_cmp_neq_f32_e32 vcc, 0, v8
	s_and_saveexec_b64 s[74:75], vcc
	s_cbranch_execz .LBB35_93
; %bb.92:                               ;   in Loop: Header=BB35_12 Depth=2
	v_div_scale_f32 v7, s[28:29], v6, v6, v2
	v_div_scale_f32 v8, vcc, v2, v6, v2
	v_rcp_f32_e32 v9, v7
	v_fma_f32 v10, -v7, v9, 1.0
	v_fmac_f32_e32 v9, v10, v9
	v_mul_f32_e32 v10, v8, v9
	v_fma_f32 v11, -v7, v10, v8
	v_fmac_f32_e32 v10, v11, v9
	v_fma_f32 v7, -v7, v10, v8
	v_div_fmas_f32 v7, v7, v9, v10
	v_div_fixup_f32 v2, v7, v6, v2
	v_fma_f32 v2, v2, v2, 1.0
	v_mul_f32_e32 v7, 0x4f800000, v2
	v_cmp_gt_f32_e32 vcc, s0, v2
	v_cndmask_b32_e32 v2, v2, v7, vcc
	v_sqrt_f32_e32 v7, v2
	v_add_u32_e32 v8, -1, v7
	v_add_u32_e32 v9, 1, v7
	v_fma_f32 v10, -v8, v7, v2
	v_fma_f32 v11, -v9, v7, v2
	v_cmp_ge_f32_e64 s[28:29], 0, v10
	v_cndmask_b32_e64 v7, v7, v8, s[28:29]
	v_cmp_lt_f32_e64 s[28:29], 0, v11
	v_cndmask_b32_e64 v7, v7, v9, s[28:29]
	v_mul_f32_e32 v8, 0x37800000, v7
	v_cndmask_b32_e32 v7, v7, v8, vcc
	v_cmp_class_f32_e32 vcc, v2, v20
	v_cndmask_b32_e32 v2, v7, v2, vcc
	v_mul_f32_e32 v7, v6, v2
.LBB35_93:                              ;   in Loop: Header=BB35_12 Depth=2
	s_or_b64 exec, exec, s[74:75]
                                        ; implicit-def: $vgpr2
                                        ; implicit-def: $vgpr6
	s_andn2_saveexec_b64 s[72:73], s[72:73]
	s_cbranch_execz .LBB35_85
.LBB35_94:                              ;   in Loop: Header=BB35_12 Depth=2
	v_div_scale_f32 v7, s[28:29], v2, v2, v6
	v_div_scale_f32 v8, vcc, v6, v2, v6
	v_rcp_f32_e32 v9, v7
	v_fma_f32 v10, -v7, v9, 1.0
	v_fmac_f32_e32 v9, v10, v9
	v_mul_f32_e32 v10, v8, v9
	v_fma_f32 v11, -v7, v10, v8
	v_fmac_f32_e32 v10, v11, v9
	v_fma_f32 v7, -v7, v10, v8
	v_div_fmas_f32 v7, v7, v9, v10
	v_div_fixup_f32 v6, v7, v2, v6
	v_fma_f32 v6, v6, v6, 1.0
	v_mul_f32_e32 v7, 0x4f800000, v6
	v_cmp_gt_f32_e32 vcc, s0, v6
	v_cndmask_b32_e32 v6, v6, v7, vcc
	v_sqrt_f32_e32 v7, v6
	v_add_u32_e32 v8, -1, v7
	v_add_u32_e32 v9, 1, v7
	v_fma_f32 v10, -v8, v7, v6
	v_fma_f32 v11, -v9, v7, v6
	v_cmp_ge_f32_e64 s[28:29], 0, v10
	v_cndmask_b32_e64 v7, v7, v8, s[28:29]
	v_cmp_lt_f32_e64 s[28:29], 0, v11
	v_cndmask_b32_e64 v7, v7, v9, s[28:29]
	v_mul_f32_e32 v8, 0x37800000, v7
	v_cndmask_b32_e32 v7, v7, v8, vcc
	v_cmp_class_f32_e32 vcc, v6, v20
	v_cndmask_b32_e32 v6, v7, v6, vcc
	v_mul_f32_e32 v7, v2, v6
	s_or_b64 exec, exec, s[72:73]
	v_cmp_class_f32_e64 s[68:69], v7, s1
	s_and_saveexec_b64 s[28:29], s[68:69]
	s_cbranch_execz .LBB35_10
.LBB35_95:                              ;   in Loop: Header=BB35_12 Depth=2
	v_cmp_lt_f32_e32 vcc, v18, v7
	v_cndmask_b32_e32 v18, v18, v7, vcc
	s_branch .LBB35_10
.LBB35_96:                              ;   in Loop: Header=BB35_12 Depth=2
	s_or_b64 exec, exec, s[90:91]
	s_and_saveexec_b64 s[68:69], s[76:77]
	s_xor_b64 s[74:75], exec, s[68:69]
	s_cbranch_execz .LBB35_98
; %bb.97:                               ;   in Loop: Header=BB35_12 Depth=2
	v_lshlrev_b64 v[11:12], 3, v[11:12]
	v_mov_b32_e32 v2, s43
	v_add_co_u32_e32 v11, vcc, s42, v11
	v_lshlrev_b64 v[13:14], 3, v[7:8]
	v_addc_co_u32_e32 v12, vcc, v2, v12, vcc
	v_mov_b32_e32 v2, s45
	v_add_co_u32_e32 v13, vcc, s44, v13
	v_addc_co_u32_e32 v14, vcc, v2, v14, vcc
	global_load_dwordx2 v[11:12], v[11:12], off
	s_nop 0
	global_load_dwordx2 v[13:14], v[13:14], off
	s_waitcnt vmcnt(0)
	v_mul_f32_e64 v2, v14, -v12
	v_mul_f32_e32 v6, v14, v11
	v_fmac_f32_e32 v2, v11, v13
	v_fmac_f32_e32 v6, v12, v13
	v_add_f32_e32 v28, v28, v2
	v_add_f32_e32 v29, v29, v6
.LBB35_98:                              ;   in Loop: Header=BB35_12 Depth=2
	s_or_b64 exec, exec, s[74:75]
.LBB35_99:                              ;   in Loop: Header=BB35_12 Depth=2
	s_or_b64 exec, exec, s[72:73]
                                        ; implicit-def: $vgpr12
                                        ; implicit-def: $vgpr11
                                        ; implicit-def: $vgpr30
	s_andn2_saveexec_b64 s[28:29], s[28:29]
	s_cbranch_execz .LBB35_81
.LBB35_100:                             ;   in Loop: Header=BB35_12 Depth=2
	s_mov_b64 s[76:77], 0
                                        ; implicit-def: $sgpr72_sgpr73
                                        ; implicit-def: $sgpr82_sgpr83
                                        ; implicit-def: $sgpr74_sgpr75
	s_branch .LBB35_102
.LBB35_101:                             ;   in Loop: Header=BB35_102 Depth=3
	s_or_b64 exec, exec, s[68:69]
	s_and_b64 s[68:69], exec, s[82:83]
	s_or_b64 s[76:77], s[68:69], s[76:77]
	s_andn2_b64 s[68:69], s[72:73], exec
	s_and_b64 s[72:73], s[74:75], exec
	s_or_b64 s[72:73], s[68:69], s[72:73]
	s_andn2_b64 exec, exec, s[76:77]
	s_cbranch_execz .LBB35_104
.LBB35_102:                             ;   Parent Loop BB35_5 Depth=1
                                        ;     Parent Loop BB35_12 Depth=2
                                        ; =>    This Inner Loop Header: Depth=3
	v_add_u32_e32 v13, v11, v12
	v_ashrrev_i32_e32 v14, 31, v13
	v_lshlrev_b64 v[15:16], 2, v[13:14]
	v_mov_b32_e32 v2, s57
	v_add_co_u32_e32 v15, vcc, s56, v15
	v_addc_co_u32_e32 v16, vcc, v2, v16, vcc
	global_load_dword v2, v[15:16], off
	s_or_b64 s[74:75], s[74:75], exec
	s_or_b64 s[82:83], s[82:83], exec
	s_waitcnt vmcnt(0)
	v_subrev_u32_e32 v2, s62, v2
	v_cmp_ne_u32_e32 vcc, v2, v1
	s_and_saveexec_b64 s[68:69], vcc
	s_cbranch_execz .LBB35_101
; %bb.103:                              ;   in Loop: Header=BB35_102 Depth=3
	v_add_u32_e32 v12, 1, v12
	v_cmp_ge_i32_e32 vcc, v12, v30
	s_andn2_b64 s[82:83], s[82:83], exec
	s_and_b64 s[90:91], vcc, exec
	s_andn2_b64 s[74:75], s[74:75], exec
	s_or_b64 s[82:83], s[82:83], s[90:91]
	s_branch .LBB35_101
.LBB35_104:                             ;   in Loop: Header=BB35_12 Depth=2
	s_or_b64 exec, exec, s[76:77]
	s_and_saveexec_b64 s[68:69], s[72:73]
	s_xor_b64 s[72:73], exec, s[68:69]
	s_cbranch_execz .LBB35_106
; %bb.105:                              ;   in Loop: Header=BB35_12 Depth=2
	v_lshlrev_b64 v[11:12], 3, v[13:14]
	v_mov_b32_e32 v2, s59
	v_add_co_u32_e32 v11, vcc, s58, v11
	v_addc_co_u32_e32 v12, vcc, v2, v12, vcc
	global_load_dwordx2 v[11:12], v[11:12], off
	s_waitcnt vmcnt(0)
	v_add_f32_e32 v28, v28, v11
	v_add_f32_e32 v29, v29, v12
.LBB35_106:                             ;   in Loop: Header=BB35_12 Depth=2
	s_or_b64 exec, exec, s[72:73]
	s_or_b64 exec, exec, s[28:29]
	v_cmp_eq_u32_e32 vcc, v1, v7
	s_and_saveexec_b64 s[28:29], vcc
	s_cbranch_execnz .LBB35_82
	s_branch .LBB35_83
.LBB35_107:                             ;   in Loop: Header=BB35_12 Depth=2
	v_mov_b32_e32 v14, 0
	v_cmp_neq_f32_e32 vcc, 0, v15
	s_and_saveexec_b64 s[76:77], vcc
	s_cbranch_execz .LBB35_109
; %bb.108:                              ;   in Loop: Header=BB35_12 Depth=2
	v_div_scale_f32 v14, s[28:29], v13, v13, v6
	v_div_scale_f32 v15, vcc, v6, v13, v6
	v_rcp_f32_e32 v16, v14
	v_fma_f32 v31, -v14, v16, 1.0
	v_fmac_f32_e32 v16, v31, v16
	v_mul_f32_e32 v31, v15, v16
	v_fma_f32 v32, -v14, v31, v15
	v_fmac_f32_e32 v31, v32, v16
	v_fma_f32 v14, -v14, v31, v15
	v_div_fmas_f32 v14, v14, v16, v31
	v_div_fixup_f32 v6, v14, v13, v6
	v_fma_f32 v6, v6, v6, 1.0
	v_mul_f32_e32 v14, 0x4f800000, v6
	v_cmp_gt_f32_e32 vcc, s0, v6
	v_cndmask_b32_e32 v6, v6, v14, vcc
	v_sqrt_f32_e32 v14, v6
	v_add_u32_e32 v15, -1, v14
	v_add_u32_e32 v16, 1, v14
	v_fma_f32 v31, -v15, v14, v6
	v_fma_f32 v32, -v16, v14, v6
	v_cmp_ge_f32_e64 s[28:29], 0, v31
	v_cndmask_b32_e64 v14, v14, v15, s[28:29]
	v_cmp_lt_f32_e64 s[28:29], 0, v32
	v_cndmask_b32_e64 v14, v14, v16, s[28:29]
	v_mul_f32_e32 v15, 0x37800000, v14
	v_cndmask_b32_e32 v14, v14, v15, vcc
	v_cmp_class_f32_e32 vcc, v6, v20
	v_cndmask_b32_e32 v6, v14, v6, vcc
	v_mul_f32_e32 v14, v13, v6
.LBB35_109:                             ;   in Loop: Header=BB35_12 Depth=2
	s_or_b64 exec, exec, s[76:77]
                                        ; implicit-def: $vgpr6
                                        ; implicit-def: $vgpr13
	s_andn2_saveexec_b64 s[74:75], s[74:75]
	s_cbranch_execz .LBB35_43
.LBB35_110:                             ;   in Loop: Header=BB35_12 Depth=2
	v_div_scale_f32 v14, s[28:29], v6, v6, v13
	v_div_scale_f32 v15, vcc, v13, v6, v13
	v_rcp_f32_e32 v16, v14
	v_fma_f32 v31, -v14, v16, 1.0
	v_fmac_f32_e32 v16, v31, v16
	v_mul_f32_e32 v31, v15, v16
	v_fma_f32 v32, -v14, v31, v15
	v_fmac_f32_e32 v31, v32, v16
	v_fma_f32 v14, -v14, v31, v15
	v_div_fmas_f32 v14, v14, v16, v31
	v_div_fixup_f32 v13, v14, v6, v13
	v_fma_f32 v13, v13, v13, 1.0
	v_mul_f32_e32 v14, 0x4f800000, v13
	v_cmp_gt_f32_e32 vcc, s0, v13
	v_cndmask_b32_e32 v13, v13, v14, vcc
	v_sqrt_f32_e32 v14, v13
	v_add_u32_e32 v15, -1, v14
	v_add_u32_e32 v16, 1, v14
	v_fma_f32 v31, -v15, v14, v13
	v_fma_f32 v32, -v16, v14, v13
	v_cmp_ge_f32_e64 s[28:29], 0, v31
	v_cndmask_b32_e64 v14, v14, v15, s[28:29]
	v_cmp_lt_f32_e64 s[28:29], 0, v32
	v_cndmask_b32_e64 v14, v14, v16, s[28:29]
	v_mul_f32_e32 v15, 0x37800000, v14
	v_cndmask_b32_e32 v14, v14, v15, vcc
	v_cmp_class_f32_e32 vcc, v13, v20
	v_cndmask_b32_e32 v13, v14, v13, vcc
	v_mul_f32_e32 v14, v6, v13
	s_or_b64 exec, exec, s[74:75]
	v_cmp_class_f32_e64 s[68:69], v14, s1
	s_and_saveexec_b64 s[28:29], s[68:69]
	s_cbranch_execnz .LBB35_44
	s_branch .LBB35_45
.LBB35_111:                             ;   in Loop: Header=BB35_12 Depth=2
	v_mov_b32_e32 v14, 0
	v_cmp_neq_f32_e32 vcc, 0, v15
	s_and_saveexec_b64 s[76:77], vcc
	s_cbranch_execz .LBB35_113
; %bb.112:                              ;   in Loop: Header=BB35_12 Depth=2
	v_div_scale_f32 v14, s[28:29], v13, v13, v6
	v_div_scale_f32 v15, vcc, v6, v13, v6
	v_rcp_f32_e32 v16, v14
	v_fma_f32 v31, -v14, v16, 1.0
	v_fmac_f32_e32 v16, v31, v16
	v_mul_f32_e32 v31, v15, v16
	v_fma_f32 v32, -v14, v31, v15
	v_fmac_f32_e32 v31, v32, v16
	v_fma_f32 v14, -v14, v31, v15
	v_div_fmas_f32 v14, v14, v16, v31
	v_div_fixup_f32 v6, v14, v13, v6
	v_fma_f32 v6, v6, v6, 1.0
	v_mul_f32_e32 v14, 0x4f800000, v6
	v_cmp_gt_f32_e32 vcc, s0, v6
	v_cndmask_b32_e32 v6, v6, v14, vcc
	v_sqrt_f32_e32 v14, v6
	v_add_u32_e32 v15, -1, v14
	v_add_u32_e32 v16, 1, v14
	v_fma_f32 v31, -v15, v14, v6
	v_fma_f32 v32, -v16, v14, v6
	v_cmp_ge_f32_e64 s[28:29], 0, v31
	v_cndmask_b32_e64 v14, v14, v15, s[28:29]
	v_cmp_lt_f32_e64 s[28:29], 0, v32
	v_cndmask_b32_e64 v14, v14, v16, s[28:29]
	v_mul_f32_e32 v15, 0x37800000, v14
	v_cndmask_b32_e32 v14, v14, v15, vcc
	v_cmp_class_f32_e32 vcc, v6, v20
	v_cndmask_b32_e32 v6, v14, v6, vcc
	v_mul_f32_e32 v14, v13, v6
.LBB35_113:                             ;   in Loop: Header=BB35_12 Depth=2
	s_or_b64 exec, exec, s[76:77]
                                        ; implicit-def: $vgpr6
                                        ; implicit-def: $vgpr13
	s_andn2_saveexec_b64 s[74:75], s[74:75]
	s_cbranch_execz .LBB35_73
.LBB35_114:                             ;   in Loop: Header=BB35_12 Depth=2
	v_div_scale_f32 v14, s[28:29], v6, v6, v13
	v_div_scale_f32 v15, vcc, v13, v6, v13
	v_rcp_f32_e32 v16, v14
	v_fma_f32 v31, -v14, v16, 1.0
	v_fmac_f32_e32 v16, v31, v16
	v_mul_f32_e32 v31, v15, v16
	v_fma_f32 v32, -v14, v31, v15
	v_fmac_f32_e32 v31, v32, v16
	v_fma_f32 v14, -v14, v31, v15
	v_div_fmas_f32 v14, v14, v16, v31
	v_div_fixup_f32 v13, v14, v6, v13
	v_fma_f32 v13, v13, v13, 1.0
	v_mul_f32_e32 v14, 0x4f800000, v13
	v_cmp_gt_f32_e32 vcc, s0, v13
	v_cndmask_b32_e32 v13, v13, v14, vcc
	v_sqrt_f32_e32 v14, v13
	v_add_u32_e32 v15, -1, v14
	v_add_u32_e32 v16, 1, v14
	v_fma_f32 v31, -v15, v14, v13
	v_fma_f32 v32, -v16, v14, v13
	v_cmp_ge_f32_e64 s[28:29], 0, v31
	v_cndmask_b32_e64 v14, v14, v15, s[28:29]
	v_cmp_lt_f32_e64 s[28:29], 0, v32
	v_cndmask_b32_e64 v14, v14, v16, s[28:29]
	v_mul_f32_e32 v15, 0x37800000, v14
	v_cndmask_b32_e32 v14, v14, v15, vcc
	v_cmp_class_f32_e32 vcc, v13, v20
	v_cndmask_b32_e32 v13, v14, v13, vcc
	v_mul_f32_e32 v14, v6, v13
	s_or_b64 exec, exec, s[74:75]
	v_cmp_class_f32_e64 s[68:69], v14, s1
	s_and_saveexec_b64 s[28:29], s[68:69]
	s_cbranch_execnz .LBB35_74
	s_branch .LBB35_75
.LBB35_115:                             ;   in Loop: Header=BB35_12 Depth=2
	v_mov_b32_e32 v14, 0
	v_cmp_neq_f32_e32 vcc, 0, v15
	s_and_saveexec_b64 s[82:83], vcc
	s_cbranch_execz .LBB35_117
; %bb.116:                              ;   in Loop: Header=BB35_12 Depth=2
	v_div_scale_f32 v14, s[28:29], v13, v13, v6
	v_div_scale_f32 v15, vcc, v6, v13, v6
	v_rcp_f32_e32 v16, v14
	v_fma_f32 v31, -v14, v16, 1.0
	v_fmac_f32_e32 v16, v31, v16
	v_mul_f32_e32 v31, v15, v16
	v_fma_f32 v32, -v14, v31, v15
	v_fmac_f32_e32 v31, v32, v16
	v_fma_f32 v14, -v14, v31, v15
	v_div_fmas_f32 v14, v14, v16, v31
	v_div_fixup_f32 v6, v14, v13, v6
	v_fma_f32 v6, v6, v6, 1.0
	v_mul_f32_e32 v14, 0x4f800000, v6
	v_cmp_gt_f32_e32 vcc, s0, v6
	v_cndmask_b32_e32 v6, v6, v14, vcc
	v_sqrt_f32_e32 v14, v6
	v_add_u32_e32 v15, -1, v14
	v_add_u32_e32 v16, 1, v14
	v_fma_f32 v31, -v15, v14, v6
	v_fma_f32 v32, -v16, v14, v6
	v_cmp_ge_f32_e64 s[28:29], 0, v31
	v_cndmask_b32_e64 v14, v14, v15, s[28:29]
	v_cmp_lt_f32_e64 s[28:29], 0, v32
	v_cndmask_b32_e64 v14, v14, v16, s[28:29]
	v_mul_f32_e32 v15, 0x37800000, v14
	v_cndmask_b32_e32 v14, v14, v15, vcc
	v_cmp_class_f32_e32 vcc, v6, v20
	v_cndmask_b32_e32 v6, v14, v6, vcc
	v_mul_f32_e32 v14, v13, v6
.LBB35_117:                             ;   in Loop: Header=BB35_12 Depth=2
	s_or_b64 exec, exec, s[82:83]
                                        ; implicit-def: $vgpr6
                                        ; implicit-def: $vgpr13
	s_andn2_saveexec_b64 s[74:75], s[74:75]
	s_cbranch_execz .LBB35_57
.LBB35_118:                             ;   in Loop: Header=BB35_12 Depth=2
	v_div_scale_f32 v14, s[28:29], v6, v6, v13
	v_div_scale_f32 v15, vcc, v13, v6, v13
	v_rcp_f32_e32 v16, v14
	v_fma_f32 v31, -v14, v16, 1.0
	v_fmac_f32_e32 v16, v31, v16
	v_mul_f32_e32 v31, v15, v16
	v_fma_f32 v32, -v14, v31, v15
	v_fmac_f32_e32 v31, v32, v16
	v_fma_f32 v14, -v14, v31, v15
	v_div_fmas_f32 v14, v14, v16, v31
	v_div_fixup_f32 v13, v14, v6, v13
	v_fma_f32 v13, v13, v13, 1.0
	v_mul_f32_e32 v14, 0x4f800000, v13
	v_cmp_gt_f32_e32 vcc, s0, v13
	v_cndmask_b32_e32 v13, v13, v14, vcc
	v_sqrt_f32_e32 v14, v13
	v_add_u32_e32 v15, -1, v14
	v_add_u32_e32 v16, 1, v14
	v_fma_f32 v31, -v15, v14, v13
	v_fma_f32 v32, -v16, v14, v13
	v_cmp_ge_f32_e64 s[28:29], 0, v31
	v_cndmask_b32_e64 v14, v14, v15, s[28:29]
	v_cmp_lt_f32_e64 s[28:29], 0, v32
	v_cndmask_b32_e64 v14, v14, v16, s[28:29]
	v_mul_f32_e32 v15, 0x37800000, v14
	v_cndmask_b32_e32 v14, v14, v15, vcc
	v_cmp_class_f32_e32 vcc, v13, v20
	v_cndmask_b32_e32 v13, v14, v13, vcc
	v_mul_f32_e32 v14, v6, v13
	s_or_b64 exec, exec, s[74:75]
	v_cmp_class_f32_e64 s[68:69], v14, s1
	s_and_saveexec_b64 s[28:29], s[68:69]
	s_cbranch_execnz .LBB35_58
	s_branch .LBB35_59
.LBB35_119:                             ;   in Loop: Header=BB35_5 Depth=1
	s_or_b64 exec, exec, s[88:89]
	s_or_b64 exec, exec, s[86:87]
	s_andn2_b64 vcc, exec, s[64:65]
	s_cbranch_vccnz .LBB35_7
.LBB35_120:                             ;   in Loop: Header=BB35_5 Depth=1
	ds_write_b32 v17, v19
	s_waitcnt vmcnt(0) lgkmcnt(0)
	s_barrier
	s_and_saveexec_b64 s[28:29], s[18:19]
	s_cbranch_execz .LBB35_122
; %bb.121:                              ;   in Loop: Header=BB35_5 Depth=1
	ds_read2st64_b32 v[5:6], v17 offset1:8
	s_waitcnt lgkmcnt(0)
	v_cmp_lt_f32_e32 vcc, v5, v6
	v_cndmask_b32_e32 v2, v5, v6, vcc
	ds_write_b32 v17, v2
.LBB35_122:                             ;   in Loop: Header=BB35_5 Depth=1
	s_or_b64 exec, exec, s[28:29]
	s_waitcnt lgkmcnt(0)
	s_barrier
	s_and_saveexec_b64 s[28:29], s[20:21]
	s_cbranch_execz .LBB35_124
; %bb.123:                              ;   in Loop: Header=BB35_5 Depth=1
	ds_read2st64_b32 v[5:6], v17 offset1:4
	s_waitcnt lgkmcnt(0)
	v_cmp_lt_f32_e32 vcc, v5, v6
	v_cndmask_b32_e32 v2, v5, v6, vcc
	ds_write_b32 v17, v2
.LBB35_124:                             ;   in Loop: Header=BB35_5 Depth=1
	s_or_b64 exec, exec, s[28:29]
	s_waitcnt lgkmcnt(0)
	;; [unrolled: 12-line block ×4, first 2 shown]
	s_barrier
	s_and_saveexec_b64 s[28:29], s[2:3]
	s_cbranch_execz .LBB35_130
; %bb.129:                              ;   in Loop: Header=BB35_5 Depth=1
	ds_read2_b32 v[5:6], v17 offset1:32
	s_waitcnt lgkmcnt(0)
	v_cmp_lt_f32_e32 vcc, v5, v6
	v_cndmask_b32_e32 v2, v5, v6, vcc
	ds_write_b32 v17, v2
.LBB35_130:                             ;   in Loop: Header=BB35_5 Depth=1
	s_or_b64 exec, exec, s[28:29]
	s_waitcnt lgkmcnt(0)
	s_barrier
	s_and_saveexec_b64 s[28:29], s[6:7]
	s_cbranch_execz .LBB35_132
; %bb.131:                              ;   in Loop: Header=BB35_5 Depth=1
	ds_read2_b32 v[5:6], v17 offset1:16
	s_waitcnt lgkmcnt(0)
	v_cmp_lt_f32_e32 vcc, v5, v6
	v_cndmask_b32_e32 v2, v5, v6, vcc
	ds_write_b32 v17, v2
.LBB35_132:                             ;   in Loop: Header=BB35_5 Depth=1
	s_or_b64 exec, exec, s[28:29]
	s_waitcnt lgkmcnt(0)
	;; [unrolled: 12-line block ×5, first 2 shown]
	s_barrier
	s_and_saveexec_b64 s[28:29], s[14:15]
	s_cbranch_execz .LBB35_140
; %bb.139:                              ;   in Loop: Header=BB35_5 Depth=1
	ds_read_b64 v[5:6], v3
	s_waitcnt lgkmcnt(0)
	v_cmp_lt_f32_e32 vcc, v5, v6
	v_cndmask_b32_e32 v2, v5, v6, vcc
	ds_write_b32 v3, v2
.LBB35_140:                             ;   in Loop: Header=BB35_5 Depth=1
	s_or_b64 exec, exec, s[28:29]
	v_readlane_b32 s28, v37, 4
	v_readlane_b32 s29, v37, 5
	s_waitcnt lgkmcnt(0)
	s_barrier
	ds_read_b32 v2, v3
	s_load_dword s30, s[28:29], 0x0
	s_waitcnt lgkmcnt(0)
	v_div_scale_f32 v5, s[28:29], s30, s30, v2
	v_div_scale_f32 v6, vcc, v2, s30, v2
	v_rcp_f32_e32 v7, v5
	v_fma_f32 v8, -v5, v7, 1.0
	v_fmac_f32_e32 v7, v8, v7
	v_mul_f32_e32 v8, v6, v7
	v_fma_f32 v9, -v5, v8, v6
	v_fmac_f32_e32 v8, v9, v7
	v_fma_f32 v5, -v5, v8, v6
	v_div_fmas_f32 v5, v5, v7, v8
	v_div_fixup_f32 v19, v5, s30, v2
	s_andn2_b64 vcc, exec, s[34:35]
	s_cbranch_vccnz .LBB35_8
.LBB35_141:                             ;   in Loop: Header=BB35_5 Depth=1
	ds_write_b32 v17, v18
	s_waitcnt vmcnt(0) lgkmcnt(0)
	s_barrier
	s_and_saveexec_b64 s[28:29], s[18:19]
	s_cbranch_execz .LBB35_143
; %bb.142:                              ;   in Loop: Header=BB35_5 Depth=1
	ds_read2st64_b32 v[5:6], v17 offset1:8
	s_waitcnt lgkmcnt(0)
	v_cmp_lt_f32_e32 vcc, v5, v6
	v_cndmask_b32_e32 v2, v5, v6, vcc
	ds_write_b32 v17, v2
.LBB35_143:                             ;   in Loop: Header=BB35_5 Depth=1
	s_or_b64 exec, exec, s[28:29]
	s_waitcnt lgkmcnt(0)
	s_barrier
	s_and_saveexec_b64 s[28:29], s[20:21]
	s_cbranch_execz .LBB35_145
; %bb.144:                              ;   in Loop: Header=BB35_5 Depth=1
	ds_read2st64_b32 v[5:6], v17 offset1:4
	s_waitcnt lgkmcnt(0)
	v_cmp_lt_f32_e32 vcc, v5, v6
	v_cndmask_b32_e32 v2, v5, v6, vcc
	ds_write_b32 v17, v2
.LBB35_145:                             ;   in Loop: Header=BB35_5 Depth=1
	s_or_b64 exec, exec, s[28:29]
	s_waitcnt lgkmcnt(0)
	;; [unrolled: 12-line block ×4, first 2 shown]
	s_barrier
	s_and_saveexec_b64 s[28:29], s[2:3]
	s_cbranch_execz .LBB35_151
; %bb.150:                              ;   in Loop: Header=BB35_5 Depth=1
	ds_read2_b32 v[5:6], v17 offset1:32
	s_waitcnt lgkmcnt(0)
	v_cmp_lt_f32_e32 vcc, v5, v6
	v_cndmask_b32_e32 v2, v5, v6, vcc
	ds_write_b32 v17, v2
.LBB35_151:                             ;   in Loop: Header=BB35_5 Depth=1
	s_or_b64 exec, exec, s[28:29]
	s_waitcnt lgkmcnt(0)
	s_barrier
	s_and_saveexec_b64 s[28:29], s[6:7]
	s_cbranch_execz .LBB35_153
; %bb.152:                              ;   in Loop: Header=BB35_5 Depth=1
	ds_read2_b32 v[5:6], v17 offset1:16
	s_waitcnt lgkmcnt(0)
	v_cmp_lt_f32_e32 vcc, v5, v6
	v_cndmask_b32_e32 v2, v5, v6, vcc
	ds_write_b32 v17, v2
.LBB35_153:                             ;   in Loop: Header=BB35_5 Depth=1
	s_or_b64 exec, exec, s[28:29]
	s_waitcnt lgkmcnt(0)
	;; [unrolled: 12-line block ×5, first 2 shown]
	s_barrier
	s_and_saveexec_b64 s[28:29], s[14:15]
	s_cbranch_execz .LBB35_161
; %bb.160:                              ;   in Loop: Header=BB35_5 Depth=1
	ds_read_b64 v[5:6], v3
	s_waitcnt lgkmcnt(0)
	v_cmp_lt_f32_e32 vcc, v5, v6
	v_cndmask_b32_e32 v2, v5, v6, vcc
	ds_write_b32 v3, v2
.LBB35_161:                             ;   in Loop: Header=BB35_5 Depth=1
	s_or_b64 exec, exec, s[28:29]
	v_readlane_b32 s28, v37, 4
	v_readlane_b32 s29, v37, 5
	s_waitcnt lgkmcnt(0)
	s_barrier
	ds_read_b32 v2, v3
	s_load_dword s30, s[28:29], 0x0
	s_waitcnt lgkmcnt(0)
	v_div_scale_f32 v5, s[28:29], s30, s30, v2
	v_div_scale_f32 v6, vcc, v2, s30, v2
	v_rcp_f32_e32 v7, v5
	v_fma_f32 v8, -v5, v7, 1.0
	v_fmac_f32_e32 v7, v8, v7
	v_mul_f32_e32 v8, v6, v7
	v_fma_f32 v9, -v5, v8, v6
	v_fmac_f32_e32 v8, v9, v7
	v_fma_f32 v5, -v5, v8, v6
	v_div_fmas_f32 v5, v5, v7, v8
	v_div_fixup_f32 v18, v5, s30, v2
	s_and_saveexec_b64 s[28:29], s[16:17]
	s_cbranch_execz .LBB35_172
.LBB35_162:                             ;   in Loop: Header=BB35_5 Depth=1
	s_mov_b64 s[30:31], 0
	v_mov_b32_e32 v5, v1
	s_branch .LBB35_165
.LBB35_163:                             ;   in Loop: Header=BB35_165 Depth=2
	s_or_b64 exec, exec, s[74:75]
	v_lshlrev_b64 v[6:7], 3, v[5:6]
	v_mov_b32_e32 v2, s47
	v_add_co_u32_e32 v8, vcc, s46, v6
	v_addc_co_u32_e32 v9, vcc, v2, v7, vcc
	global_load_dwordx2 v[8:9], v[8:9], off
	v_mov_b32_e32 v2, s45
	v_add_co_u32_e32 v6, vcc, s44, v6
	v_addc_co_u32_e32 v7, vcc, v2, v7, vcc
	s_waitcnt vmcnt(0)
	global_store_dwordx2 v[6:7], v[8:9], off
.LBB35_164:                             ;   in Loop: Header=BB35_165 Depth=2
	s_or_b64 exec, exec, s[72:73]
	v_add_u32_e32 v5, 0x400, v5
	v_cmp_le_u32_e32 vcc, s63, v5
	s_or_b64 s[30:31], vcc, s[30:31]
	s_andn2_b64 exec, exec, s[30:31]
	s_cbranch_execz .LBB35_172
.LBB35_165:                             ;   Parent Loop BB35_5 Depth=1
                                        ; =>  This Loop Header: Depth=2
                                        ;       Child Loop BB35_168 Depth 3
                                        ;       Child Loop BB35_171 Depth 3
	v_cmp_gt_i32_e32 vcc, s71, v5
	s_and_saveexec_b64 s[72:73], vcc
	s_cbranch_execz .LBB35_164
; %bb.166:                              ;   in Loop: Header=BB35_165 Depth=2
	v_ashrrev_i32_e32 v6, 31, v5
	v_lshlrev_b64 v[7:8], 2, v[5:6]
	v_mov_b32_e32 v2, s37
	v_add_co_u32_e32 v9, vcc, s36, v7
	v_addc_co_u32_e32 v10, vcc, v2, v8, vcc
	global_load_dword v9, v[9:10], off
	v_mov_b32_e32 v2, s39
	v_add_co_u32_e32 v10, vcc, s38, v7
	v_addc_co_u32_e32 v11, vcc, v2, v8, vcc
	global_load_dword v2, v[10:11], off
	s_waitcnt vmcnt(0)
	v_cmp_lt_i32_e32 vcc, v9, v2
	s_and_saveexec_b64 s[74:75], vcc
	s_cbranch_execz .LBB35_169
; %bb.167:                              ;   in Loop: Header=BB35_165 Depth=2
	v_subrev_u32_e32 v9, s61, v9
	v_ashrrev_i32_e32 v10, 31, v9
	v_lshlrev_b64 v[12:13], 3, v[9:10]
	v_mov_b32_e32 v11, s79
	v_add_co_u32_e32 v10, vcc, s78, v12
	v_addc_co_u32_e32 v11, vcc, v11, v13, vcc
	v_mov_b32_e32 v14, s43
	v_add_co_u32_e32 v12, vcc, s42, v12
	v_subrev_u32_e32 v2, s61, v2
	v_addc_co_u32_e32 v13, vcc, v14, v13, vcc
	s_mov_b64 s[76:77], 0
.LBB35_168:                             ;   Parent Loop BB35_5 Depth=1
                                        ;     Parent Loop BB35_165 Depth=2
                                        ; =>    This Inner Loop Header: Depth=3
	global_load_dwordx2 v[14:15], v[10:11], off
	v_add_co_u32_e32 v10, vcc, 8, v10
	v_add_u32_e32 v9, 1, v9
	v_addc_co_u32_e32 v11, vcc, 0, v11, vcc
	v_cmp_ge_i32_e32 vcc, v9, v2
	s_or_b64 s[76:77], vcc, s[76:77]
	s_waitcnt vmcnt(0)
	global_store_dwordx2 v[12:13], v[14:15], off
	v_add_co_u32_e32 v12, vcc, 8, v12
	v_addc_co_u32_e32 v13, vcc, 0, v13, vcc
	s_andn2_b64 exec, exec, s[76:77]
	s_cbranch_execnz .LBB35_168
.LBB35_169:                             ;   in Loop: Header=BB35_165 Depth=2
	s_or_b64 exec, exec, s[74:75]
	v_mov_b32_e32 v2, s53
	v_add_co_u32_e32 v9, vcc, s52, v7
	v_addc_co_u32_e32 v10, vcc, v2, v8, vcc
	v_mov_b32_e32 v2, s55
	v_add_co_u32_e32 v7, vcc, s54, v7
	v_addc_co_u32_e32 v8, vcc, v2, v8, vcc
	global_load_dword v9, v[9:10], off
	s_nop 0
	global_load_dword v2, v[7:8], off
	s_waitcnt vmcnt(0)
	v_cmp_lt_i32_e32 vcc, v9, v2
	s_and_saveexec_b64 s[74:75], vcc
	s_cbranch_execz .LBB35_163
; %bb.170:                              ;   in Loop: Header=BB35_165 Depth=2
	v_subrev_u32_e32 v7, s62, v9
	v_ashrrev_i32_e32 v8, 31, v7
	v_lshlrev_b64 v[10:11], 3, v[7:8]
	v_mov_b32_e32 v9, s81
	v_add_co_u32_e32 v8, vcc, s80, v10
	v_addc_co_u32_e32 v9, vcc, v9, v11, vcc
	v_mov_b32_e32 v12, s59
	v_add_co_u32_e32 v10, vcc, s58, v10
	v_subrev_u32_e32 v2, s62, v2
	v_addc_co_u32_e32 v11, vcc, v12, v11, vcc
	s_mov_b64 s[76:77], 0
.LBB35_171:                             ;   Parent Loop BB35_5 Depth=1
                                        ;     Parent Loop BB35_165 Depth=2
                                        ; =>    This Inner Loop Header: Depth=3
	global_load_dwordx2 v[12:13], v[8:9], off
	v_add_co_u32_e32 v8, vcc, 8, v8
	v_add_u32_e32 v7, 1, v7
	v_addc_co_u32_e32 v9, vcc, 0, v9, vcc
	v_cmp_ge_i32_e32 vcc, v7, v2
	s_or_b64 s[76:77], vcc, s[76:77]
	s_waitcnt vmcnt(0)
	global_store_dwordx2 v[10:11], v[12:13], off
	v_add_co_u32_e32 v10, vcc, 8, v10
	v_addc_co_u32_e32 v11, vcc, 0, v11, vcc
	s_andn2_b64 exec, exec, s[76:77]
	s_cbranch_execnz .LBB35_171
	s_branch .LBB35_163
.LBB35_172:                             ;   in Loop: Header=BB35_5 Depth=1
	s_or_b64 exec, exec, s[28:29]
	s_mov_b64 s[30:31], -1
	s_and_b64 vcc, exec, s[66:67]
	s_mov_b64 s[68:69], -1
	s_cbranch_vccz .LBB35_182
; %bb.173:                              ;   in Loop: Header=BB35_5 Depth=1
	v_readlane_b32 s68, v37, 10
	v_readlane_b32 s69, v37, 11
	s_mov_b64 s[28:29], -1
	s_and_b64 vcc, exec, s[68:69]
                                        ; implicit-def: $sgpr72_sgpr73
	s_cbranch_vccz .LBB35_179
; %bb.174:                              ;   in Loop: Header=BB35_5 Depth=1
	v_readlane_b32 s68, v37, 6
	v_readlane_b32 s69, v37, 7
	s_and_b64 vcc, exec, s[68:69]
                                        ; implicit-def: $sgpr72_sgpr73
	s_cbranch_vccz .LBB35_176
; %bb.175:                              ;   in Loop: Header=BB35_5 Depth=1
	v_cmp_ge_f32_e64 s[72:73], s70, v18
	s_mov_b64 s[28:29], 0
.LBB35_176:                             ;   in Loop: Header=BB35_5 Depth=1
	s_andn2_b64 vcc, exec, s[28:29]
	s_cbranch_vccnz .LBB35_178
; %bb.177:                              ;   in Loop: Header=BB35_5 Depth=1
	v_cmp_ge_f32_e32 vcc, s70, v19
	s_andn2_b64 s[28:29], s[72:73], exec
	s_and_b64 s[68:69], vcc, exec
	s_or_b64 s[72:73], s[28:29], s[68:69]
.LBB35_178:                             ;   in Loop: Header=BB35_5 Depth=1
	s_mov_b64 s[28:29], 0
.LBB35_179:                             ;   in Loop: Header=BB35_5 Depth=1
	s_andn2_b64 vcc, exec, s[28:29]
	s_cbranch_vccnz .LBB35_181
; %bb.180:                              ;   in Loop: Header=BB35_5 Depth=1
	v_cmp_ge_f32_e32 vcc, s70, v19
	v_cmp_ge_f32_e64 s[28:29], s70, v18
	s_and_b64 s[28:29], vcc, s[28:29]
	s_andn2_b64 s[68:69], s[72:73], exec
	s_and_b64 s[28:29], s[28:29], exec
	s_or_b64 s[72:73], s[68:69], s[28:29]
.LBB35_181:                             ;   in Loop: Header=BB35_5 Depth=1
	s_xor_b64 s[68:69], s[72:73], -1
.LBB35_182:                             ;   in Loop: Header=BB35_5 Depth=1
	v_mov_b32_e32 v2, s33
	s_and_saveexec_b64 s[28:29], s[68:69]
	s_cbranch_execz .LBB35_4
; %bb.183:                              ;   in Loop: Header=BB35_5 Depth=1
	v_readlane_b32 s30, v37, 0
	s_add_i32 s33, s33, 1
	v_readlane_b32 s31, v37, 1
	s_cmp_eq_u32 s33, s31
	s_mov_b32 s69, s31
	s_cselect_b64 s[30:31], -1, 0
	v_mov_b32_e32 v2, s69
	s_orn2_b64 s[30:31], s[30:31], exec
	s_branch .LBB35_4
.LBB35_184:
	s_or_b64 exec, exec, s[84:85]
	v_readlane_b32 s4, v37, 8
	v_readlane_b32 s5, v37, 9
	s_load_dwordx4 s[8:11], s[4:5], 0xb8
	v_readlane_b32 s2, v37, 2
	v_readlane_b32 s3, v37, 3
	s_or_b64 exec, exec, s[2:3]
	s_andn2_b64 vcc, exec, s[66:67]
	s_cbranch_vccnz .LBB35_2
.LBB35_185:
	s_movk_i32 s0, 0x200
	v_or_b32_e32 v1, 0x1000, v17
	v_cmp_gt_u32_e32 vcc, s0, v0
	ds_write_b32 v17, v2 offset:4096
	s_waitcnt vmcnt(0) lgkmcnt(0)
	s_barrier
	s_and_saveexec_b64 s[0:1], vcc
	s_cbranch_execz .LBB35_187
; %bb.186:
	ds_read2st64_b32 v[2:3], v1 offset1:8
	s_waitcnt lgkmcnt(0)
	v_max_i32_e32 v2, v2, v3
	ds_write_b32 v1, v2
.LBB35_187:
	s_or_b64 exec, exec, s[0:1]
	s_movk_i32 s0, 0x100
	v_cmp_gt_u32_e32 vcc, s0, v0
	s_waitcnt lgkmcnt(0)
	s_barrier
	s_and_saveexec_b64 s[0:1], vcc
	s_cbranch_execz .LBB35_189
; %bb.188:
	ds_read2st64_b32 v[2:3], v1 offset1:4
	s_waitcnt lgkmcnt(0)
	v_max_i32_e32 v2, v2, v3
	ds_write_b32 v1, v2
.LBB35_189:
	s_or_b64 exec, exec, s[0:1]
	s_movk_i32 s0, 0x80
	v_cmp_gt_u32_e32 vcc, s0, v0
	s_waitcnt lgkmcnt(0)
	s_barrier
	s_and_saveexec_b64 s[0:1], vcc
	s_cbranch_execz .LBB35_191
; %bb.190:
	ds_read2st64_b32 v[2:3], v1 offset1:2
	s_waitcnt lgkmcnt(0)
	v_max_i32_e32 v2, v2, v3
	ds_write_b32 v1, v2
.LBB35_191:
	s_or_b64 exec, exec, s[0:1]
	v_cmp_gt_u32_e32 vcc, 64, v0
	s_waitcnt lgkmcnt(0)
	s_barrier
	s_and_saveexec_b64 s[0:1], vcc
	s_cbranch_execz .LBB35_193
; %bb.192:
	ds_read2st64_b32 v[2:3], v1 offset1:1
	s_waitcnt lgkmcnt(0)
	v_max_i32_e32 v2, v2, v3
	ds_write_b32 v1, v2
.LBB35_193:
	s_or_b64 exec, exec, s[0:1]
	v_cmp_gt_u32_e32 vcc, 32, v0
	s_waitcnt lgkmcnt(0)
	s_barrier
	s_and_saveexec_b64 s[0:1], vcc
	s_cbranch_execz .LBB35_195
; %bb.194:
	ds_read2_b32 v[2:3], v1 offset1:32
	s_waitcnt lgkmcnt(0)
	v_max_i32_e32 v2, v2, v3
	ds_write_b32 v1, v2
.LBB35_195:
	s_or_b64 exec, exec, s[0:1]
	v_cmp_gt_u32_e32 vcc, 16, v0
	s_waitcnt lgkmcnt(0)
	s_barrier
	s_and_saveexec_b64 s[0:1], vcc
	s_cbranch_execz .LBB35_197
; %bb.196:
	ds_read2_b32 v[2:3], v1 offset1:16
	s_waitcnt lgkmcnt(0)
	v_max_i32_e32 v2, v2, v3
	ds_write_b32 v1, v2
.LBB35_197:
	;; [unrolled: 12-line block ×5, first 2 shown]
	s_or_b64 exec, exec, s[0:1]
	v_cmp_eq_u32_e32 vcc, 0, v0
	s_waitcnt lgkmcnt(0)
	s_barrier
	s_and_saveexec_b64 s[0:1], vcc
	s_cbranch_execz .LBB35_205
; %bb.204:
	v_mov_b32_e32 v3, 0
	ds_read_b64 v[1:2], v3 offset:4096
	s_waitcnt lgkmcnt(0)
	v_max_i32_e32 v1, v1, v2
	ds_write_b32 v3, v1 offset:4096
.LBB35_205:
	s_or_b64 exec, exec, s[0:1]
	s_waitcnt lgkmcnt(0)
	s_barrier
	s_and_saveexec_b64 s[0:1], vcc
	s_cbranch_execz .LBB35_208
; %bb.206:
	v_mbcnt_lo_u32_b32 v1, exec_lo, 0
	v_mbcnt_hi_u32_b32 v1, exec_hi, v1
	v_cmp_eq_u32_e32 vcc, 0, v1
	s_and_b64 exec, exec, vcc
	s_cbranch_execz .LBB35_208
; %bb.207:
	v_mov_b32_e32 v1, 0
	ds_read_b32 v2, v1 offset:4096
	s_load_dwordx2 s[2:3], s[4:5], 0x8
	s_waitcnt lgkmcnt(0)
	v_add_u32_e32 v2, 1, v2
	global_atomic_smax v1, v2, s[2:3]
.LBB35_208:
	s_or_b64 exec, exec, s[0:1]
	v_cmp_eq_u32_e32 vcc, 0, v0
	s_and_b64 s[0:1], vcc, s[64:65]
	s_and_saveexec_b64 s[2:3], s[0:1]
	s_cbranch_execz .LBB35_215
.LBB35_209:
	s_mov_b64 s[0:1], exec
	v_mov_b32_e32 v0, 0x7fc00000
.LBB35_210:                             ; =>This Inner Loop Header: Depth=1
	s_ff1_i32_b64 s4, s[0:1]
	v_readlane_b32 s6, v19, s4
	s_lshl_b64 s[4:5], 1, s4
	v_max_f32_e32 v0, v0, v0
	v_max_f32_e64 v1, s6, s6
	s_andn2_b64 s[0:1], s[0:1], s[4:5]
	s_cmp_lg_u64 s[0:1], 0
	v_max_f32_e32 v0, v0, v1
	s_cbranch_scc1 .LBB35_210
; %bb.211:
	v_mbcnt_lo_u32_b32 v1, exec_lo, 0
	v_mbcnt_hi_u32_b32 v1, exec_hi, v1
	v_cmp_eq_u32_e64 s[0:1], 0, v1
	s_and_saveexec_b64 s[4:5], s[0:1]
	s_xor_b64 s[4:5], exec, s[4:5]
	s_cbranch_execz .LBB35_215
; %bb.212:
	v_mov_b32_e32 v2, 0
	s_waitcnt lgkmcnt(0)
	global_load_dword v1, v2, s[8:9]
	s_mov_b64 s[4:5], 0
	v_max_f32_e32 v3, v0, v0
.LBB35_213:                             ; =>This Inner Loop Header: Depth=1
	s_waitcnt vmcnt(0)
	v_max_f32_e32 v0, v1, v1
	v_max_f32_e32 v0, v0, v3
	global_atomic_cmpswap v0, v2, v[0:1], s[8:9] glc
	s_waitcnt vmcnt(0)
	v_cmp_eq_u32_e64 s[0:1], v0, v1
	s_or_b64 s[4:5], s[0:1], s[4:5]
	v_mov_b32_e32 v1, v0
	s_andn2_b64 exec, exec, s[4:5]
	s_cbranch_execnz .LBB35_213
; %bb.214:
	s_or_b64 exec, exec, s[4:5]
.LBB35_215:
	s_or_b64 exec, exec, s[2:3]
	s_and_b64 s[0:1], vcc, s[34:35]
	s_and_saveexec_b64 s[2:3], s[0:1]
	s_cbranch_execz .LBB35_221
; %bb.216:
	s_mov_b64 s[0:1], exec
	v_mov_b32_e32 v0, 0x7fc00000
.LBB35_217:                             ; =>This Inner Loop Header: Depth=1
	s_ff1_i32_b64 s2, s[0:1]
	v_readlane_b32 s4, v18, s2
	s_lshl_b64 s[2:3], 1, s2
	v_max_f32_e32 v0, v0, v0
	v_max_f32_e64 v1, s4, s4
	s_andn2_b64 s[0:1], s[0:1], s[2:3]
	s_cmp_lg_u64 s[0:1], 0
	v_max_f32_e32 v0, v0, v1
	s_cbranch_scc1 .LBB35_217
; %bb.218:
	v_mbcnt_lo_u32_b32 v1, exec_lo, 0
	v_mbcnt_hi_u32_b32 v1, exec_hi, v1
	v_cmp_eq_u32_e32 vcc, 0, v1
	s_and_saveexec_b64 s[0:1], vcc
	s_xor_b64 s[0:1], exec, s[0:1]
	s_cbranch_execz .LBB35_221
; %bb.219:
	v_mov_b32_e32 v2, 0
	s_waitcnt lgkmcnt(0)
	global_load_dword v1, v2, s[10:11]
	s_mov_b64 s[0:1], 0
	v_max_f32_e32 v3, v0, v0
.LBB35_220:                             ; =>This Inner Loop Header: Depth=1
	s_waitcnt vmcnt(0)
	v_max_f32_e32 v0, v1, v1
	v_max_f32_e32 v0, v0, v3
	global_atomic_cmpswap v0, v2, v[0:1], s[10:11] glc
	s_waitcnt vmcnt(0)
	v_cmp_eq_u32_e32 vcc, v0, v1
	s_or_b64 s[0:1], vcc, s[0:1]
	v_mov_b32_e32 v1, v0
	s_andn2_b64 exec, exec, s[0:1]
	s_cbranch_execnz .LBB35_220
.LBB35_221:
	s_endpgm
	.section	.rodata,"a",@progbits
	.p2align	6, 0x0
	.amdhsa_kernel _ZN9rocsparseL6kernelILi1024ELi1E21rocsparse_complex_numIfEiiEEvbbbT3_PS3_NS_15floating_traitsIT1_E6data_tES3_T2_PKS9_SB_PKS3_PKS6_21rocsparse_index_base_SB_SB_SD_PS6_SH_SG_SB_SB_SD_SH_SH_SG_SH_SH_PS8_SI_PKS8_
		.amdhsa_group_segment_fixed_size 8192
		.amdhsa_private_segment_fixed_size 0
		.amdhsa_kernarg_size 208
		.amdhsa_user_sgpr_count 6
		.amdhsa_user_sgpr_private_segment_buffer 1
		.amdhsa_user_sgpr_dispatch_ptr 0
		.amdhsa_user_sgpr_queue_ptr 0
		.amdhsa_user_sgpr_kernarg_segment_ptr 1
		.amdhsa_user_sgpr_dispatch_id 0
		.amdhsa_user_sgpr_flat_scratch_init 0
		.amdhsa_user_sgpr_private_segment_size 0
		.amdhsa_uses_dynamic_stack 0
		.amdhsa_system_sgpr_private_segment_wavefront_offset 0
		.amdhsa_system_sgpr_workgroup_id_x 1
		.amdhsa_system_sgpr_workgroup_id_y 0
		.amdhsa_system_sgpr_workgroup_id_z 0
		.amdhsa_system_sgpr_workgroup_info 0
		.amdhsa_system_vgpr_workitem_id 0
		.amdhsa_next_free_vgpr 38
		.amdhsa_next_free_sgpr 96
		.amdhsa_reserve_vcc 1
		.amdhsa_reserve_flat_scratch 0
		.amdhsa_float_round_mode_32 0
		.amdhsa_float_round_mode_16_64 0
		.amdhsa_float_denorm_mode_32 3
		.amdhsa_float_denorm_mode_16_64 3
		.amdhsa_dx10_clamp 1
		.amdhsa_ieee_mode 1
		.amdhsa_fp16_overflow 0
		.amdhsa_exception_fp_ieee_invalid_op 0
		.amdhsa_exception_fp_denorm_src 0
		.amdhsa_exception_fp_ieee_div_zero 0
		.amdhsa_exception_fp_ieee_overflow 0
		.amdhsa_exception_fp_ieee_underflow 0
		.amdhsa_exception_fp_ieee_inexact 0
		.amdhsa_exception_int_div_zero 0
	.end_amdhsa_kernel
	.section	.text._ZN9rocsparseL6kernelILi1024ELi1E21rocsparse_complex_numIfEiiEEvbbbT3_PS3_NS_15floating_traitsIT1_E6data_tES3_T2_PKS9_SB_PKS3_PKS6_21rocsparse_index_base_SB_SB_SD_PS6_SH_SG_SB_SB_SD_SH_SH_SG_SH_SH_PS8_SI_PKS8_,"axG",@progbits,_ZN9rocsparseL6kernelILi1024ELi1E21rocsparse_complex_numIfEiiEEvbbbT3_PS3_NS_15floating_traitsIT1_E6data_tES3_T2_PKS9_SB_PKS3_PKS6_21rocsparse_index_base_SB_SB_SD_PS6_SH_SG_SB_SB_SD_SH_SH_SG_SH_SH_PS8_SI_PKS8_,comdat
.Lfunc_end35:
	.size	_ZN9rocsparseL6kernelILi1024ELi1E21rocsparse_complex_numIfEiiEEvbbbT3_PS3_NS_15floating_traitsIT1_E6data_tES3_T2_PKS9_SB_PKS3_PKS6_21rocsparse_index_base_SB_SB_SD_PS6_SH_SG_SB_SB_SD_SH_SH_SG_SH_SH_PS8_SI_PKS8_, .Lfunc_end35-_ZN9rocsparseL6kernelILi1024ELi1E21rocsparse_complex_numIfEiiEEvbbbT3_PS3_NS_15floating_traitsIT1_E6data_tES3_T2_PKS9_SB_PKS3_PKS6_21rocsparse_index_base_SB_SB_SD_PS6_SH_SG_SB_SB_SD_SH_SH_SG_SH_SH_PS8_SI_PKS8_
                                        ; -- End function
	.set _ZN9rocsparseL6kernelILi1024ELi1E21rocsparse_complex_numIfEiiEEvbbbT3_PS3_NS_15floating_traitsIT1_E6data_tES3_T2_PKS9_SB_PKS3_PKS6_21rocsparse_index_base_SB_SB_SD_PS6_SH_SG_SB_SB_SD_SH_SH_SG_SH_SH_PS8_SI_PKS8_.num_vgpr, 38
	.set _ZN9rocsparseL6kernelILi1024ELi1E21rocsparse_complex_numIfEiiEEvbbbT3_PS3_NS_15floating_traitsIT1_E6data_tES3_T2_PKS9_SB_PKS3_PKS6_21rocsparse_index_base_SB_SB_SD_PS6_SH_SG_SB_SB_SD_SH_SH_SG_SH_SH_PS8_SI_PKS8_.num_agpr, 0
	.set _ZN9rocsparseL6kernelILi1024ELi1E21rocsparse_complex_numIfEiiEEvbbbT3_PS3_NS_15floating_traitsIT1_E6data_tES3_T2_PKS9_SB_PKS3_PKS6_21rocsparse_index_base_SB_SB_SD_PS6_SH_SG_SB_SB_SD_SH_SH_SG_SH_SH_PS8_SI_PKS8_.numbered_sgpr, 96
	.set _ZN9rocsparseL6kernelILi1024ELi1E21rocsparse_complex_numIfEiiEEvbbbT3_PS3_NS_15floating_traitsIT1_E6data_tES3_T2_PKS9_SB_PKS3_PKS6_21rocsparse_index_base_SB_SB_SD_PS6_SH_SG_SB_SB_SD_SH_SH_SG_SH_SH_PS8_SI_PKS8_.num_named_barrier, 0
	.set _ZN9rocsparseL6kernelILi1024ELi1E21rocsparse_complex_numIfEiiEEvbbbT3_PS3_NS_15floating_traitsIT1_E6data_tES3_T2_PKS9_SB_PKS3_PKS6_21rocsparse_index_base_SB_SB_SD_PS6_SH_SG_SB_SB_SD_SH_SH_SG_SH_SH_PS8_SI_PKS8_.private_seg_size, 0
	.set _ZN9rocsparseL6kernelILi1024ELi1E21rocsparse_complex_numIfEiiEEvbbbT3_PS3_NS_15floating_traitsIT1_E6data_tES3_T2_PKS9_SB_PKS3_PKS6_21rocsparse_index_base_SB_SB_SD_PS6_SH_SG_SB_SB_SD_SH_SH_SG_SH_SH_PS8_SI_PKS8_.uses_vcc, 1
	.set _ZN9rocsparseL6kernelILi1024ELi1E21rocsparse_complex_numIfEiiEEvbbbT3_PS3_NS_15floating_traitsIT1_E6data_tES3_T2_PKS9_SB_PKS3_PKS6_21rocsparse_index_base_SB_SB_SD_PS6_SH_SG_SB_SB_SD_SH_SH_SG_SH_SH_PS8_SI_PKS8_.uses_flat_scratch, 0
	.set _ZN9rocsparseL6kernelILi1024ELi1E21rocsparse_complex_numIfEiiEEvbbbT3_PS3_NS_15floating_traitsIT1_E6data_tES3_T2_PKS9_SB_PKS3_PKS6_21rocsparse_index_base_SB_SB_SD_PS6_SH_SG_SB_SB_SD_SH_SH_SG_SH_SH_PS8_SI_PKS8_.has_dyn_sized_stack, 0
	.set _ZN9rocsparseL6kernelILi1024ELi1E21rocsparse_complex_numIfEiiEEvbbbT3_PS3_NS_15floating_traitsIT1_E6data_tES3_T2_PKS9_SB_PKS3_PKS6_21rocsparse_index_base_SB_SB_SD_PS6_SH_SG_SB_SB_SD_SH_SH_SG_SH_SH_PS8_SI_PKS8_.has_recursion, 0
	.set _ZN9rocsparseL6kernelILi1024ELi1E21rocsparse_complex_numIfEiiEEvbbbT3_PS3_NS_15floating_traitsIT1_E6data_tES3_T2_PKS9_SB_PKS3_PKS6_21rocsparse_index_base_SB_SB_SD_PS6_SH_SG_SB_SB_SD_SH_SH_SG_SH_SH_PS8_SI_PKS8_.has_indirect_call, 0
	.section	.AMDGPU.csdata,"",@progbits
; Kernel info:
; codeLenInByte = 8460
; TotalNumSgprs: 100
; NumVgprs: 38
; ScratchSize: 0
; MemoryBound: 0
; FloatMode: 240
; IeeeMode: 1
; LDSByteSize: 8192 bytes/workgroup (compile time only)
; SGPRBlocks: 12
; VGPRBlocks: 9
; NumSGPRsForWavesPerEU: 100
; NumVGPRsForWavesPerEU: 38
; Occupancy: 6
; WaveLimiterHint : 1
; COMPUTE_PGM_RSRC2:SCRATCH_EN: 0
; COMPUTE_PGM_RSRC2:USER_SGPR: 6
; COMPUTE_PGM_RSRC2:TRAP_HANDLER: 0
; COMPUTE_PGM_RSRC2:TGID_X_EN: 1
; COMPUTE_PGM_RSRC2:TGID_Y_EN: 0
; COMPUTE_PGM_RSRC2:TGID_Z_EN: 0
; COMPUTE_PGM_RSRC2:TIDIG_COMP_CNT: 0
	.section	.text._ZN9rocsparseL6kernelILi1024ELi2E21rocsparse_complex_numIfEiiEEvbbbT3_PS3_NS_15floating_traitsIT1_E6data_tES3_T2_PKS9_SB_PKS3_PKS6_21rocsparse_index_base_SB_SB_SD_PS6_SH_SG_SB_SB_SD_SH_SH_SG_SH_SH_PS8_SI_PKS8_,"axG",@progbits,_ZN9rocsparseL6kernelILi1024ELi2E21rocsparse_complex_numIfEiiEEvbbbT3_PS3_NS_15floating_traitsIT1_E6data_tES3_T2_PKS9_SB_PKS3_PKS6_21rocsparse_index_base_SB_SB_SD_PS6_SH_SG_SB_SB_SD_SH_SH_SG_SH_SH_PS8_SI_PKS8_,comdat
	.globl	_ZN9rocsparseL6kernelILi1024ELi2E21rocsparse_complex_numIfEiiEEvbbbT3_PS3_NS_15floating_traitsIT1_E6data_tES3_T2_PKS9_SB_PKS3_PKS6_21rocsparse_index_base_SB_SB_SD_PS6_SH_SG_SB_SB_SD_SH_SH_SG_SH_SH_PS8_SI_PKS8_ ; -- Begin function _ZN9rocsparseL6kernelILi1024ELi2E21rocsparse_complex_numIfEiiEEvbbbT3_PS3_NS_15floating_traitsIT1_E6data_tES3_T2_PKS9_SB_PKS3_PKS6_21rocsparse_index_base_SB_SB_SD_PS6_SH_SG_SB_SB_SD_SH_SH_SG_SH_SH_PS8_SI_PKS8_
	.p2align	8
	.type	_ZN9rocsparseL6kernelILi1024ELi2E21rocsparse_complex_numIfEiiEEvbbbT3_PS3_NS_15floating_traitsIT1_E6data_tES3_T2_PKS9_SB_PKS3_PKS6_21rocsparse_index_base_SB_SB_SD_PS6_SH_SG_SB_SB_SD_SH_SH_SG_SH_SH_PS8_SI_PKS8_,@function
_ZN9rocsparseL6kernelILi1024ELi2E21rocsparse_complex_numIfEiiEEvbbbT3_PS3_NS_15floating_traitsIT1_E6data_tES3_T2_PKS9_SB_PKS3_PKS6_21rocsparse_index_base_SB_SB_SD_PS6_SH_SG_SB_SB_SD_SH_SH_SG_SH_SH_PS8_SI_PKS8_: ; @_ZN9rocsparseL6kernelILi1024ELi2E21rocsparse_complex_numIfEiiEEvbbbT3_PS3_NS_15floating_traitsIT1_E6data_tES3_T2_PKS9_SB_PKS3_PKS6_21rocsparse_index_base_SB_SB_SD_PS6_SH_SG_SB_SB_SD_SH_SH_SG_SH_SH_PS8_SI_PKS8_
; %bb.0:
	s_load_dword s0, s[4:5], 0x0
	s_load_dwordx2 s[2:3], s[4:5], 0x0
	s_load_dwordx2 s[74:75], s[4:5], 0x10
	s_load_dwordx4 s[12:15], s[4:5], 0xb8
	v_lshrrev_b32_e32 v19, 1, v0
	s_waitcnt lgkmcnt(0)
	s_bitcmp1_b32 s0, 0
	s_cselect_b64 s[70:71], -1, 0
	s_bitcmp1_b32 s0, 8
	s_cselect_b64 s[68:69], -1, 0
	;; [unrolled: 2-line block ×3, first 2 shown]
	s_lshl_b32 s9, s6, 10
	s_mov_b32 s1, s3
                                        ; implicit-def: $vgpr43 : SGPR spill to VGPR lane
	v_or_b32_e32 v21, s9, v19
	v_writelane_b32 v43, s0, 0
	s_cmp_gt_i32 s3, 0
	v_cmp_gt_i32_e32 vcc, s75, v21
	v_writelane_b32 v43, s1, 1
	s_cselect_b64 s[0:1], -1, 0
	v_and_b32_e32 v20, 1, v0
	v_lshlrev_b32_e32 v17, 2, v0
	s_mov_b32 s33, 0
	v_mov_b32_e32 v1, 0
	s_and_b64 s[0:1], s[0:1], vcc
	v_mov_b32_e32 v22, 0
	v_mov_b32_e32 v18, 0
	ds_write_b32 v17, v1
	s_waitcnt lgkmcnt(0)
	s_barrier
	s_and_saveexec_b64 s[2:3], s[0:1]
	s_cbranch_execnz .LBB36_3
; %bb.1:
	s_or_b64 exec, exec, s[2:3]
	s_andn2_b64 vcc, exec, s[70:71]
	s_cbranch_vccz .LBB36_190
.LBB36_2:
	v_cmp_eq_u32_e32 vcc, 0, v0
	s_and_b64 s[0:1], vcc, s[68:69]
	s_and_saveexec_b64 s[2:3], s[0:1]
	s_cbranch_execnz .LBB36_214
	s_branch .LBB36_220
.LBB36_3:
	s_load_dwordx2 s[0:1], s[4:5], 0xc8
	v_writelane_b32 v43, s2, 2
	v_writelane_b32 v43, s3, 3
	s_load_dwordx4 s[64:67], s[4:5], 0xa8
	s_load_dwordx8 s[36:43], s[4:5], 0x78
	s_load_dwordx8 s[44:51], s[4:5], 0x48
	;; [unrolled: 1-line block ×3, first 2 shown]
	s_load_dword s6, s[4:5], 0x40
	s_load_dwordx2 s[82:83], s[4:5], 0x68
	s_load_dword s7, s[4:5], 0x70
	s_load_dwordx2 s[84:85], s[4:5], 0x98
	s_waitcnt lgkmcnt(0)
	v_writelane_b32 v43, s0, 4
	v_writelane_b32 v43, s1, 5
	s_xor_b64 s[0:1], s[68:69], -1
	v_writelane_b32 v43, s0, 6
	v_writelane_b32 v43, s1, 7
	;; [unrolled: 1-line block ×3, first 2 shown]
	s_addk_i32 s9, 0x400
	v_writelane_b32 v43, s5, 9
	v_cmp_gt_u32_e64 s[0:1], s9, v21
	v_writelane_b32 v43, s0, 10
	v_writelane_b32 v43, s1, 11
	v_cmp_ne_u32_e64 s[0:1], 0, v20
	v_writelane_b32 v43, s0, 12
	v_writelane_b32 v43, s1, 13
	s_movk_i32 s0, 0x100
	v_cmp_gt_u32_e64 s[0:1], s0, v0
	v_writelane_b32 v43, s0, 14
	s_load_dword s8, s[4:5], 0xa0
	v_writelane_b32 v43, s1, 15
	s_movk_i32 s0, 0x80
	v_cmp_gt_u32_e64 s[0:1], s0, v0
	v_writelane_b32 v43, s0, 16
	v_writelane_b32 v43, s1, 17
	s_and_b64 s[0:1], s[68:69], s[34:35]
	s_xor_b64 s[0:1], s[0:1], -1
	v_subrev_u32_e32 v23, s6, v20
	v_cmp_eq_u32_e64 s[2:3], 0, v20
	v_lshlrev_b32_e32 v24, 2, v19
	v_cmp_gt_u32_e64 s[12:13], 64, v0
	v_cmp_gt_u32_e64 s[14:15], 32, v0
	;; [unrolled: 1-line block ×6, first 2 shown]
	v_cmp_eq_u32_e64 s[24:25], 0, v0
	v_subrev_u32_e32 v25, s7, v20
	s_waitcnt lgkmcnt(0)
	v_subrev_u32_e32 v26, s8, v20
	v_writelane_b32 v43, s0, 18
	v_mov_b32_e32 v2, 0
	s_mov_b64 s[88:89], 0
	s_mov_b32 s10, 0xf800000
	v_mov_b32_e32 v27, 0x260
	s_movk_i32 s11, 0x1f8
	v_mov_b32_e32 v18, 0
	v_mov_b32_e32 v22, 0
	v_writelane_b32 v43, s1, 19
	s_branch .LBB36_5
.LBB36_4:                               ;   in Loop: Header=BB36_5 Depth=1
	s_or_b64 exec, exec, s[0:1]
	s_and_b64 s[0:1], exec, s[28:29]
	s_or_b64 s[88:89], s[0:1], s[88:89]
	s_andn2_b64 exec, exec, s[88:89]
	s_cbranch_execz .LBB36_189
.LBB36_5:                               ; =>This Loop Header: Depth=1
                                        ;     Child Loop BB36_9 Depth 2
                                        ;       Child Loop BB36_14 Depth 3
                                        ;         Child Loop BB36_18 Depth 4
                                        ;         Child Loop BB36_53 Depth 4
	;; [unrolled: 1-line block ×5, first 2 shown]
                                        ;     Child Loop BB36_168 Depth 2
                                        ;       Child Loop BB36_171 Depth 3
                                        ;       Child Loop BB36_174 Depth 3
	v_cndmask_b32_e64 v22, v22, 0, s[68:69]
	v_cndmask_b32_e64 v18, v18, 0, s[34:35]
	s_mov_b32 s0, 0
	s_mov_b64 s[90:91], -1
	s_branch .LBB36_9
.LBB36_6:                               ;   in Loop: Header=BB36_9 Depth=2
	s_or_b64 exec, exec, s[76:77]
.LBB36_7:                               ;   in Loop: Header=BB36_9 Depth=2
	s_or_b64 exec, exec, s[94:95]
.LBB36_8:                               ;   in Loop: Header=BB36_9 Depth=2
	s_or_b64 exec, exec, s[92:93]
	s_xor_b64 s[4:5], s[90:91], -1
	s_movk_i32 s0, 0x200
	s_mov_b64 s[90:91], 0
	s_and_b64 vcc, exec, s[4:5]
	s_cbranch_vccnz .LBB36_121
.LBB36_9:                               ;   Parent Loop BB36_5 Depth=1
                                        ; =>  This Loop Header: Depth=2
                                        ;       Child Loop BB36_14 Depth 3
                                        ;         Child Loop BB36_18 Depth 4
                                        ;         Child Loop BB36_53 Depth 4
	;; [unrolled: 1-line block ×5, first 2 shown]
	v_or_b32_e32 v3, s0, v21
	v_cmp_gt_i32_e32 vcc, s75, v3
	s_and_saveexec_b64 s[92:93], vcc
	s_cbranch_execz .LBB36_8
; %bb.10:                               ;   in Loop: Header=BB36_9 Depth=2
	v_ashrrev_i32_e32 v4, 31, v3
	v_lshlrev_b64 v[5:6], 2, v[3:4]
	v_mov_b32_e32 v1, s53
	v_add_co_u32_e32 v7, vcc, s52, v5
	v_addc_co_u32_e32 v8, vcc, v1, v6, vcc
	global_load_dword v1, v[7:8], off
	v_mov_b32_e32 v4, s55
	v_add_co_u32_e32 v7, vcc, s54, v5
	v_addc_co_u32_e32 v8, vcc, v4, v6, vcc
	global_load_dword v7, v[7:8], off
	s_waitcnt vmcnt(1)
	v_add_u32_e32 v4, v23, v1
	s_waitcnt vmcnt(0)
	v_subrev_u32_e32 v28, s6, v7
	v_cmp_lt_i32_e32 vcc, v4, v28
	s_and_saveexec_b64 s[94:95], vcc
	s_cbranch_execz .LBB36_7
; %bb.11:                               ;   in Loop: Header=BB36_9 Depth=2
	v_mov_b32_e32 v1, s47
	v_add_co_u32_e32 v7, vcc, s46, v5
	v_addc_co_u32_e32 v8, vcc, v1, v6, vcc
	v_mov_b32_e32 v1, s45
	v_add_co_u32_e32 v5, vcc, s44, v5
	v_addc_co_u32_e32 v6, vcc, v1, v6, vcc
	global_load_dword v1, v[5:6], off
	s_nop 0
	global_load_dword v5, v[7:8], off
	v_mov_b32_e32 v12, s49
	v_mov_b32_e32 v13, s51
	s_mov_b64 s[76:77], 0
	s_waitcnt vmcnt(1)
	v_subrev_u32_e32 v6, s7, v1
	v_ashrrev_i32_e32 v7, 31, v6
	v_lshlrev_b64 v[8:9], 2, v[6:7]
	v_lshlrev_b64 v[10:11], 3, v[6:7]
	v_add_co_u32_e32 v30, vcc, s48, v8
	v_addc_co_u32_e32 v31, vcc, v12, v9, vcc
	s_waitcnt vmcnt(0)
	v_sub_u32_e32 v29, v5, v1
	v_add_co_u32_e32 v32, vcc, s50, v10
	v_cmp_lt_i32_e64 s[26:27], 0, v29
	v_addc_co_u32_e32 v33, vcc, v13, v11, vcc
	s_branch .LBB36_14
.LBB36_12:                              ;   in Loop: Header=BB36_14 Depth=3
	s_or_b64 exec, exec, s[0:1]
.LBB36_13:                              ;   in Loop: Header=BB36_14 Depth=3
	s_or_b64 exec, exec, s[30:31]
	v_add_u32_e32 v4, 2, v4
	v_cmp_ge_i32_e32 vcc, v4, v28
	s_or_b64 s[76:77], vcc, s[76:77]
	s_andn2_b64 exec, exec, s[76:77]
	s_cbranch_execz .LBB36_6
.LBB36_14:                              ;   Parent Loop BB36_5 Depth=1
                                        ;     Parent Loop BB36_9 Depth=2
                                        ; =>    This Loop Header: Depth=3
                                        ;         Child Loop BB36_18 Depth 4
                                        ;         Child Loop BB36_53 Depth 4
	;; [unrolled: 1-line block ×5, first 2 shown]
	v_ashrrev_i32_e32 v5, 31, v4
	v_lshlrev_b64 v[7:8], 2, v[4:5]
	v_mov_b32_e32 v1, s57
	v_add_co_u32_e32 v7, vcc, s56, v7
	v_addc_co_u32_e32 v8, vcc, v1, v8, vcc
	global_load_dword v1, v[7:8], off
	v_mov_b32_e32 v12, s37
	v_mov_b32_e32 v13, s39
	;; [unrolled: 1-line block ×4, first 2 shown]
	s_waitcnt vmcnt(0)
	v_subrev_u32_e32 v7, s6, v1
	v_ashrrev_i32_e32 v8, 31, v7
	v_lshlrev_b64 v[9:10], 2, v[7:8]
	v_mov_b32_e32 v1, 0
	v_add_co_u32_e32 v11, vcc, s36, v9
	v_addc_co_u32_e32 v12, vcc, v12, v10, vcc
	v_add_co_u32_e32 v9, vcc, s38, v9
	v_addc_co_u32_e32 v10, vcc, v13, v10, vcc
	global_load_dword v12, v[11:12], off
	s_nop 0
	global_load_dword v9, v[9:10], off
	s_waitcnt vmcnt(1)
	v_subrev_u32_e32 v11, s8, v12
	s_waitcnt vmcnt(0)
	v_sub_u32_e32 v36, v9, v12
	v_mov_b32_e32 v12, v1
	s_and_saveexec_b64 s[28:29], s[26:27]
	s_cbranch_execz .LBB36_22
; %bb.15:                               ;   in Loop: Header=BB36_14 Depth=3
	v_ashrrev_i32_e32 v12, 31, v11
	v_lshlrev_b64 v[9:10], 2, v[11:12]
	v_mov_b32_e32 v1, s41
	v_add_co_u32_e32 v9, vcc, s40, v9
	v_lshlrev_b64 v[12:13], 3, v[11:12]
	v_addc_co_u32_e32 v10, vcc, v1, v10, vcc
	v_mov_b32_e32 v1, s43
	v_add_co_u32_e32 v14, vcc, s42, v12
	v_mov_b32_e32 v12, 0
	v_addc_co_u32_e32 v15, vcc, v1, v13, vcc
	v_mov_b32_e32 v34, 0
	s_mov_b64 s[30:31], 0
	v_mov_b32_e32 v1, v12
	v_mov_b32_e32 v35, 0
                                        ; implicit-def: $sgpr60_sgpr61
	s_branch .LBB36_18
.LBB36_16:                              ;   in Loop: Header=BB36_18 Depth=4
	s_or_b64 exec, exec, s[0:1]
	v_cmp_le_i32_e32 vcc, v16, v37
	v_addc_co_u32_e32 v1, vcc, 0, v1, vcc
	v_cmp_ge_i32_e32 vcc, v16, v37
	v_addc_co_u32_e32 v12, vcc, 0, v12, vcc
	v_cmp_ge_i32_e32 vcc, v1, v29
	s_andn2_b64 s[0:1], s[60:61], exec
	s_and_b64 s[4:5], vcc, exec
	s_or_b64 s[60:61], s[0:1], s[4:5]
.LBB36_17:                              ;   in Loop: Header=BB36_18 Depth=4
	s_or_b64 exec, exec, s[62:63]
	s_and_b64 s[0:1], exec, s[60:61]
	s_or_b64 s[30:31], s[0:1], s[30:31]
	s_andn2_b64 exec, exec, s[30:31]
	s_cbranch_execz .LBB36_21
.LBB36_18:                              ;   Parent Loop BB36_5 Depth=1
                                        ;     Parent Loop BB36_9 Depth=2
                                        ;       Parent Loop BB36_14 Depth=3
                                        ; =>      This Inner Loop Header: Depth=4
	v_cmp_lt_i32_e32 vcc, v12, v36
	s_or_b64 s[60:61], s[60:61], exec
	s_and_saveexec_b64 s[62:63], vcc
	s_cbranch_execz .LBB36_17
; %bb.19:                               ;   in Loop: Header=BB36_18 Depth=4
	v_lshlrev_b64 v[37:38], 2, v[1:2]
	v_mov_b32_e32 v13, v2
	v_add_co_u32_e32 v37, vcc, v30, v37
	v_addc_co_u32_e32 v38, vcc, v31, v38, vcc
	global_load_dword v16, v[37:38], off
	v_lshlrev_b64 v[37:38], 2, v[12:13]
	v_add_co_u32_e32 v37, vcc, v9, v37
	v_addc_co_u32_e32 v38, vcc, v10, v38, vcc
	global_load_dword v37, v[37:38], off
	s_waitcnt vmcnt(1)
	v_subrev_u32_e32 v16, s7, v16
	s_waitcnt vmcnt(0)
	v_subrev_u32_e32 v37, s8, v37
	v_cmp_eq_u32_e32 vcc, v16, v37
	s_and_saveexec_b64 s[0:1], vcc
	s_cbranch_execz .LBB36_16
; %bb.20:                               ;   in Loop: Header=BB36_18 Depth=4
	v_lshlrev_b64 v[38:39], 3, v[1:2]
	v_lshlrev_b64 v[40:41], 3, v[12:13]
	v_add_co_u32_e32 v38, vcc, v32, v38
	v_addc_co_u32_e32 v39, vcc, v33, v39, vcc
	v_add_co_u32_e32 v40, vcc, v14, v40
	v_addc_co_u32_e32 v41, vcc, v15, v41, vcc
	global_load_dwordx2 v[38:39], v[38:39], off
	s_nop 0
	global_load_dwordx2 v[40:41], v[40:41], off
	s_waitcnt vmcnt(0)
	v_fmac_f32_e32 v34, v38, v40
	v_fmac_f32_e32 v35, v39, v40
	v_fma_f32 v34, -v39, v41, v34
	v_fmac_f32_e32 v35, v38, v41
	s_branch .LBB36_16
.LBB36_21:                              ;   in Loop: Header=BB36_14 Depth=3
	s_or_b64 exec, exec, s[30:31]
.LBB36_22:                              ;   in Loop: Header=BB36_14 Depth=3
	s_or_b64 exec, exec, s[28:29]
	v_lshlrev_b64 v[9:10], 3, v[4:5]
	v_mov_b32_e32 v5, s59
	v_add_co_u32_e32 v9, vcc, s58, v9
	v_addc_co_u32_e32 v10, vcc, v5, v10, vcc
	global_load_dwordx2 v[9:10], v[9:10], off
	v_cmp_le_i32_e64 s[28:29], v3, v7
	v_cmp_gt_i32_e32 vcc, v3, v7
	s_waitcnt vmcnt(0)
	v_sub_f32_e32 v13, v9, v34
	v_sub_f32_e32 v14, v10, v35
	s_and_saveexec_b64 s[72:73], vcc
	s_cbranch_execz .LBB36_32
; %bb.23:                               ;   in Loop: Header=BB36_14 Depth=3
	v_lshlrev_b64 v[15:16], 3, v[7:8]
	v_mov_b32_e32 v5, s65
	v_add_co_u32_e32 v15, vcc, s64, v15
	v_addc_co_u32_e32 v16, vcc, v5, v16, vcc
	global_load_dwordx2 v[15:16], v[15:16], off
                                        ; implicit-def: $vgpr38
	s_waitcnt vmcnt(0)
	v_cmp_gt_f32_e32 vcc, 0, v15
	v_cndmask_b32_e64 v5, v15, -v15, vcc
	v_cmp_gt_f32_e32 vcc, 0, v16
	v_cndmask_b32_e64 v37, v16, -v16, vcc
	v_cmp_ngt_f32_e32 vcc, v5, v37
	s_and_saveexec_b64 s[0:1], vcc
	s_xor_b64 s[0:1], exec, s[0:1]
	s_cbranch_execz .LBB36_27
; %bb.24:                               ;   in Loop: Header=BB36_14 Depth=3
	v_mov_b32_e32 v38, 0
	v_cmp_neq_f32_e32 vcc, 0, v16
	s_and_saveexec_b64 s[60:61], vcc
	s_cbranch_execz .LBB36_26
; %bb.25:                               ;   in Loop: Header=BB36_14 Depth=3
	v_div_scale_f32 v38, s[4:5], v37, v37, v5
	v_div_scale_f32 v39, vcc, v5, v37, v5
	v_rcp_f32_e32 v40, v38
	v_fma_f32 v41, -v38, v40, 1.0
	v_fmac_f32_e32 v40, v41, v40
	v_mul_f32_e32 v41, v39, v40
	v_fma_f32 v42, -v38, v41, v39
	v_fmac_f32_e32 v41, v42, v40
	v_fma_f32 v38, -v38, v41, v39
	v_div_fmas_f32 v38, v38, v40, v41
	v_div_fixup_f32 v5, v38, v37, v5
	v_fma_f32 v5, v5, v5, 1.0
	v_mul_f32_e32 v38, 0x4f800000, v5
	v_cmp_gt_f32_e32 vcc, s10, v5
	v_cndmask_b32_e32 v5, v5, v38, vcc
	v_sqrt_f32_e32 v38, v5
	v_add_u32_e32 v39, -1, v38
	v_add_u32_e32 v40, 1, v38
	v_fma_f32 v41, -v39, v38, v5
	v_fma_f32 v42, -v40, v38, v5
	v_cmp_ge_f32_e64 s[30:31], 0, v41
	v_cndmask_b32_e64 v38, v38, v39, s[30:31]
	v_cmp_lt_f32_e64 s[30:31], 0, v42
	v_cndmask_b32_e64 v38, v38, v40, s[30:31]
	v_mul_f32_e32 v39, 0x37800000, v38
	v_cndmask_b32_e32 v38, v38, v39, vcc
	v_cmp_class_f32_e32 vcc, v5, v27
	v_cndmask_b32_e32 v5, v38, v5, vcc
	v_mul_f32_e32 v38, v37, v5
.LBB36_26:                              ;   in Loop: Header=BB36_14 Depth=3
	s_or_b64 exec, exec, s[60:61]
                                        ; implicit-def: $vgpr5
                                        ; implicit-def: $vgpr37
.LBB36_27:                              ;   in Loop: Header=BB36_14 Depth=3
	s_andn2_saveexec_b64 s[0:1], s[0:1]
	s_cbranch_execz .LBB36_29
; %bb.28:                               ;   in Loop: Header=BB36_14 Depth=3
	v_div_scale_f32 v38, s[4:5], v5, v5, v37
	v_div_scale_f32 v39, vcc, v37, v5, v37
	v_rcp_f32_e32 v40, v38
	v_fma_f32 v41, -v38, v40, 1.0
	v_fmac_f32_e32 v40, v41, v40
	v_mul_f32_e32 v41, v39, v40
	v_fma_f32 v42, -v38, v41, v39
	v_fmac_f32_e32 v41, v42, v40
	v_fma_f32 v38, -v38, v41, v39
	v_div_fmas_f32 v38, v38, v40, v41
	v_div_fixup_f32 v37, v38, v5, v37
	v_fma_f32 v37, v37, v37, 1.0
	v_mul_f32_e32 v38, 0x4f800000, v37
	v_cmp_gt_f32_e32 vcc, s10, v37
	v_cndmask_b32_e32 v37, v37, v38, vcc
	v_sqrt_f32_e32 v38, v37
	v_add_u32_e32 v39, -1, v38
	v_add_u32_e32 v40, 1, v38
	v_fma_f32 v41, -v39, v38, v37
	v_fma_f32 v42, -v40, v38, v37
	v_cmp_ge_f32_e64 s[30:31], 0, v41
	v_cndmask_b32_e64 v38, v38, v39, s[30:31]
	v_cmp_lt_f32_e64 s[30:31], 0, v42
	v_cndmask_b32_e64 v38, v38, v40, s[30:31]
	v_mul_f32_e32 v39, 0x37800000, v38
	v_cndmask_b32_e32 v38, v38, v39, vcc
	v_cmp_class_f32_e32 vcc, v37, v27
	v_cndmask_b32_e32 v37, v38, v37, vcc
	v_mul_f32_e32 v38, v5, v37
.LBB36_29:                              ;   in Loop: Header=BB36_14 Depth=3
	s_or_b64 exec, exec, s[0:1]
	v_mov_b32_e32 v5, 0
	v_cmp_lt_f32_e32 vcc, 0, v38
	v_mov_b32_e32 v37, 0
	s_and_saveexec_b64 s[0:1], vcc
	s_cbranch_execz .LBB36_31
; %bb.30:                               ;   in Loop: Header=BB36_14 Depth=3
	v_mul_f32_e32 v5, v16, v16
	v_fmac_f32_e32 v5, v15, v15
	v_div_scale_f32 v37, s[4:5], v5, v5, 1.0
	v_div_scale_f32 v38, vcc, 1.0, v5, 1.0
	v_rcp_f32_e32 v39, v37
	v_fma_f32 v40, -v37, v39, 1.0
	v_fmac_f32_e32 v39, v40, v39
	v_mul_f32_e32 v40, v38, v39
	v_fma_f32 v41, -v37, v40, v38
	v_fmac_f32_e32 v40, v41, v39
	v_fma_f32 v37, -v37, v40, v38
	v_div_fmas_f32 v37, v37, v39, v40
	v_mul_f32_e32 v38, v14, v16
	v_mul_f32_e64 v16, v16, -v13
	v_fmac_f32_e32 v38, v13, v15
	v_fmac_f32_e32 v16, v14, v15
	v_div_fixup_f32 v5, v37, v5, 1.0
	v_mul_f32_e32 v37, v38, v5
	v_mul_f32_e32 v5, v16, v5
.LBB36_31:                              ;   in Loop: Header=BB36_14 Depth=3
	s_or_b64 exec, exec, s[0:1]
	v_mov_b32_e32 v14, v5
	v_mov_b32_e32 v13, v37
.LBB36_32:                              ;   in Loop: Header=BB36_14 Depth=3
	s_or_b64 exec, exec, s[72:73]
	v_cmp_gt_f32_e32 vcc, 0, v13
	v_cndmask_b32_e64 v5, v13, -v13, vcc
	v_cmp_gt_f32_e32 vcc, 0, v14
	v_cndmask_b32_e64 v15, v14, -v14, vcc
	v_cmp_ngt_f32_e32 vcc, v5, v15
                                        ; implicit-def: $vgpr16
	s_and_saveexec_b64 s[0:1], vcc
	s_xor_b64 s[0:1], exec, s[0:1]
	s_cbranch_execnz .LBB36_36
; %bb.33:                               ;   in Loop: Header=BB36_14 Depth=3
	s_andn2_saveexec_b64 s[0:1], s[0:1]
	s_cbranch_execnz .LBB36_39
.LBB36_34:                              ;   in Loop: Header=BB36_14 Depth=3
	s_or_b64 exec, exec, s[0:1]
	v_cmp_class_f32_e64 s[30:31], v16, s11
	s_and_saveexec_b64 s[80:81], s[30:31]
	s_cbranch_execnz .LBB36_40
.LBB36_35:                              ;   in Loop: Header=BB36_14 Depth=3
	s_or_b64 exec, exec, s[80:81]
	s_and_b64 s[0:1], s[34:35], s[30:31]
	s_and_saveexec_b64 s[30:31], s[0:1]
	s_cbranch_execz .LBB36_13
	s_branch .LBB36_81
.LBB36_36:                              ;   in Loop: Header=BB36_14 Depth=3
	v_mov_b32_e32 v16, 0
	v_cmp_neq_f32_e32 vcc, 0, v14
	s_and_saveexec_b64 s[60:61], vcc
	s_cbranch_execz .LBB36_38
; %bb.37:                               ;   in Loop: Header=BB36_14 Depth=3
	v_div_scale_f32 v16, s[4:5], v15, v15, v5
	v_div_scale_f32 v37, vcc, v5, v15, v5
	v_rcp_f32_e32 v38, v16
	v_fma_f32 v39, -v16, v38, 1.0
	v_fmac_f32_e32 v38, v39, v38
	v_mul_f32_e32 v39, v37, v38
	v_fma_f32 v40, -v16, v39, v37
	v_fmac_f32_e32 v39, v40, v38
	v_fma_f32 v16, -v16, v39, v37
	v_div_fmas_f32 v16, v16, v38, v39
	v_div_fixup_f32 v5, v16, v15, v5
	v_fma_f32 v5, v5, v5, 1.0
	v_mul_f32_e32 v16, 0x4f800000, v5
	v_cmp_gt_f32_e32 vcc, s10, v5
	v_cndmask_b32_e32 v5, v5, v16, vcc
	v_sqrt_f32_e32 v16, v5
	v_add_u32_e32 v37, -1, v16
	v_add_u32_e32 v38, 1, v16
	v_fma_f32 v39, -v37, v16, v5
	v_fma_f32 v40, -v38, v16, v5
	v_cmp_ge_f32_e64 s[30:31], 0, v39
	v_cndmask_b32_e64 v16, v16, v37, s[30:31]
	v_cmp_lt_f32_e64 s[30:31], 0, v40
	v_cndmask_b32_e64 v16, v16, v38, s[30:31]
	v_mul_f32_e32 v37, 0x37800000, v16
	v_cndmask_b32_e32 v16, v16, v37, vcc
	v_cmp_class_f32_e32 vcc, v5, v27
	v_cndmask_b32_e32 v5, v16, v5, vcc
	v_mul_f32_e32 v16, v15, v5
.LBB36_38:                              ;   in Loop: Header=BB36_14 Depth=3
	s_or_b64 exec, exec, s[60:61]
                                        ; implicit-def: $vgpr5
                                        ; implicit-def: $vgpr15
	s_andn2_saveexec_b64 s[0:1], s[0:1]
	s_cbranch_execz .LBB36_34
.LBB36_39:                              ;   in Loop: Header=BB36_14 Depth=3
	v_div_scale_f32 v16, s[4:5], v5, v5, v15
	v_div_scale_f32 v37, vcc, v15, v5, v15
	v_rcp_f32_e32 v38, v16
	v_fma_f32 v39, -v16, v38, 1.0
	v_fmac_f32_e32 v38, v39, v38
	v_mul_f32_e32 v39, v37, v38
	v_fma_f32 v40, -v16, v39, v37
	v_fmac_f32_e32 v39, v40, v38
	v_fma_f32 v16, -v16, v39, v37
	v_div_fmas_f32 v16, v16, v38, v39
	v_div_fixup_f32 v15, v16, v5, v15
	v_fma_f32 v15, v15, v15, 1.0
	v_mul_f32_e32 v16, 0x4f800000, v15
	v_cmp_gt_f32_e32 vcc, s10, v15
	v_cndmask_b32_e32 v15, v15, v16, vcc
	v_sqrt_f32_e32 v16, v15
	v_add_u32_e32 v37, -1, v16
	v_add_u32_e32 v38, 1, v16
	v_fma_f32 v39, -v37, v16, v15
	v_fma_f32 v40, -v38, v16, v15
	v_cmp_ge_f32_e64 s[30:31], 0, v39
	v_cndmask_b32_e64 v16, v16, v37, s[30:31]
	v_cmp_lt_f32_e64 s[30:31], 0, v40
	v_cndmask_b32_e64 v16, v16, v38, s[30:31]
	v_mul_f32_e32 v37, 0x37800000, v16
	v_cndmask_b32_e32 v16, v16, v37, vcc
	v_cmp_class_f32_e32 vcc, v15, v27
	v_cndmask_b32_e32 v15, v16, v15, vcc
	v_mul_f32_e32 v16, v5, v15
	s_or_b64 exec, exec, s[0:1]
	v_cmp_class_f32_e64 s[30:31], v16, s11
	s_and_saveexec_b64 s[80:81], s[30:31]
	s_cbranch_execz .LBB36_35
.LBB36_40:                              ;   in Loop: Header=BB36_14 Depth=3
	s_and_saveexec_b64 s[0:1], s[28:29]
	s_xor_b64 s[78:79], exec, s[0:1]
	s_cbranch_execz .LBB36_65
; %bb.41:                               ;   in Loop: Header=BB36_14 Depth=3
	v_cmp_ge_i32_e32 vcc, v3, v7
	s_and_saveexec_b64 s[0:1], vcc
	s_xor_b64 s[72:73], exec, s[0:1]
	s_cbranch_execz .LBB36_49
; %bb.42:                               ;   in Loop: Header=BB36_14 Depth=3
	v_lshlrev_b64 v[15:16], 3, v[7:8]
	v_mov_b32_e32 v5, s67
	v_add_co_u32_e32 v37, vcc, s66, v15
	v_addc_co_u32_e32 v38, vcc, v5, v16, vcc
	s_andn2_b64 vcc, exec, s[68:69]
	global_store_dwordx2 v[37:38], v[13:14], off
	s_cbranch_vccnz .LBB36_48
; %bb.43:                               ;   in Loop: Header=BB36_14 Depth=3
	v_mov_b32_e32 v5, s65
	v_add_co_u32_e32 v15, vcc, s64, v15
	v_addc_co_u32_e32 v16, vcc, v5, v16, vcc
	global_load_dwordx2 v[15:16], v[15:16], off
	s_waitcnt vmcnt(0)
	v_sub_f32_e32 v5, v15, v13
	v_sub_f32_e32 v15, v16, v14
	v_cmp_gt_f32_e32 vcc, 0, v5
	v_cndmask_b32_e64 v5, v5, -v5, vcc
	v_cmp_gt_f32_e32 vcc, 0, v15
	v_cndmask_b32_e64 v13, v15, -v15, vcc
	v_cmp_ngt_f32_e32 vcc, v5, v13
                                        ; implicit-def: $vgpr14
	s_and_saveexec_b64 s[0:1], vcc
	s_xor_b64 s[0:1], exec, s[0:1]
	s_cbranch_execnz .LBB36_109
; %bb.44:                               ;   in Loop: Header=BB36_14 Depth=3
	s_andn2_saveexec_b64 s[0:1], s[0:1]
	s_cbranch_execnz .LBB36_112
.LBB36_45:                              ;   in Loop: Header=BB36_14 Depth=3
	s_or_b64 exec, exec, s[0:1]
	v_cmp_class_f32_e64 s[4:5], v14, s11
	s_and_saveexec_b64 s[0:1], s[4:5]
.LBB36_46:                              ;   in Loop: Header=BB36_14 Depth=3
	v_cmp_lt_f32_e32 vcc, v22, v14
	v_cndmask_b32_e32 v22, v22, v14, vcc
.LBB36_47:                              ;   in Loop: Header=BB36_14 Depth=3
	s_or_b64 exec, exec, s[0:1]
.LBB36_48:                              ;   in Loop: Header=BB36_14 Depth=3
                                        ; implicit-def: $vgpr13
.LBB36_49:                              ;   in Loop: Header=BB36_14 Depth=3
	s_andn2_saveexec_b64 s[86:87], s[72:73]
	s_cbranch_execz .LBB36_64
; %bb.50:                               ;   in Loop: Header=BB36_14 Depth=3
	v_cmp_lt_i32_e32 vcc, v12, v36
	s_and_saveexec_b64 s[72:73], vcc
	s_cbranch_execz .LBB36_63
; %bb.51:                               ;   in Loop: Header=BB36_14 Depth=3
	s_mov_b64 s[28:29], 0
	v_mov_b32_e32 v5, v12
                                        ; implicit-def: $sgpr60_sgpr61
                                        ; implicit-def: $sgpr0_sgpr1
                                        ; implicit-def: $sgpr62_sgpr63
	s_branch .LBB36_53
.LBB36_52:                              ;   in Loop: Header=BB36_53 Depth=4
	s_or_b64 exec, exec, s[4:5]
	s_and_b64 s[4:5], exec, s[0:1]
	s_or_b64 s[28:29], s[4:5], s[28:29]
	s_andn2_b64 s[4:5], s[60:61], exec
	s_and_b64 s[60:61], s[62:63], exec
	s_or_b64 s[60:61], s[4:5], s[60:61]
	s_andn2_b64 exec, exec, s[28:29]
	s_cbranch_execz .LBB36_55
.LBB36_53:                              ;   Parent Loop BB36_5 Depth=1
                                        ;     Parent Loop BB36_9 Depth=2
                                        ;       Parent Loop BB36_14 Depth=3
                                        ; =>      This Inner Loop Header: Depth=4
	v_add_u32_e32 v15, v11, v5
	v_ashrrev_i32_e32 v16, 31, v15
	v_lshlrev_b64 v[37:38], 2, v[15:16]
	v_mov_b32_e32 v39, s41
	v_add_co_u32_e32 v37, vcc, s40, v37
	v_addc_co_u32_e32 v38, vcc, v39, v38, vcc
	global_load_dword v37, v[37:38], off
	s_or_b64 s[62:63], s[62:63], exec
	s_or_b64 s[0:1], s[0:1], exec
	s_waitcnt vmcnt(0)
	v_subrev_u32_e32 v37, s8, v37
	v_cmp_ne_u32_e32 vcc, v37, v3
	s_and_saveexec_b64 s[4:5], vcc
	s_cbranch_execz .LBB36_52
; %bb.54:                               ;   in Loop: Header=BB36_53 Depth=4
	v_add_u32_e32 v5, 1, v5
	v_cmp_ge_i32_e32 vcc, v5, v36
	s_andn2_b64 s[0:1], s[0:1], exec
	s_and_b64 vcc, vcc, exec
	s_andn2_b64 s[62:63], s[62:63], exec
	s_or_b64 s[0:1], s[0:1], vcc
	s_branch .LBB36_52
.LBB36_55:                              ;   in Loop: Header=BB36_14 Depth=3
	s_or_b64 exec, exec, s[28:29]
	s_and_saveexec_b64 s[0:1], s[60:61]
	s_xor_b64 s[60:61], exec, s[0:1]
	s_cbranch_execz .LBB36_62
; %bb.56:                               ;   in Loop: Header=BB36_14 Depth=3
	v_lshlrev_b64 v[15:16], 3, v[15:16]
	v_mov_b32_e32 v5, s85
	v_add_co_u32_e32 v37, vcc, s84, v15
	v_addc_co_u32_e32 v38, vcc, v5, v16, vcc
	s_andn2_b64 vcc, exec, s[68:69]
	global_store_dwordx2 v[37:38], v[13:14], off
	s_cbranch_vccnz .LBB36_62
; %bb.57:                               ;   in Loop: Header=BB36_14 Depth=3
	v_mov_b32_e32 v5, s43
	v_add_co_u32_e32 v15, vcc, s42, v15
	v_addc_co_u32_e32 v16, vcc, v5, v16, vcc
	global_load_dwordx2 v[15:16], v[15:16], off
	s_waitcnt vmcnt(0)
	v_sub_f32_e32 v5, v15, v13
	v_sub_f32_e32 v15, v16, v14
	v_cmp_gt_f32_e32 vcc, 0, v5
	v_cndmask_b32_e64 v5, v5, -v5, vcc
	v_cmp_gt_f32_e32 vcc, 0, v15
	v_cndmask_b32_e64 v13, v15, -v15, vcc
	v_cmp_ngt_f32_e32 vcc, v5, v13
                                        ; implicit-def: $vgpr14
	s_and_saveexec_b64 s[0:1], vcc
	s_xor_b64 s[0:1], exec, s[0:1]
	s_cbranch_execnz .LBB36_117
; %bb.58:                               ;   in Loop: Header=BB36_14 Depth=3
	s_andn2_saveexec_b64 s[0:1], s[0:1]
	s_cbranch_execnz .LBB36_120
.LBB36_59:                              ;   in Loop: Header=BB36_14 Depth=3
	s_or_b64 exec, exec, s[0:1]
	v_cmp_class_f32_e64 s[4:5], v14, s11
	s_and_saveexec_b64 s[0:1], s[4:5]
.LBB36_60:                              ;   in Loop: Header=BB36_14 Depth=3
	v_cmp_lt_f32_e32 vcc, v22, v14
	v_cndmask_b32_e32 v22, v22, v14, vcc
.LBB36_61:                              ;   in Loop: Header=BB36_14 Depth=3
	s_or_b64 exec, exec, s[0:1]
.LBB36_62:                              ;   in Loop: Header=BB36_14 Depth=3
	s_or_b64 exec, exec, s[60:61]
.LBB36_63:                              ;   in Loop: Header=BB36_14 Depth=3
	s_or_b64 exec, exec, s[72:73]
.LBB36_64:                              ;   in Loop: Header=BB36_14 Depth=3
	s_or_b64 exec, exec, s[86:87]
                                        ; implicit-def: $vgpr13
.LBB36_65:                              ;   in Loop: Header=BB36_14 Depth=3
	s_andn2_saveexec_b64 s[78:79], s[78:79]
	s_cbranch_execz .LBB36_80
; %bb.66:                               ;   in Loop: Header=BB36_14 Depth=3
	v_cmp_lt_i32_e32 vcc, v1, v29
	s_and_saveexec_b64 s[86:87], vcc
	s_cbranch_execz .LBB36_79
; %bb.67:                               ;   in Loop: Header=BB36_14 Depth=3
	s_mov_b64 s[28:29], 0
	v_mov_b32_e32 v5, v1
                                        ; implicit-def: $sgpr60_sgpr61
                                        ; implicit-def: $sgpr0_sgpr1
                                        ; implicit-def: $sgpr62_sgpr63
	s_branch .LBB36_69
.LBB36_68:                              ;   in Loop: Header=BB36_69 Depth=4
	s_or_b64 exec, exec, s[72:73]
	s_and_b64 s[4:5], exec, s[0:1]
	s_or_b64 s[28:29], s[4:5], s[28:29]
	s_andn2_b64 s[4:5], s[60:61], exec
	s_and_b64 s[60:61], s[62:63], exec
	s_or_b64 s[60:61], s[4:5], s[60:61]
	s_andn2_b64 exec, exec, s[28:29]
	s_cbranch_execz .LBB36_71
.LBB36_69:                              ;   Parent Loop BB36_5 Depth=1
                                        ;     Parent Loop BB36_9 Depth=2
                                        ;       Parent Loop BB36_14 Depth=3
                                        ; =>      This Inner Loop Header: Depth=4
	v_add_u32_e32 v15, v6, v5
	v_ashrrev_i32_e32 v16, 31, v15
	v_lshlrev_b64 v[37:38], 2, v[15:16]
	v_mov_b32_e32 v39, s49
	v_add_co_u32_e32 v37, vcc, s48, v37
	v_addc_co_u32_e32 v38, vcc, v39, v38, vcc
	global_load_dword v37, v[37:38], off
	s_or_b64 s[62:63], s[62:63], exec
	s_or_b64 s[0:1], s[0:1], exec
	s_waitcnt vmcnt(0)
	v_subrev_u32_e32 v37, s7, v37
	v_cmp_ne_u32_e32 vcc, v37, v7
	s_and_saveexec_b64 s[72:73], vcc
	s_cbranch_execz .LBB36_68
; %bb.70:                               ;   in Loop: Header=BB36_69 Depth=4
	v_add_u32_e32 v5, 1, v5
	v_cmp_ge_i32_e32 vcc, v5, v29
	s_andn2_b64 s[0:1], s[0:1], exec
	s_and_b64 s[4:5], vcc, exec
	s_andn2_b64 s[62:63], s[62:63], exec
	s_or_b64 s[0:1], s[0:1], s[4:5]
	s_branch .LBB36_68
.LBB36_71:                              ;   in Loop: Header=BB36_14 Depth=3
	s_or_b64 exec, exec, s[28:29]
	s_and_saveexec_b64 s[0:1], s[60:61]
	s_xor_b64 s[60:61], exec, s[0:1]
	s_cbranch_execz .LBB36_78
; %bb.72:                               ;   in Loop: Header=BB36_14 Depth=3
	v_lshlrev_b64 v[15:16], 3, v[15:16]
	v_mov_b32_e32 v5, s83
	v_add_co_u32_e32 v37, vcc, s82, v15
	v_addc_co_u32_e32 v38, vcc, v5, v16, vcc
	s_andn2_b64 vcc, exec, s[68:69]
	global_store_dwordx2 v[37:38], v[13:14], off
	s_cbranch_vccnz .LBB36_78
; %bb.73:                               ;   in Loop: Header=BB36_14 Depth=3
	v_mov_b32_e32 v5, s51
	v_add_co_u32_e32 v15, vcc, s50, v15
	v_addc_co_u32_e32 v16, vcc, v5, v16, vcc
	global_load_dwordx2 v[15:16], v[15:16], off
	s_waitcnt vmcnt(0)
	v_sub_f32_e32 v5, v15, v13
	v_sub_f32_e32 v15, v16, v14
	v_cmp_gt_f32_e32 vcc, 0, v5
	v_cndmask_b32_e64 v5, v5, -v5, vcc
	v_cmp_gt_f32_e32 vcc, 0, v15
	v_cndmask_b32_e64 v13, v15, -v15, vcc
	v_cmp_ngt_f32_e32 vcc, v5, v13
                                        ; implicit-def: $vgpr14
	s_and_saveexec_b64 s[0:1], vcc
	s_xor_b64 s[0:1], exec, s[0:1]
	s_cbranch_execnz .LBB36_113
; %bb.74:                               ;   in Loop: Header=BB36_14 Depth=3
	s_andn2_saveexec_b64 s[0:1], s[0:1]
	s_cbranch_execnz .LBB36_116
.LBB36_75:                              ;   in Loop: Header=BB36_14 Depth=3
	s_or_b64 exec, exec, s[0:1]
	v_cmp_class_f32_e64 s[4:5], v14, s11
	s_and_saveexec_b64 s[0:1], s[4:5]
.LBB36_76:                              ;   in Loop: Header=BB36_14 Depth=3
	v_cmp_lt_f32_e32 vcc, v22, v14
	v_cndmask_b32_e32 v22, v22, v14, vcc
.LBB36_77:                              ;   in Loop: Header=BB36_14 Depth=3
	s_or_b64 exec, exec, s[0:1]
.LBB36_78:                              ;   in Loop: Header=BB36_14 Depth=3
	s_or_b64 exec, exec, s[60:61]
.LBB36_79:                              ;   in Loop: Header=BB36_14 Depth=3
	s_or_b64 exec, exec, s[86:87]
.LBB36_80:                              ;   in Loop: Header=BB36_14 Depth=3
	s_or_b64 exec, exec, s[78:79]
	s_or_b64 exec, exec, s[80:81]
	s_and_b64 s[0:1], s[34:35], s[30:31]
	s_and_saveexec_b64 s[30:31], s[0:1]
	s_cbranch_execz .LBB36_13
.LBB36_81:                              ;   in Loop: Header=BB36_14 Depth=3
	v_cmp_ge_i32_e32 vcc, v12, v36
	s_and_saveexec_b64 s[0:1], vcc
	s_xor_b64 s[28:29], exec, s[0:1]
	s_cbranch_execnz .LBB36_88
; %bb.82:                               ;   in Loop: Header=BB36_14 Depth=3
	s_andn2_saveexec_b64 s[28:29], s[28:29]
	s_cbranch_execnz .LBB36_102
.LBB36_83:                              ;   in Loop: Header=BB36_14 Depth=3
	s_or_b64 exec, exec, s[28:29]
	v_cmp_eq_u32_e32 vcc, v3, v7
	s_and_saveexec_b64 s[0:1], vcc
	s_cbranch_execz .LBB36_85
.LBB36_84:                              ;   in Loop: Header=BB36_14 Depth=3
	v_lshlrev_b64 v[7:8], 3, v[7:8]
	v_mov_b32_e32 v1, s65
	v_add_co_u32_e32 v7, vcc, s64, v7
	v_addc_co_u32_e32 v8, vcc, v1, v8, vcc
	global_load_dwordx2 v[7:8], v[7:8], off
	s_waitcnt vmcnt(0)
	v_add_f32_e32 v34, v34, v7
	v_add_f32_e32 v35, v35, v8
.LBB36_85:                              ;   in Loop: Header=BB36_14 Depth=3
	s_or_b64 exec, exec, s[0:1]
	v_sub_f32_e32 v1, v9, v34
	v_sub_f32_e32 v8, v10, v35
	v_cmp_gt_f32_e32 vcc, 0, v1
	v_cndmask_b32_e64 v1, v1, -v1, vcc
	v_cmp_gt_f32_e32 vcc, 0, v8
	v_cndmask_b32_e64 v5, v8, -v8, vcc
	v_cmp_ngt_f32_e32 vcc, v1, v5
                                        ; implicit-def: $vgpr7
	s_and_saveexec_b64 s[0:1], vcc
	s_xor_b64 s[0:1], exec, s[0:1]
	s_cbranch_execnz .LBB36_93
; %bb.86:                               ;   in Loop: Header=BB36_14 Depth=3
	s_andn2_saveexec_b64 s[0:1], s[0:1]
	s_cbranch_execnz .LBB36_96
.LBB36_87:                              ;   in Loop: Header=BB36_14 Depth=3
	s_or_b64 exec, exec, s[0:1]
	v_cmp_class_f32_e64 s[4:5], v7, s11
	s_and_saveexec_b64 s[0:1], s[4:5]
	s_cbranch_execz .LBB36_12
	s_branch .LBB36_97
.LBB36_88:                              ;   in Loop: Header=BB36_14 Depth=3
	v_cmp_lt_i32_e32 vcc, v1, v29
	s_and_saveexec_b64 s[60:61], vcc
	s_cbranch_execz .LBB36_101
; %bb.89:                               ;   in Loop: Header=BB36_14 Depth=3
	s_mov_b64 s[72:73], 0
                                        ; implicit-def: $sgpr62_sgpr63
                                        ; implicit-def: $sgpr0_sgpr1
                                        ; implicit-def: $sgpr78_sgpr79
	s_branch .LBB36_91
.LBB36_90:                              ;   in Loop: Header=BB36_91 Depth=4
	s_or_b64 exec, exec, s[4:5]
	s_and_b64 s[4:5], exec, s[0:1]
	s_or_b64 s[72:73], s[4:5], s[72:73]
	s_andn2_b64 s[4:5], s[62:63], exec
	s_and_b64 s[62:63], s[78:79], exec
	s_or_b64 s[62:63], s[4:5], s[62:63]
	s_andn2_b64 exec, exec, s[72:73]
	s_cbranch_execz .LBB36_98
.LBB36_91:                              ;   Parent Loop BB36_5 Depth=1
                                        ;     Parent Loop BB36_9 Depth=2
                                        ;       Parent Loop BB36_14 Depth=3
                                        ; =>      This Inner Loop Header: Depth=4
	v_add_u32_e32 v11, v6, v1
	v_ashrrev_i32_e32 v12, 31, v11
	v_lshlrev_b64 v[13:14], 2, v[11:12]
	v_mov_b32_e32 v5, s49
	v_add_co_u32_e32 v13, vcc, s48, v13
	v_addc_co_u32_e32 v14, vcc, v5, v14, vcc
	global_load_dword v5, v[13:14], off
	s_or_b64 s[78:79], s[78:79], exec
	s_or_b64 s[0:1], s[0:1], exec
	s_waitcnt vmcnt(0)
	v_subrev_u32_e32 v5, s7, v5
	v_cmp_ne_u32_e32 vcc, v5, v7
	s_and_saveexec_b64 s[4:5], vcc
	s_cbranch_execz .LBB36_90
; %bb.92:                               ;   in Loop: Header=BB36_91 Depth=4
	v_add_u32_e32 v1, 1, v1
	v_cmp_ge_i32_e32 vcc, v1, v29
	s_andn2_b64 s[0:1], s[0:1], exec
	s_and_b64 s[80:81], vcc, exec
	s_andn2_b64 s[78:79], s[78:79], exec
	s_or_b64 s[0:1], s[0:1], s[80:81]
	s_branch .LBB36_90
.LBB36_93:                              ;   in Loop: Header=BB36_14 Depth=3
	v_mov_b32_e32 v7, 0
	v_cmp_neq_f32_e32 vcc, 0, v8
	s_and_saveexec_b64 s[60:61], vcc
	s_cbranch_execz .LBB36_95
; %bb.94:                               ;   in Loop: Header=BB36_14 Depth=3
	v_div_scale_f32 v7, s[4:5], v5, v5, v1
	v_div_scale_f32 v8, vcc, v1, v5, v1
	v_rcp_f32_e32 v9, v7
	v_fma_f32 v10, -v7, v9, 1.0
	v_fmac_f32_e32 v9, v10, v9
	v_mul_f32_e32 v10, v8, v9
	v_fma_f32 v11, -v7, v10, v8
	v_fmac_f32_e32 v10, v11, v9
	v_fma_f32 v7, -v7, v10, v8
	v_div_fmas_f32 v7, v7, v9, v10
	v_div_fixup_f32 v1, v7, v5, v1
	v_fma_f32 v1, v1, v1, 1.0
	v_mul_f32_e32 v7, 0x4f800000, v1
	v_cmp_gt_f32_e32 vcc, s10, v1
	v_cndmask_b32_e32 v1, v1, v7, vcc
	v_sqrt_f32_e32 v7, v1
	v_add_u32_e32 v8, -1, v7
	v_add_u32_e32 v9, 1, v7
	v_fma_f32 v10, -v8, v7, v1
	v_fma_f32 v11, -v9, v7, v1
	v_cmp_ge_f32_e64 s[28:29], 0, v10
	v_cndmask_b32_e64 v7, v7, v8, s[28:29]
	v_cmp_lt_f32_e64 s[28:29], 0, v11
	v_cndmask_b32_e64 v7, v7, v9, s[28:29]
	v_mul_f32_e32 v8, 0x37800000, v7
	v_cndmask_b32_e32 v7, v7, v8, vcc
	v_cmp_class_f32_e32 vcc, v1, v27
	v_cndmask_b32_e32 v1, v7, v1, vcc
	v_mul_f32_e32 v7, v5, v1
.LBB36_95:                              ;   in Loop: Header=BB36_14 Depth=3
	s_or_b64 exec, exec, s[60:61]
                                        ; implicit-def: $vgpr1
                                        ; implicit-def: $vgpr5
	s_andn2_saveexec_b64 s[0:1], s[0:1]
	s_cbranch_execz .LBB36_87
.LBB36_96:                              ;   in Loop: Header=BB36_14 Depth=3
	v_div_scale_f32 v7, s[4:5], v1, v1, v5
	v_div_scale_f32 v8, vcc, v5, v1, v5
	v_rcp_f32_e32 v9, v7
	v_fma_f32 v10, -v7, v9, 1.0
	v_fmac_f32_e32 v9, v10, v9
	v_mul_f32_e32 v10, v8, v9
	v_fma_f32 v11, -v7, v10, v8
	v_fmac_f32_e32 v10, v11, v9
	v_fma_f32 v7, -v7, v10, v8
	v_div_fmas_f32 v7, v7, v9, v10
	v_div_fixup_f32 v5, v7, v1, v5
	v_fma_f32 v5, v5, v5, 1.0
	v_mul_f32_e32 v7, 0x4f800000, v5
	v_cmp_gt_f32_e32 vcc, s10, v5
	v_cndmask_b32_e32 v5, v5, v7, vcc
	v_sqrt_f32_e32 v7, v5
	v_add_u32_e32 v8, -1, v7
	v_add_u32_e32 v9, 1, v7
	v_fma_f32 v10, -v8, v7, v5
	v_fma_f32 v11, -v9, v7, v5
	v_cmp_ge_f32_e64 s[28:29], 0, v10
	v_cndmask_b32_e64 v7, v7, v8, s[28:29]
	v_cmp_lt_f32_e64 s[28:29], 0, v11
	v_cndmask_b32_e64 v7, v7, v9, s[28:29]
	v_mul_f32_e32 v8, 0x37800000, v7
	v_cndmask_b32_e32 v7, v7, v8, vcc
	v_cmp_class_f32_e32 vcc, v5, v27
	v_cndmask_b32_e32 v5, v7, v5, vcc
	v_mul_f32_e32 v7, v1, v5
	s_or_b64 exec, exec, s[0:1]
	v_cmp_class_f32_e64 s[4:5], v7, s11
	s_and_saveexec_b64 s[0:1], s[4:5]
	s_cbranch_execz .LBB36_12
.LBB36_97:                              ;   in Loop: Header=BB36_14 Depth=3
	v_cmp_lt_f32_e32 vcc, v18, v7
	v_cndmask_b32_e32 v18, v18, v7, vcc
	s_branch .LBB36_12
.LBB36_98:                              ;   in Loop: Header=BB36_14 Depth=3
	s_or_b64 exec, exec, s[72:73]
	s_and_saveexec_b64 s[0:1], s[62:63]
	s_xor_b64 s[0:1], exec, s[0:1]
	s_cbranch_execz .LBB36_100
; %bb.99:                               ;   in Loop: Header=BB36_14 Depth=3
	v_lshlrev_b64 v[11:12], 3, v[11:12]
	v_mov_b32_e32 v1, s51
	v_add_co_u32_e32 v11, vcc, s50, v11
	v_lshlrev_b64 v[13:14], 3, v[7:8]
	v_addc_co_u32_e32 v12, vcc, v1, v12, vcc
	v_mov_b32_e32 v1, s65
	v_add_co_u32_e32 v13, vcc, s64, v13
	v_addc_co_u32_e32 v14, vcc, v1, v14, vcc
	global_load_dwordx2 v[11:12], v[11:12], off
	s_nop 0
	global_load_dwordx2 v[13:14], v[13:14], off
	s_waitcnt vmcnt(0)
	v_mul_f32_e64 v1, v14, -v12
	v_mul_f32_e32 v5, v14, v11
	v_fmac_f32_e32 v1, v11, v13
	v_fmac_f32_e32 v5, v12, v13
	v_add_f32_e32 v34, v34, v1
	v_add_f32_e32 v35, v35, v5
.LBB36_100:                             ;   in Loop: Header=BB36_14 Depth=3
	s_or_b64 exec, exec, s[0:1]
.LBB36_101:                             ;   in Loop: Header=BB36_14 Depth=3
	s_or_b64 exec, exec, s[60:61]
                                        ; implicit-def: $vgpr12
                                        ; implicit-def: $vgpr11
                                        ; implicit-def: $vgpr36
	s_andn2_saveexec_b64 s[28:29], s[28:29]
	s_cbranch_execz .LBB36_83
.LBB36_102:                             ;   in Loop: Header=BB36_14 Depth=3
	s_mov_b64 s[62:63], 0
                                        ; implicit-def: $sgpr60_sgpr61
                                        ; implicit-def: $sgpr0_sgpr1
                                        ; implicit-def: $sgpr72_sgpr73
	s_branch .LBB36_104
.LBB36_103:                             ;   in Loop: Header=BB36_104 Depth=4
	s_or_b64 exec, exec, s[4:5]
	s_and_b64 s[4:5], exec, s[0:1]
	s_or_b64 s[62:63], s[4:5], s[62:63]
	s_andn2_b64 s[4:5], s[60:61], exec
	s_and_b64 s[60:61], s[72:73], exec
	s_or_b64 s[60:61], s[4:5], s[60:61]
	s_andn2_b64 exec, exec, s[62:63]
	s_cbranch_execz .LBB36_106
.LBB36_104:                             ;   Parent Loop BB36_5 Depth=1
                                        ;     Parent Loop BB36_9 Depth=2
                                        ;       Parent Loop BB36_14 Depth=3
                                        ; =>      This Inner Loop Header: Depth=4
	v_add_u32_e32 v13, v11, v12
	v_ashrrev_i32_e32 v14, 31, v13
	v_lshlrev_b64 v[15:16], 2, v[13:14]
	v_mov_b32_e32 v1, s41
	v_add_co_u32_e32 v15, vcc, s40, v15
	v_addc_co_u32_e32 v16, vcc, v1, v16, vcc
	global_load_dword v1, v[15:16], off
	s_or_b64 s[72:73], s[72:73], exec
	s_or_b64 s[0:1], s[0:1], exec
	s_waitcnt vmcnt(0)
	v_subrev_u32_e32 v1, s8, v1
	v_cmp_ne_u32_e32 vcc, v1, v3
	s_and_saveexec_b64 s[4:5], vcc
	s_cbranch_execz .LBB36_103
; %bb.105:                              ;   in Loop: Header=BB36_104 Depth=4
	v_add_u32_e32 v12, 1, v12
	v_cmp_ge_i32_e32 vcc, v12, v36
	s_andn2_b64 s[0:1], s[0:1], exec
	s_and_b64 s[78:79], vcc, exec
	s_andn2_b64 s[72:73], s[72:73], exec
	s_or_b64 s[0:1], s[0:1], s[78:79]
	s_branch .LBB36_103
.LBB36_106:                             ;   in Loop: Header=BB36_14 Depth=3
	s_or_b64 exec, exec, s[62:63]
	s_and_saveexec_b64 s[0:1], s[60:61]
	s_xor_b64 s[0:1], exec, s[0:1]
	s_cbranch_execz .LBB36_108
; %bb.107:                              ;   in Loop: Header=BB36_14 Depth=3
	v_lshlrev_b64 v[11:12], 3, v[13:14]
	v_mov_b32_e32 v1, s43
	v_add_co_u32_e32 v11, vcc, s42, v11
	v_addc_co_u32_e32 v12, vcc, v1, v12, vcc
	global_load_dwordx2 v[11:12], v[11:12], off
	s_waitcnt vmcnt(0)
	v_add_f32_e32 v34, v34, v11
	v_add_f32_e32 v35, v35, v12
.LBB36_108:                             ;   in Loop: Header=BB36_14 Depth=3
	s_or_b64 exec, exec, s[0:1]
	s_or_b64 exec, exec, s[28:29]
	v_cmp_eq_u32_e32 vcc, v3, v7
	s_and_saveexec_b64 s[0:1], vcc
	s_cbranch_execnz .LBB36_84
	s_branch .LBB36_85
.LBB36_109:                             ;   in Loop: Header=BB36_14 Depth=3
	v_mov_b32_e32 v14, 0
	v_cmp_neq_f32_e32 vcc, 0, v15
	s_and_saveexec_b64 s[60:61], vcc
	s_cbranch_execz .LBB36_111
; %bb.110:                              ;   in Loop: Header=BB36_14 Depth=3
	v_div_scale_f32 v14, s[4:5], v13, v13, v5
	v_div_scale_f32 v15, vcc, v5, v13, v5
	v_rcp_f32_e32 v16, v14
	v_fma_f32 v37, -v14, v16, 1.0
	v_fmac_f32_e32 v16, v37, v16
	v_mul_f32_e32 v37, v15, v16
	v_fma_f32 v38, -v14, v37, v15
	v_fmac_f32_e32 v37, v38, v16
	v_fma_f32 v14, -v14, v37, v15
	v_div_fmas_f32 v14, v14, v16, v37
	v_div_fixup_f32 v5, v14, v13, v5
	v_fma_f32 v5, v5, v5, 1.0
	v_mul_f32_e32 v14, 0x4f800000, v5
	v_cmp_gt_f32_e32 vcc, s10, v5
	v_cndmask_b32_e32 v5, v5, v14, vcc
	v_sqrt_f32_e32 v14, v5
	v_add_u32_e32 v15, -1, v14
	v_add_u32_e32 v16, 1, v14
	v_fma_f32 v37, -v15, v14, v5
	v_fma_f32 v38, -v16, v14, v5
	v_cmp_ge_f32_e64 s[28:29], 0, v37
	v_cndmask_b32_e64 v14, v14, v15, s[28:29]
	v_cmp_lt_f32_e64 s[28:29], 0, v38
	v_cndmask_b32_e64 v14, v14, v16, s[28:29]
	v_mul_f32_e32 v15, 0x37800000, v14
	v_cndmask_b32_e32 v14, v14, v15, vcc
	v_cmp_class_f32_e32 vcc, v5, v27
	v_cndmask_b32_e32 v5, v14, v5, vcc
	v_mul_f32_e32 v14, v13, v5
.LBB36_111:                             ;   in Loop: Header=BB36_14 Depth=3
	s_or_b64 exec, exec, s[60:61]
                                        ; implicit-def: $vgpr5
                                        ; implicit-def: $vgpr13
	s_andn2_saveexec_b64 s[0:1], s[0:1]
	s_cbranch_execz .LBB36_45
.LBB36_112:                             ;   in Loop: Header=BB36_14 Depth=3
	v_div_scale_f32 v14, s[4:5], v5, v5, v13
	v_div_scale_f32 v15, vcc, v13, v5, v13
	v_rcp_f32_e32 v16, v14
	v_fma_f32 v37, -v14, v16, 1.0
	v_fmac_f32_e32 v16, v37, v16
	v_mul_f32_e32 v37, v15, v16
	v_fma_f32 v38, -v14, v37, v15
	v_fmac_f32_e32 v37, v38, v16
	v_fma_f32 v14, -v14, v37, v15
	v_div_fmas_f32 v14, v14, v16, v37
	v_div_fixup_f32 v13, v14, v5, v13
	v_fma_f32 v13, v13, v13, 1.0
	v_mul_f32_e32 v14, 0x4f800000, v13
	v_cmp_gt_f32_e32 vcc, s10, v13
	v_cndmask_b32_e32 v13, v13, v14, vcc
	v_sqrt_f32_e32 v14, v13
	v_add_u32_e32 v15, -1, v14
	v_add_u32_e32 v16, 1, v14
	v_fma_f32 v37, -v15, v14, v13
	v_fma_f32 v38, -v16, v14, v13
	v_cmp_ge_f32_e64 s[28:29], 0, v37
	v_cndmask_b32_e64 v14, v14, v15, s[28:29]
	v_cmp_lt_f32_e64 s[28:29], 0, v38
	v_cndmask_b32_e64 v14, v14, v16, s[28:29]
	v_mul_f32_e32 v15, 0x37800000, v14
	v_cndmask_b32_e32 v14, v14, v15, vcc
	v_cmp_class_f32_e32 vcc, v13, v27
	v_cndmask_b32_e32 v13, v14, v13, vcc
	v_mul_f32_e32 v14, v5, v13
	s_or_b64 exec, exec, s[0:1]
	v_cmp_class_f32_e64 s[4:5], v14, s11
	s_and_saveexec_b64 s[0:1], s[4:5]
	s_cbranch_execnz .LBB36_46
	s_branch .LBB36_47
.LBB36_113:                             ;   in Loop: Header=BB36_14 Depth=3
	v_mov_b32_e32 v14, 0
	v_cmp_neq_f32_e32 vcc, 0, v15
	s_and_saveexec_b64 s[62:63], vcc
	s_cbranch_execz .LBB36_115
; %bb.114:                              ;   in Loop: Header=BB36_14 Depth=3
	v_div_scale_f32 v14, s[4:5], v13, v13, v5
	v_div_scale_f32 v15, vcc, v5, v13, v5
	v_rcp_f32_e32 v16, v14
	v_fma_f32 v37, -v14, v16, 1.0
	v_fmac_f32_e32 v16, v37, v16
	v_mul_f32_e32 v37, v15, v16
	v_fma_f32 v38, -v14, v37, v15
	v_fmac_f32_e32 v37, v38, v16
	v_fma_f32 v14, -v14, v37, v15
	v_div_fmas_f32 v14, v14, v16, v37
	v_div_fixup_f32 v5, v14, v13, v5
	v_fma_f32 v5, v5, v5, 1.0
	v_mul_f32_e32 v14, 0x4f800000, v5
	v_cmp_gt_f32_e32 vcc, s10, v5
	v_cndmask_b32_e32 v5, v5, v14, vcc
	v_sqrt_f32_e32 v14, v5
	v_add_u32_e32 v15, -1, v14
	v_add_u32_e32 v16, 1, v14
	v_fma_f32 v37, -v15, v14, v5
	v_fma_f32 v38, -v16, v14, v5
	v_cmp_ge_f32_e64 s[28:29], 0, v37
	v_cndmask_b32_e64 v14, v14, v15, s[28:29]
	v_cmp_lt_f32_e64 s[28:29], 0, v38
	v_cndmask_b32_e64 v14, v14, v16, s[28:29]
	v_mul_f32_e32 v15, 0x37800000, v14
	v_cndmask_b32_e32 v14, v14, v15, vcc
	v_cmp_class_f32_e32 vcc, v5, v27
	v_cndmask_b32_e32 v5, v14, v5, vcc
	v_mul_f32_e32 v14, v13, v5
.LBB36_115:                             ;   in Loop: Header=BB36_14 Depth=3
	s_or_b64 exec, exec, s[62:63]
                                        ; implicit-def: $vgpr5
                                        ; implicit-def: $vgpr13
	s_andn2_saveexec_b64 s[0:1], s[0:1]
	s_cbranch_execz .LBB36_75
.LBB36_116:                             ;   in Loop: Header=BB36_14 Depth=3
	v_div_scale_f32 v14, s[4:5], v5, v5, v13
	v_div_scale_f32 v15, vcc, v13, v5, v13
	v_rcp_f32_e32 v16, v14
	v_fma_f32 v37, -v14, v16, 1.0
	v_fmac_f32_e32 v16, v37, v16
	v_mul_f32_e32 v37, v15, v16
	v_fma_f32 v38, -v14, v37, v15
	v_fmac_f32_e32 v37, v38, v16
	v_fma_f32 v14, -v14, v37, v15
	v_div_fmas_f32 v14, v14, v16, v37
	v_div_fixup_f32 v13, v14, v5, v13
	v_fma_f32 v13, v13, v13, 1.0
	v_mul_f32_e32 v14, 0x4f800000, v13
	v_cmp_gt_f32_e32 vcc, s10, v13
	v_cndmask_b32_e32 v13, v13, v14, vcc
	v_sqrt_f32_e32 v14, v13
	v_add_u32_e32 v15, -1, v14
	v_add_u32_e32 v16, 1, v14
	v_fma_f32 v37, -v15, v14, v13
	v_fma_f32 v38, -v16, v14, v13
	v_cmp_ge_f32_e64 s[28:29], 0, v37
	v_cndmask_b32_e64 v14, v14, v15, s[28:29]
	v_cmp_lt_f32_e64 s[28:29], 0, v38
	v_cndmask_b32_e64 v14, v14, v16, s[28:29]
	v_mul_f32_e32 v15, 0x37800000, v14
	v_cndmask_b32_e32 v14, v14, v15, vcc
	v_cmp_class_f32_e32 vcc, v13, v27
	v_cndmask_b32_e32 v13, v14, v13, vcc
	v_mul_f32_e32 v14, v5, v13
	s_or_b64 exec, exec, s[0:1]
	v_cmp_class_f32_e64 s[4:5], v14, s11
	s_and_saveexec_b64 s[0:1], s[4:5]
	s_cbranch_execnz .LBB36_76
	s_branch .LBB36_77
.LBB36_117:                             ;   in Loop: Header=BB36_14 Depth=3
	v_mov_b32_e32 v14, 0
	v_cmp_neq_f32_e32 vcc, 0, v15
	s_and_saveexec_b64 s[62:63], vcc
	s_cbranch_execz .LBB36_119
; %bb.118:                              ;   in Loop: Header=BB36_14 Depth=3
	v_div_scale_f32 v14, s[4:5], v13, v13, v5
	v_div_scale_f32 v15, vcc, v5, v13, v5
	v_rcp_f32_e32 v16, v14
	v_fma_f32 v37, -v14, v16, 1.0
	v_fmac_f32_e32 v16, v37, v16
	v_mul_f32_e32 v37, v15, v16
	v_fma_f32 v38, -v14, v37, v15
	v_fmac_f32_e32 v37, v38, v16
	v_fma_f32 v14, -v14, v37, v15
	v_div_fmas_f32 v14, v14, v16, v37
	v_div_fixup_f32 v5, v14, v13, v5
	v_fma_f32 v5, v5, v5, 1.0
	v_mul_f32_e32 v14, 0x4f800000, v5
	v_cmp_gt_f32_e32 vcc, s10, v5
	v_cndmask_b32_e32 v5, v5, v14, vcc
	v_sqrt_f32_e32 v14, v5
	v_add_u32_e32 v15, -1, v14
	v_add_u32_e32 v16, 1, v14
	v_fma_f32 v37, -v15, v14, v5
	v_fma_f32 v38, -v16, v14, v5
	v_cmp_ge_f32_e64 s[28:29], 0, v37
	v_cndmask_b32_e64 v14, v14, v15, s[28:29]
	v_cmp_lt_f32_e64 s[28:29], 0, v38
	v_cndmask_b32_e64 v14, v14, v16, s[28:29]
	v_mul_f32_e32 v15, 0x37800000, v14
	v_cndmask_b32_e32 v14, v14, v15, vcc
	v_cmp_class_f32_e32 vcc, v5, v27
	v_cndmask_b32_e32 v5, v14, v5, vcc
	v_mul_f32_e32 v14, v13, v5
.LBB36_119:                             ;   in Loop: Header=BB36_14 Depth=3
	s_or_b64 exec, exec, s[62:63]
                                        ; implicit-def: $vgpr5
                                        ; implicit-def: $vgpr13
	s_andn2_saveexec_b64 s[0:1], s[0:1]
	s_cbranch_execz .LBB36_59
.LBB36_120:                             ;   in Loop: Header=BB36_14 Depth=3
	v_div_scale_f32 v14, s[4:5], v5, v5, v13
	v_div_scale_f32 v15, vcc, v13, v5, v13
	v_rcp_f32_e32 v16, v14
	v_fma_f32 v37, -v14, v16, 1.0
	v_fmac_f32_e32 v16, v37, v16
	v_mul_f32_e32 v37, v15, v16
	v_fma_f32 v38, -v14, v37, v15
	v_fmac_f32_e32 v37, v38, v16
	v_fma_f32 v14, -v14, v37, v15
	v_div_fmas_f32 v14, v14, v16, v37
	v_div_fixup_f32 v13, v14, v5, v13
	v_fma_f32 v13, v13, v13, 1.0
	v_mul_f32_e32 v14, 0x4f800000, v13
	v_cmp_gt_f32_e32 vcc, s10, v13
	v_cndmask_b32_e32 v13, v13, v14, vcc
	v_sqrt_f32_e32 v14, v13
	v_add_u32_e32 v15, -1, v14
	v_add_u32_e32 v16, 1, v14
	v_fma_f32 v37, -v15, v14, v13
	v_fma_f32 v38, -v16, v14, v13
	v_cmp_ge_f32_e64 s[28:29], 0, v37
	v_cndmask_b32_e64 v14, v14, v15, s[28:29]
	v_cmp_lt_f32_e64 s[28:29], 0, v38
	v_cndmask_b32_e64 v14, v14, v16, s[28:29]
	v_mul_f32_e32 v15, 0x37800000, v14
	v_cndmask_b32_e32 v14, v14, v15, vcc
	v_cmp_class_f32_e32 vcc, v13, v27
	v_cndmask_b32_e32 v13, v14, v13, vcc
	v_mul_f32_e32 v14, v5, v13
	s_or_b64 exec, exec, s[0:1]
	v_cmp_class_f32_e64 s[4:5], v14, s11
	s_and_saveexec_b64 s[0:1], s[4:5]
	s_cbranch_execnz .LBB36_60
	s_branch .LBB36_61
.LBB36_121:                             ;   in Loop: Header=BB36_5 Depth=1
	s_and_b64 vcc, exec, s[68:69]
	s_cbranch_vccz .LBB36_143
; %bb.122:                              ;   in Loop: Header=BB36_5 Depth=1
	v_mov_b32_dpp v1, v22 row_shr:1 row_mask:0xf bank_mask:0xf
	s_mov_b64 s[0:1], exec
	v_readlane_b32 s4, v43, 12
	v_readlane_b32 s5, v43, 13
	s_and_b64 s[4:5], s[0:1], s[4:5]
	s_mov_b64 exec, s[4:5]
; %bb.123:                              ;   in Loop: Header=BB36_5 Depth=1
	v_cmp_lt_f32_e32 vcc, v22, v1
	v_cndmask_b32_e32 v1, v22, v1, vcc
	ds_write_b32 v24, v1
; %bb.124:                              ;   in Loop: Header=BB36_5 Depth=1
	s_or_b64 exec, exec, s[0:1]
	s_waitcnt vmcnt(0) lgkmcnt(0)
	s_barrier
	s_mov_b64 s[0:1], exec
	v_readlane_b32 s4, v43, 14
	v_readlane_b32 s5, v43, 15
	s_and_b64 s[4:5], s[0:1], s[4:5]
	s_mov_b64 exec, s[4:5]
	s_cbranch_execz .LBB36_126
; %bb.125:                              ;   in Loop: Header=BB36_5 Depth=1
	ds_read2st64_b32 v[3:4], v17 offset1:4
	s_waitcnt lgkmcnt(0)
	v_cmp_lt_f32_e32 vcc, v3, v4
	v_cndmask_b32_e32 v1, v3, v4, vcc
	ds_write_b32 v17, v1
.LBB36_126:                             ;   in Loop: Header=BB36_5 Depth=1
	s_or_b64 exec, exec, s[0:1]
	s_waitcnt lgkmcnt(0)
	s_barrier
	s_mov_b64 s[0:1], exec
	v_readlane_b32 s4, v43, 16
	v_readlane_b32 s5, v43, 17
	s_and_b64 s[4:5], s[0:1], s[4:5]
	s_mov_b64 exec, s[4:5]
	s_cbranch_execz .LBB36_128
; %bb.127:                              ;   in Loop: Header=BB36_5 Depth=1
	ds_read2st64_b32 v[3:4], v17 offset1:2
	s_waitcnt lgkmcnt(0)
	v_cmp_lt_f32_e32 vcc, v3, v4
	v_cndmask_b32_e32 v1, v3, v4, vcc
	ds_write_b32 v17, v1
.LBB36_128:                             ;   in Loop: Header=BB36_5 Depth=1
	s_or_b64 exec, exec, s[0:1]
	s_waitcnt lgkmcnt(0)
	s_barrier
	s_and_saveexec_b64 s[0:1], s[12:13]
	s_cbranch_execz .LBB36_130
; %bb.129:                              ;   in Loop: Header=BB36_5 Depth=1
	ds_read2st64_b32 v[3:4], v17 offset1:1
	s_waitcnt lgkmcnt(0)
	v_cmp_lt_f32_e32 vcc, v3, v4
	v_cndmask_b32_e32 v1, v3, v4, vcc
	ds_write_b32 v17, v1
.LBB36_130:                             ;   in Loop: Header=BB36_5 Depth=1
	s_or_b64 exec, exec, s[0:1]
	s_waitcnt lgkmcnt(0)
	s_barrier
	s_and_saveexec_b64 s[0:1], s[14:15]
	s_cbranch_execz .LBB36_132
; %bb.131:                              ;   in Loop: Header=BB36_5 Depth=1
	ds_read2_b32 v[3:4], v17 offset1:32
	s_waitcnt lgkmcnt(0)
	v_cmp_lt_f32_e32 vcc, v3, v4
	v_cndmask_b32_e32 v1, v3, v4, vcc
	ds_write_b32 v17, v1
.LBB36_132:                             ;   in Loop: Header=BB36_5 Depth=1
	s_or_b64 exec, exec, s[0:1]
	s_waitcnt lgkmcnt(0)
	s_barrier
	s_and_saveexec_b64 s[0:1], s[16:17]
	s_cbranch_execz .LBB36_134
; %bb.133:                              ;   in Loop: Header=BB36_5 Depth=1
	ds_read2_b32 v[3:4], v17 offset1:16
	s_waitcnt lgkmcnt(0)
	v_cmp_lt_f32_e32 vcc, v3, v4
	v_cndmask_b32_e32 v1, v3, v4, vcc
	ds_write_b32 v17, v1
.LBB36_134:                             ;   in Loop: Header=BB36_5 Depth=1
	;; [unrolled: 12-line block ×5, first 2 shown]
	s_or_b64 exec, exec, s[0:1]
	s_waitcnt lgkmcnt(0)
	s_barrier
	s_and_saveexec_b64 s[0:1], s[24:25]
	s_cbranch_execz .LBB36_142
; %bb.141:                              ;   in Loop: Header=BB36_5 Depth=1
	ds_read_b64 v[3:4], v2
	s_waitcnt lgkmcnt(0)
	v_cmp_lt_f32_e32 vcc, v3, v4
	v_cndmask_b32_e32 v1, v3, v4, vcc
	ds_write_b32 v2, v1
.LBB36_142:                             ;   in Loop: Header=BB36_5 Depth=1
	s_or_b64 exec, exec, s[0:1]
	v_readlane_b32 s0, v43, 4
	v_readlane_b32 s1, v43, 5
	s_waitcnt lgkmcnt(0)
	s_barrier
	ds_read_b32 v1, v2
	s_load_dword s4, s[0:1], 0x0
	s_waitcnt lgkmcnt(0)
	v_div_scale_f32 v3, s[0:1], s4, s4, v1
	v_div_scale_f32 v4, vcc, v1, s4, v1
	v_rcp_f32_e32 v5, v3
	v_fma_f32 v6, -v3, v5, 1.0
	v_fmac_f32_e32 v5, v6, v5
	v_mul_f32_e32 v6, v4, v5
	v_fma_f32 v7, -v3, v6, v4
	v_fmac_f32_e32 v6, v7, v5
	v_fma_f32 v3, -v3, v6, v4
	v_div_fmas_f32 v3, v3, v5, v6
	v_div_fixup_f32 v22, v3, s4, v1
.LBB36_143:                             ;   in Loop: Header=BB36_5 Depth=1
	s_andn2_b64 vcc, exec, s[34:35]
	s_cbranch_vccnz .LBB36_165
; %bb.144:                              ;   in Loop: Header=BB36_5 Depth=1
	v_mov_b32_dpp v1, v18 row_shr:1 row_mask:0xf bank_mask:0xf
	s_mov_b64 s[0:1], exec
	v_readlane_b32 s4, v43, 12
	v_readlane_b32 s5, v43, 13
	s_and_b64 s[4:5], s[0:1], s[4:5]
	s_mov_b64 exec, s[4:5]
; %bb.145:                              ;   in Loop: Header=BB36_5 Depth=1
	v_cmp_lt_f32_e32 vcc, v18, v1
	v_cndmask_b32_e32 v1, v18, v1, vcc
	ds_write_b32 v24, v1
; %bb.146:                              ;   in Loop: Header=BB36_5 Depth=1
	s_or_b64 exec, exec, s[0:1]
	s_waitcnt vmcnt(0) lgkmcnt(0)
	s_barrier
	s_mov_b64 s[0:1], exec
	v_readlane_b32 s4, v43, 14
	v_readlane_b32 s5, v43, 15
	s_and_b64 s[4:5], s[0:1], s[4:5]
	s_mov_b64 exec, s[4:5]
	s_cbranch_execz .LBB36_148
; %bb.147:                              ;   in Loop: Header=BB36_5 Depth=1
	ds_read2st64_b32 v[3:4], v17 offset1:4
	s_waitcnt lgkmcnt(0)
	v_cmp_lt_f32_e32 vcc, v3, v4
	v_cndmask_b32_e32 v1, v3, v4, vcc
	ds_write_b32 v17, v1
.LBB36_148:                             ;   in Loop: Header=BB36_5 Depth=1
	s_or_b64 exec, exec, s[0:1]
	s_waitcnt lgkmcnt(0)
	s_barrier
	s_mov_b64 s[0:1], exec
	v_readlane_b32 s4, v43, 16
	v_readlane_b32 s5, v43, 17
	s_and_b64 s[4:5], s[0:1], s[4:5]
	s_mov_b64 exec, s[4:5]
	s_cbranch_execz .LBB36_150
; %bb.149:                              ;   in Loop: Header=BB36_5 Depth=1
	ds_read2st64_b32 v[3:4], v17 offset1:2
	s_waitcnt lgkmcnt(0)
	v_cmp_lt_f32_e32 vcc, v3, v4
	v_cndmask_b32_e32 v1, v3, v4, vcc
	ds_write_b32 v17, v1
.LBB36_150:                             ;   in Loop: Header=BB36_5 Depth=1
	s_or_b64 exec, exec, s[0:1]
	s_waitcnt lgkmcnt(0)
	s_barrier
	s_and_saveexec_b64 s[0:1], s[12:13]
	s_cbranch_execz .LBB36_152
; %bb.151:                              ;   in Loop: Header=BB36_5 Depth=1
	ds_read2st64_b32 v[3:4], v17 offset1:1
	s_waitcnt lgkmcnt(0)
	v_cmp_lt_f32_e32 vcc, v3, v4
	v_cndmask_b32_e32 v1, v3, v4, vcc
	ds_write_b32 v17, v1
.LBB36_152:                             ;   in Loop: Header=BB36_5 Depth=1
	s_or_b64 exec, exec, s[0:1]
	s_waitcnt lgkmcnt(0)
	s_barrier
	s_and_saveexec_b64 s[0:1], s[14:15]
	s_cbranch_execz .LBB36_154
; %bb.153:                              ;   in Loop: Header=BB36_5 Depth=1
	ds_read2_b32 v[3:4], v17 offset1:32
	s_waitcnt lgkmcnt(0)
	v_cmp_lt_f32_e32 vcc, v3, v4
	v_cndmask_b32_e32 v1, v3, v4, vcc
	ds_write_b32 v17, v1
.LBB36_154:                             ;   in Loop: Header=BB36_5 Depth=1
	s_or_b64 exec, exec, s[0:1]
	s_waitcnt lgkmcnt(0)
	s_barrier
	s_and_saveexec_b64 s[0:1], s[16:17]
	s_cbranch_execz .LBB36_156
; %bb.155:                              ;   in Loop: Header=BB36_5 Depth=1
	ds_read2_b32 v[3:4], v17 offset1:16
	s_waitcnt lgkmcnt(0)
	v_cmp_lt_f32_e32 vcc, v3, v4
	v_cndmask_b32_e32 v1, v3, v4, vcc
	ds_write_b32 v17, v1
.LBB36_156:                             ;   in Loop: Header=BB36_5 Depth=1
	;; [unrolled: 12-line block ×5, first 2 shown]
	s_or_b64 exec, exec, s[0:1]
	s_waitcnt lgkmcnt(0)
	s_barrier
	s_and_saveexec_b64 s[0:1], s[24:25]
	s_cbranch_execz .LBB36_164
; %bb.163:                              ;   in Loop: Header=BB36_5 Depth=1
	ds_read_b64 v[3:4], v2
	s_waitcnt lgkmcnt(0)
	v_cmp_lt_f32_e32 vcc, v3, v4
	v_cndmask_b32_e32 v1, v3, v4, vcc
	ds_write_b32 v2, v1
.LBB36_164:                             ;   in Loop: Header=BB36_5 Depth=1
	s_or_b64 exec, exec, s[0:1]
	v_readlane_b32 s0, v43, 4
	v_readlane_b32 s1, v43, 5
	s_waitcnt lgkmcnt(0)
	s_barrier
	ds_read_b32 v1, v2
	s_load_dword s4, s[0:1], 0x0
	s_waitcnt lgkmcnt(0)
	v_div_scale_f32 v3, s[0:1], s4, s4, v1
	v_div_scale_f32 v4, vcc, v1, s4, v1
	v_rcp_f32_e32 v5, v3
	v_fma_f32 v6, -v3, v5, 1.0
	v_fmac_f32_e32 v5, v6, v5
	v_mul_f32_e32 v6, v4, v5
	v_fma_f32 v7, -v3, v6, v4
	v_fmac_f32_e32 v6, v7, v5
	v_fma_f32 v3, -v3, v6, v4
	v_div_fmas_f32 v3, v3, v5, v6
	v_div_fixup_f32 v18, v3, s4, v1
.LBB36_165:                             ;   in Loop: Header=BB36_5 Depth=1
	s_mov_b64 s[26:27], exec
	v_readlane_b32 s0, v43, 10
	v_readlane_b32 s1, v43, 11
	s_and_b64 s[0:1], s[26:27], s[0:1]
	s_mov_b64 exec, s[0:1]
	s_cbranch_execz .LBB36_177
; %bb.166:                              ;   in Loop: Header=BB36_5 Depth=1
	s_mov_b64 s[28:29], 0
	v_mov_b32_e32 v3, v21
	s_branch .LBB36_168
.LBB36_167:                             ;   in Loop: Header=BB36_168 Depth=2
	s_or_b64 exec, exec, s[30:31]
	v_add_u32_e32 v3, 0x200, v3
	v_cmp_le_u32_e32 vcc, s9, v3
	s_or_b64 s[28:29], vcc, s[28:29]
	s_andn2_b64 exec, exec, s[28:29]
	s_cbranch_execz .LBB36_177
.LBB36_168:                             ;   Parent Loop BB36_5 Depth=1
                                        ; =>  This Loop Header: Depth=2
                                        ;       Child Loop BB36_171 Depth 3
                                        ;       Child Loop BB36_174 Depth 3
	v_cmp_gt_i32_e32 vcc, s75, v3
	s_and_saveexec_b64 s[30:31], vcc
	s_cbranch_execz .LBB36_167
; %bb.169:                              ;   in Loop: Header=BB36_168 Depth=2
	v_ashrrev_i32_e32 v4, 31, v3
	v_lshlrev_b64 v[5:6], 2, v[3:4]
	v_mov_b32_e32 v1, s45
	v_add_co_u32_e32 v7, vcc, s44, v5
	v_addc_co_u32_e32 v8, vcc, v1, v6, vcc
	global_load_dword v1, v[7:8], off
	v_mov_b32_e32 v8, s47
	v_add_co_u32_e32 v7, vcc, s46, v5
	v_addc_co_u32_e32 v8, vcc, v8, v6, vcc
	global_load_dword v8, v[7:8], off
	s_waitcnt vmcnt(1)
	v_add_u32_e32 v7, v25, v1
	s_waitcnt vmcnt(0)
	v_subrev_u32_e32 v1, s7, v8
	v_cmp_lt_i32_e32 vcc, v7, v1
	s_and_saveexec_b64 s[0:1], vcc
	s_cbranch_execz .LBB36_172
; %bb.170:                              ;   in Loop: Header=BB36_168 Depth=2
	v_ashrrev_i32_e32 v8, 31, v7
	v_lshlrev_b64 v[10:11], 3, v[7:8]
	v_mov_b32_e32 v9, s83
	v_add_co_u32_e32 v8, vcc, s82, v10
	v_addc_co_u32_e32 v9, vcc, v9, v11, vcc
	v_mov_b32_e32 v12, s51
	v_add_co_u32_e32 v10, vcc, s50, v10
	v_addc_co_u32_e32 v11, vcc, v12, v11, vcc
	s_mov_b64 s[60:61], 0
.LBB36_171:                             ;   Parent Loop BB36_5 Depth=1
                                        ;     Parent Loop BB36_168 Depth=2
                                        ; =>    This Inner Loop Header: Depth=3
	global_load_dwordx2 v[12:13], v[8:9], off
	v_add_co_u32_e32 v8, vcc, 16, v8
	v_add_u32_e32 v7, 2, v7
	v_addc_co_u32_e32 v9, vcc, 0, v9, vcc
	v_cmp_ge_i32_e32 vcc, v7, v1
	s_or_b64 s[60:61], vcc, s[60:61]
	s_waitcnt vmcnt(0)
	global_store_dwordx2 v[10:11], v[12:13], off
	v_add_co_u32_e32 v10, vcc, 16, v10
	v_addc_co_u32_e32 v11, vcc, 0, v11, vcc
	s_andn2_b64 exec, exec, s[60:61]
	s_cbranch_execnz .LBB36_171
.LBB36_172:                             ;   in Loop: Header=BB36_168 Depth=2
	s_or_b64 exec, exec, s[0:1]
	v_mov_b32_e32 v1, s37
	v_add_co_u32_e32 v7, vcc, s36, v5
	v_addc_co_u32_e32 v8, vcc, v1, v6, vcc
	global_load_dword v1, v[7:8], off
	v_mov_b32_e32 v7, s39
	v_add_co_u32_e32 v5, vcc, s38, v5
	v_addc_co_u32_e32 v6, vcc, v7, v6, vcc
	global_load_dword v6, v[5:6], off
	s_waitcnt vmcnt(1)
	v_add_u32_e32 v5, v26, v1
	s_waitcnt vmcnt(0)
	v_subrev_u32_e32 v1, s8, v6
	v_cmp_lt_i32_e32 vcc, v5, v1
	s_and_saveexec_b64 s[0:1], vcc
	s_cbranch_execz .LBB36_175
; %bb.173:                              ;   in Loop: Header=BB36_168 Depth=2
	v_ashrrev_i32_e32 v6, 31, v5
	v_lshlrev_b64 v[8:9], 3, v[5:6]
	v_mov_b32_e32 v7, s85
	v_add_co_u32_e32 v6, vcc, s84, v8
	v_addc_co_u32_e32 v7, vcc, v7, v9, vcc
	v_mov_b32_e32 v10, s43
	v_add_co_u32_e32 v8, vcc, s42, v8
	v_addc_co_u32_e32 v9, vcc, v10, v9, vcc
	s_mov_b64 s[60:61], 0
.LBB36_174:                             ;   Parent Loop BB36_5 Depth=1
                                        ;     Parent Loop BB36_168 Depth=2
                                        ; =>    This Inner Loop Header: Depth=3
	global_load_dwordx2 v[10:11], v[6:7], off
	v_add_co_u32_e32 v6, vcc, 16, v6
	v_add_u32_e32 v5, 2, v5
	v_addc_co_u32_e32 v7, vcc, 0, v7, vcc
	v_cmp_ge_i32_e32 vcc, v5, v1
	s_or_b64 s[60:61], vcc, s[60:61]
	s_waitcnt vmcnt(0)
	global_store_dwordx2 v[8:9], v[10:11], off
	v_add_co_u32_e32 v8, vcc, 16, v8
	v_addc_co_u32_e32 v9, vcc, 0, v9, vcc
	s_andn2_b64 exec, exec, s[60:61]
	s_cbranch_execnz .LBB36_174
.LBB36_175:                             ;   in Loop: Header=BB36_168 Depth=2
	s_or_b64 exec, exec, s[0:1]
	s_and_b64 exec, exec, s[2:3]
	s_cbranch_execz .LBB36_167
; %bb.176:                              ;   in Loop: Header=BB36_168 Depth=2
	v_lshlrev_b64 v[4:5], 3, v[3:4]
	v_mov_b32_e32 v1, s67
	v_add_co_u32_e32 v6, vcc, s66, v4
	v_addc_co_u32_e32 v7, vcc, v1, v5, vcc
	global_load_dwordx2 v[6:7], v[6:7], off
	v_mov_b32_e32 v1, s65
	v_add_co_u32_e32 v4, vcc, s64, v4
	v_addc_co_u32_e32 v5, vcc, v1, v5, vcc
	s_waitcnt vmcnt(0)
	global_store_dwordx2 v[4:5], v[6:7], off
	s_branch .LBB36_167
.LBB36_177:                             ;   in Loop: Header=BB36_5 Depth=1
	s_or_b64 exec, exec, s[26:27]
	s_mov_b64 s[28:29], -1
	s_and_b64 vcc, exec, s[70:71]
	s_mov_b64 s[4:5], -1
	s_cbranch_vccz .LBB36_187
; %bb.178:                              ;   in Loop: Header=BB36_5 Depth=1
	v_readlane_b32 s0, v43, 18
	v_readlane_b32 s1, v43, 19
	s_and_b64 vcc, exec, s[0:1]
                                        ; implicit-def: $sgpr0_sgpr1
	s_cbranch_vccz .LBB36_184
; %bb.179:                              ;   in Loop: Header=BB36_5 Depth=1
	v_readlane_b32 s0, v43, 6
	v_readlane_b32 s1, v43, 7
	s_and_b64 vcc, exec, s[0:1]
                                        ; implicit-def: $sgpr0_sgpr1
	s_cbranch_vccz .LBB36_181
; %bb.180:                              ;   in Loop: Header=BB36_5 Depth=1
	v_cmp_ge_f32_e64 s[0:1], s74, v18
	s_mov_b64 s[4:5], 0
.LBB36_181:                             ;   in Loop: Header=BB36_5 Depth=1
	s_andn2_b64 vcc, exec, s[4:5]
	s_cbranch_vccnz .LBB36_183
; %bb.182:                              ;   in Loop: Header=BB36_5 Depth=1
	v_cmp_ge_f32_e32 vcc, s74, v22
	s_andn2_b64 s[0:1], s[0:1], exec
	s_and_b64 s[4:5], vcc, exec
	s_or_b64 s[0:1], s[0:1], s[4:5]
.LBB36_183:                             ;   in Loop: Header=BB36_5 Depth=1
	s_mov_b64 s[4:5], 0
.LBB36_184:                             ;   in Loop: Header=BB36_5 Depth=1
	s_andn2_b64 vcc, exec, s[4:5]
	s_cbranch_vccnz .LBB36_186
; %bb.185:                              ;   in Loop: Header=BB36_5 Depth=1
	v_cmp_ge_f32_e32 vcc, s74, v22
	v_cmp_ge_f32_e64 s[26:27], s74, v18
	s_and_b64 s[4:5], vcc, s[26:27]
	s_andn2_b64 s[0:1], s[0:1], exec
	s_and_b64 s[4:5], s[4:5], exec
	s_or_b64 s[0:1], s[0:1], s[4:5]
.LBB36_186:                             ;   in Loop: Header=BB36_5 Depth=1
	s_xor_b64 s[4:5], s[0:1], -1
.LBB36_187:                             ;   in Loop: Header=BB36_5 Depth=1
	v_mov_b32_e32 v1, s33
	s_and_saveexec_b64 s[0:1], s[4:5]
	s_cbranch_execz .LBB36_4
; %bb.188:                              ;   in Loop: Header=BB36_5 Depth=1
	v_readlane_b32 s4, v43, 0
	s_add_i32 s33, s33, 1
	v_readlane_b32 s5, v43, 1
	s_cmp_eq_u32 s33, s5
	s_mov_b32 s27, s5
	s_cselect_b64 s[4:5], -1, 0
	v_mov_b32_e32 v1, s27
	s_orn2_b64 s[28:29], s[4:5], exec
	s_branch .LBB36_4
.LBB36_189:
	s_or_b64 exec, exec, s[88:89]
	v_readlane_b32 s4, v43, 8
	v_readlane_b32 s5, v43, 9
	s_load_dwordx4 s[12:15], s[4:5], 0xb8
	v_readlane_b32 s2, v43, 2
	v_readlane_b32 s3, v43, 3
	s_or_b64 exec, exec, s[2:3]
	s_andn2_b64 vcc, exec, s[70:71]
	s_cbranch_vccnz .LBB36_2
.LBB36_190:
	v_mov_b32_dpp v2, v1 row_shr:1 row_mask:0xf bank_mask:0xf
	v_cmp_ne_u32_e32 vcc, 0, v20
	s_and_saveexec_b64 s[0:1], vcc
; %bb.191:
	v_lshlrev_b32_e32 v3, 2, v19
	v_max_i32_e32 v1, v1, v2
	ds_write_b32 v3, v1 offset:2048
; %bb.192:
	s_or_b64 exec, exec, s[0:1]
	s_movk_i32 s0, 0x100
	v_cmp_gt_u32_e32 vcc, s0, v0
	s_waitcnt vmcnt(0) lgkmcnt(0)
	s_barrier
	s_and_saveexec_b64 s[0:1], vcc
	s_cbranch_execz .LBB36_194
; %bb.193:
	ds_read2st64_b32 v[1:2], v17 offset0:8 offset1:12
	s_waitcnt lgkmcnt(0)
	v_max_i32_e32 v1, v1, v2
	ds_write_b32 v17, v1 offset:2048
.LBB36_194:
	s_or_b64 exec, exec, s[0:1]
	s_movk_i32 s0, 0x80
	v_cmp_gt_u32_e32 vcc, s0, v0
	s_waitcnt lgkmcnt(0)
	s_barrier
	s_and_saveexec_b64 s[0:1], vcc
	s_cbranch_execz .LBB36_196
; %bb.195:
	ds_read2st64_b32 v[1:2], v17 offset0:8 offset1:10
	s_waitcnt lgkmcnt(0)
	v_max_i32_e32 v1, v1, v2
	ds_write_b32 v17, v1 offset:2048
.LBB36_196:
	s_or_b64 exec, exec, s[0:1]
	v_cmp_gt_u32_e32 vcc, 64, v0
	s_waitcnt lgkmcnt(0)
	s_barrier
	s_and_saveexec_b64 s[0:1], vcc
	s_cbranch_execz .LBB36_198
; %bb.197:
	ds_read2st64_b32 v[1:2], v17 offset0:8 offset1:9
	s_waitcnt lgkmcnt(0)
	v_max_i32_e32 v1, v1, v2
	ds_write_b32 v17, v1 offset:2048
.LBB36_198:
	s_or_b64 exec, exec, s[0:1]
	v_cmp_gt_u32_e32 vcc, 32, v0
	s_waitcnt lgkmcnt(0)
	s_barrier
	s_and_saveexec_b64 s[0:1], vcc
	s_cbranch_execz .LBB36_200
; %bb.199:
	v_add_u32_e32 v1, 0x800, v17
	ds_read2_b32 v[1:2], v1 offset1:32
	s_waitcnt lgkmcnt(0)
	v_max_i32_e32 v1, v1, v2
	ds_write_b32 v17, v1 offset:2048
.LBB36_200:
	s_or_b64 exec, exec, s[0:1]
	v_cmp_gt_u32_e32 vcc, 16, v0
	s_waitcnt lgkmcnt(0)
	s_barrier
	s_and_saveexec_b64 s[0:1], vcc
	s_cbranch_execz .LBB36_202
; %bb.201:
	v_add_u32_e32 v1, 0x800, v17
	ds_read2_b32 v[1:2], v1 offset1:16
	s_waitcnt lgkmcnt(0)
	v_max_i32_e32 v1, v1, v2
	ds_write_b32 v17, v1 offset:2048
.LBB36_202:
	;; [unrolled: 13-line block ×5, first 2 shown]
	s_or_b64 exec, exec, s[0:1]
	v_cmp_eq_u32_e32 vcc, 0, v0
	s_waitcnt lgkmcnt(0)
	s_barrier
	s_and_saveexec_b64 s[0:1], vcc
	s_cbranch_execz .LBB36_210
; %bb.209:
	v_mov_b32_e32 v3, 0
	ds_read_b64 v[1:2], v3 offset:2048
	s_waitcnt lgkmcnt(0)
	v_max_i32_e32 v1, v1, v2
	ds_write_b32 v3, v1 offset:2048
.LBB36_210:
	s_or_b64 exec, exec, s[0:1]
	s_waitcnt lgkmcnt(0)
	s_barrier
	s_and_saveexec_b64 s[0:1], vcc
	s_cbranch_execz .LBB36_213
; %bb.211:
	v_mbcnt_lo_u32_b32 v1, exec_lo, 0
	v_mbcnt_hi_u32_b32 v1, exec_hi, v1
	v_cmp_eq_u32_e32 vcc, 0, v1
	s_and_b64 exec, exec, vcc
	s_cbranch_execz .LBB36_213
; %bb.212:
	v_mov_b32_e32 v1, 0
	ds_read_b32 v2, v1 offset:2048
	s_load_dwordx2 s[2:3], s[4:5], 0x8
	s_waitcnt lgkmcnt(0)
	v_add_u32_e32 v2, 1, v2
	global_atomic_smax v1, v2, s[2:3]
.LBB36_213:
	s_or_b64 exec, exec, s[0:1]
	v_cmp_eq_u32_e32 vcc, 0, v0
	s_and_b64 s[0:1], vcc, s[68:69]
	s_and_saveexec_b64 s[2:3], s[0:1]
	s_cbranch_execz .LBB36_220
.LBB36_214:
	s_mov_b64 s[0:1], exec
	v_mov_b32_e32 v0, 0x7fc00000
.LBB36_215:                             ; =>This Inner Loop Header: Depth=1
	s_ff1_i32_b64 s4, s[0:1]
	v_readlane_b32 s6, v22, s4
	s_lshl_b64 s[4:5], 1, s4
	v_max_f32_e32 v0, v0, v0
	v_max_f32_e64 v1, s6, s6
	s_andn2_b64 s[0:1], s[0:1], s[4:5]
	s_cmp_lg_u64 s[0:1], 0
	v_max_f32_e32 v0, v0, v1
	s_cbranch_scc1 .LBB36_215
; %bb.216:
	v_mbcnt_lo_u32_b32 v1, exec_lo, 0
	v_mbcnt_hi_u32_b32 v1, exec_hi, v1
	v_cmp_eq_u32_e64 s[0:1], 0, v1
	s_and_saveexec_b64 s[4:5], s[0:1]
	s_xor_b64 s[4:5], exec, s[4:5]
	s_cbranch_execz .LBB36_220
; %bb.217:
	v_mov_b32_e32 v2, 0
	s_waitcnt lgkmcnt(0)
	global_load_dword v1, v2, s[12:13]
	s_mov_b64 s[4:5], 0
	v_max_f32_e32 v3, v0, v0
.LBB36_218:                             ; =>This Inner Loop Header: Depth=1
	s_waitcnt vmcnt(0)
	v_max_f32_e32 v0, v1, v1
	v_max_f32_e32 v0, v0, v3
	global_atomic_cmpswap v0, v2, v[0:1], s[12:13] glc
	s_waitcnt vmcnt(0)
	v_cmp_eq_u32_e64 s[0:1], v0, v1
	s_or_b64 s[4:5], s[0:1], s[4:5]
	v_mov_b32_e32 v1, v0
	s_andn2_b64 exec, exec, s[4:5]
	s_cbranch_execnz .LBB36_218
; %bb.219:
	s_or_b64 exec, exec, s[4:5]
.LBB36_220:
	s_or_b64 exec, exec, s[2:3]
	s_and_b64 s[0:1], vcc, s[34:35]
	s_and_saveexec_b64 s[2:3], s[0:1]
	s_cbranch_execz .LBB36_226
; %bb.221:
	s_mov_b64 s[0:1], exec
	v_mov_b32_e32 v0, 0x7fc00000
.LBB36_222:                             ; =>This Inner Loop Header: Depth=1
	s_ff1_i32_b64 s2, s[0:1]
	v_readlane_b32 s4, v18, s2
	s_lshl_b64 s[2:3], 1, s2
	v_max_f32_e32 v0, v0, v0
	v_max_f32_e64 v1, s4, s4
	s_andn2_b64 s[0:1], s[0:1], s[2:3]
	s_cmp_lg_u64 s[0:1], 0
	v_max_f32_e32 v0, v0, v1
	s_cbranch_scc1 .LBB36_222
; %bb.223:
	v_mbcnt_lo_u32_b32 v1, exec_lo, 0
	v_mbcnt_hi_u32_b32 v1, exec_hi, v1
	v_cmp_eq_u32_e32 vcc, 0, v1
	s_and_saveexec_b64 s[0:1], vcc
	s_xor_b64 s[0:1], exec, s[0:1]
	s_cbranch_execz .LBB36_226
; %bb.224:
	v_mov_b32_e32 v2, 0
	s_waitcnt lgkmcnt(0)
	global_load_dword v1, v2, s[14:15]
	s_mov_b64 s[0:1], 0
	v_max_f32_e32 v3, v0, v0
.LBB36_225:                             ; =>This Inner Loop Header: Depth=1
	s_waitcnt vmcnt(0)
	v_max_f32_e32 v0, v1, v1
	v_max_f32_e32 v0, v0, v3
	global_atomic_cmpswap v0, v2, v[0:1], s[14:15] glc
	s_waitcnt vmcnt(0)
	v_cmp_eq_u32_e32 vcc, v0, v1
	s_or_b64 s[0:1], vcc, s[0:1]
	v_mov_b32_e32 v1, v0
	s_andn2_b64 exec, exec, s[0:1]
	s_cbranch_execnz .LBB36_225
.LBB36_226:
	s_endpgm
	.section	.rodata,"a",@progbits
	.p2align	6, 0x0
	.amdhsa_kernel _ZN9rocsparseL6kernelILi1024ELi2E21rocsparse_complex_numIfEiiEEvbbbT3_PS3_NS_15floating_traitsIT1_E6data_tES3_T2_PKS9_SB_PKS3_PKS6_21rocsparse_index_base_SB_SB_SD_PS6_SH_SG_SB_SB_SD_SH_SH_SG_SH_SH_PS8_SI_PKS8_
		.amdhsa_group_segment_fixed_size 4096
		.amdhsa_private_segment_fixed_size 0
		.amdhsa_kernarg_size 208
		.amdhsa_user_sgpr_count 6
		.amdhsa_user_sgpr_private_segment_buffer 1
		.amdhsa_user_sgpr_dispatch_ptr 0
		.amdhsa_user_sgpr_queue_ptr 0
		.amdhsa_user_sgpr_kernarg_segment_ptr 1
		.amdhsa_user_sgpr_dispatch_id 0
		.amdhsa_user_sgpr_flat_scratch_init 0
		.amdhsa_user_sgpr_private_segment_size 0
		.amdhsa_uses_dynamic_stack 0
		.amdhsa_system_sgpr_private_segment_wavefront_offset 0
		.amdhsa_system_sgpr_workgroup_id_x 1
		.amdhsa_system_sgpr_workgroup_id_y 0
		.amdhsa_system_sgpr_workgroup_id_z 0
		.amdhsa_system_sgpr_workgroup_info 0
		.amdhsa_system_vgpr_workitem_id 0
		.amdhsa_next_free_vgpr 44
		.amdhsa_next_free_sgpr 96
		.amdhsa_reserve_vcc 1
		.amdhsa_reserve_flat_scratch 0
		.amdhsa_float_round_mode_32 0
		.amdhsa_float_round_mode_16_64 0
		.amdhsa_float_denorm_mode_32 3
		.amdhsa_float_denorm_mode_16_64 3
		.amdhsa_dx10_clamp 1
		.amdhsa_ieee_mode 1
		.amdhsa_fp16_overflow 0
		.amdhsa_exception_fp_ieee_invalid_op 0
		.amdhsa_exception_fp_denorm_src 0
		.amdhsa_exception_fp_ieee_div_zero 0
		.amdhsa_exception_fp_ieee_overflow 0
		.amdhsa_exception_fp_ieee_underflow 0
		.amdhsa_exception_fp_ieee_inexact 0
		.amdhsa_exception_int_div_zero 0
	.end_amdhsa_kernel
	.section	.text._ZN9rocsparseL6kernelILi1024ELi2E21rocsparse_complex_numIfEiiEEvbbbT3_PS3_NS_15floating_traitsIT1_E6data_tES3_T2_PKS9_SB_PKS3_PKS6_21rocsparse_index_base_SB_SB_SD_PS6_SH_SG_SB_SB_SD_SH_SH_SG_SH_SH_PS8_SI_PKS8_,"axG",@progbits,_ZN9rocsparseL6kernelILi1024ELi2E21rocsparse_complex_numIfEiiEEvbbbT3_PS3_NS_15floating_traitsIT1_E6data_tES3_T2_PKS9_SB_PKS3_PKS6_21rocsparse_index_base_SB_SB_SD_PS6_SH_SG_SB_SB_SD_SH_SH_SG_SH_SH_PS8_SI_PKS8_,comdat
.Lfunc_end36:
	.size	_ZN9rocsparseL6kernelILi1024ELi2E21rocsparse_complex_numIfEiiEEvbbbT3_PS3_NS_15floating_traitsIT1_E6data_tES3_T2_PKS9_SB_PKS3_PKS6_21rocsparse_index_base_SB_SB_SD_PS6_SH_SG_SB_SB_SD_SH_SH_SG_SH_SH_PS8_SI_PKS8_, .Lfunc_end36-_ZN9rocsparseL6kernelILi1024ELi2E21rocsparse_complex_numIfEiiEEvbbbT3_PS3_NS_15floating_traitsIT1_E6data_tES3_T2_PKS9_SB_PKS3_PKS6_21rocsparse_index_base_SB_SB_SD_PS6_SH_SG_SB_SB_SD_SH_SH_SG_SH_SH_PS8_SI_PKS8_
                                        ; -- End function
	.set _ZN9rocsparseL6kernelILi1024ELi2E21rocsparse_complex_numIfEiiEEvbbbT3_PS3_NS_15floating_traitsIT1_E6data_tES3_T2_PKS9_SB_PKS3_PKS6_21rocsparse_index_base_SB_SB_SD_PS6_SH_SG_SB_SB_SD_SH_SH_SG_SH_SH_PS8_SI_PKS8_.num_vgpr, 44
	.set _ZN9rocsparseL6kernelILi1024ELi2E21rocsparse_complex_numIfEiiEEvbbbT3_PS3_NS_15floating_traitsIT1_E6data_tES3_T2_PKS9_SB_PKS3_PKS6_21rocsparse_index_base_SB_SB_SD_PS6_SH_SG_SB_SB_SD_SH_SH_SG_SH_SH_PS8_SI_PKS8_.num_agpr, 0
	.set _ZN9rocsparseL6kernelILi1024ELi2E21rocsparse_complex_numIfEiiEEvbbbT3_PS3_NS_15floating_traitsIT1_E6data_tES3_T2_PKS9_SB_PKS3_PKS6_21rocsparse_index_base_SB_SB_SD_PS6_SH_SG_SB_SB_SD_SH_SH_SG_SH_SH_PS8_SI_PKS8_.numbered_sgpr, 96
	.set _ZN9rocsparseL6kernelILi1024ELi2E21rocsparse_complex_numIfEiiEEvbbbT3_PS3_NS_15floating_traitsIT1_E6data_tES3_T2_PKS9_SB_PKS3_PKS6_21rocsparse_index_base_SB_SB_SD_PS6_SH_SG_SB_SB_SD_SH_SH_SG_SH_SH_PS8_SI_PKS8_.num_named_barrier, 0
	.set _ZN9rocsparseL6kernelILi1024ELi2E21rocsparse_complex_numIfEiiEEvbbbT3_PS3_NS_15floating_traitsIT1_E6data_tES3_T2_PKS9_SB_PKS3_PKS6_21rocsparse_index_base_SB_SB_SD_PS6_SH_SG_SB_SB_SD_SH_SH_SG_SH_SH_PS8_SI_PKS8_.private_seg_size, 0
	.set _ZN9rocsparseL6kernelILi1024ELi2E21rocsparse_complex_numIfEiiEEvbbbT3_PS3_NS_15floating_traitsIT1_E6data_tES3_T2_PKS9_SB_PKS3_PKS6_21rocsparse_index_base_SB_SB_SD_PS6_SH_SG_SB_SB_SD_SH_SH_SG_SH_SH_PS8_SI_PKS8_.uses_vcc, 1
	.set _ZN9rocsparseL6kernelILi1024ELi2E21rocsparse_complex_numIfEiiEEvbbbT3_PS3_NS_15floating_traitsIT1_E6data_tES3_T2_PKS9_SB_PKS3_PKS6_21rocsparse_index_base_SB_SB_SD_PS6_SH_SG_SB_SB_SD_SH_SH_SG_SH_SH_PS8_SI_PKS8_.uses_flat_scratch, 0
	.set _ZN9rocsparseL6kernelILi1024ELi2E21rocsparse_complex_numIfEiiEEvbbbT3_PS3_NS_15floating_traitsIT1_E6data_tES3_T2_PKS9_SB_PKS3_PKS6_21rocsparse_index_base_SB_SB_SD_PS6_SH_SG_SB_SB_SD_SH_SH_SG_SH_SH_PS8_SI_PKS8_.has_dyn_sized_stack, 0
	.set _ZN9rocsparseL6kernelILi1024ELi2E21rocsparse_complex_numIfEiiEEvbbbT3_PS3_NS_15floating_traitsIT1_E6data_tES3_T2_PKS9_SB_PKS3_PKS6_21rocsparse_index_base_SB_SB_SD_PS6_SH_SG_SB_SB_SD_SH_SH_SG_SH_SH_PS8_SI_PKS8_.has_recursion, 0
	.set _ZN9rocsparseL6kernelILi1024ELi2E21rocsparse_complex_numIfEiiEEvbbbT3_PS3_NS_15floating_traitsIT1_E6data_tES3_T2_PKS9_SB_PKS3_PKS6_21rocsparse_index_base_SB_SB_SD_PS6_SH_SG_SB_SB_SD_SH_SH_SG_SH_SH_PS8_SI_PKS8_.has_indirect_call, 0
	.section	.AMDGPU.csdata,"",@progbits
; Kernel info:
; codeLenInByte = 8712
; TotalNumSgprs: 100
; NumVgprs: 44
; ScratchSize: 0
; MemoryBound: 0
; FloatMode: 240
; IeeeMode: 1
; LDSByteSize: 4096 bytes/workgroup (compile time only)
; SGPRBlocks: 12
; VGPRBlocks: 10
; NumSGPRsForWavesPerEU: 100
; NumVGPRsForWavesPerEU: 44
; Occupancy: 5
; WaveLimiterHint : 1
; COMPUTE_PGM_RSRC2:SCRATCH_EN: 0
; COMPUTE_PGM_RSRC2:USER_SGPR: 6
; COMPUTE_PGM_RSRC2:TRAP_HANDLER: 0
; COMPUTE_PGM_RSRC2:TGID_X_EN: 1
; COMPUTE_PGM_RSRC2:TGID_Y_EN: 0
; COMPUTE_PGM_RSRC2:TGID_Z_EN: 0
; COMPUTE_PGM_RSRC2:TIDIG_COMP_CNT: 0
	.section	.text._ZN9rocsparseL6kernelILi1024ELi4E21rocsparse_complex_numIfEiiEEvbbbT3_PS3_NS_15floating_traitsIT1_E6data_tES3_T2_PKS9_SB_PKS3_PKS6_21rocsparse_index_base_SB_SB_SD_PS6_SH_SG_SB_SB_SD_SH_SH_SG_SH_SH_PS8_SI_PKS8_,"axG",@progbits,_ZN9rocsparseL6kernelILi1024ELi4E21rocsparse_complex_numIfEiiEEvbbbT3_PS3_NS_15floating_traitsIT1_E6data_tES3_T2_PKS9_SB_PKS3_PKS6_21rocsparse_index_base_SB_SB_SD_PS6_SH_SG_SB_SB_SD_SH_SH_SG_SH_SH_PS8_SI_PKS8_,comdat
	.globl	_ZN9rocsparseL6kernelILi1024ELi4E21rocsparse_complex_numIfEiiEEvbbbT3_PS3_NS_15floating_traitsIT1_E6data_tES3_T2_PKS9_SB_PKS3_PKS6_21rocsparse_index_base_SB_SB_SD_PS6_SH_SG_SB_SB_SD_SH_SH_SG_SH_SH_PS8_SI_PKS8_ ; -- Begin function _ZN9rocsparseL6kernelILi1024ELi4E21rocsparse_complex_numIfEiiEEvbbbT3_PS3_NS_15floating_traitsIT1_E6data_tES3_T2_PKS9_SB_PKS3_PKS6_21rocsparse_index_base_SB_SB_SD_PS6_SH_SG_SB_SB_SD_SH_SH_SG_SH_SH_PS8_SI_PKS8_
	.p2align	8
	.type	_ZN9rocsparseL6kernelILi1024ELi4E21rocsparse_complex_numIfEiiEEvbbbT3_PS3_NS_15floating_traitsIT1_E6data_tES3_T2_PKS9_SB_PKS3_PKS6_21rocsparse_index_base_SB_SB_SD_PS6_SH_SG_SB_SB_SD_SH_SH_SG_SH_SH_PS8_SI_PKS8_,@function
_ZN9rocsparseL6kernelILi1024ELi4E21rocsparse_complex_numIfEiiEEvbbbT3_PS3_NS_15floating_traitsIT1_E6data_tES3_T2_PKS9_SB_PKS3_PKS6_21rocsparse_index_base_SB_SB_SD_PS6_SH_SG_SB_SB_SD_SH_SH_SG_SH_SH_PS8_SI_PKS8_: ; @_ZN9rocsparseL6kernelILi1024ELi4E21rocsparse_complex_numIfEiiEEvbbbT3_PS3_NS_15floating_traitsIT1_E6data_tES3_T2_PKS9_SB_PKS3_PKS6_21rocsparse_index_base_SB_SB_SD_PS6_SH_SG_SB_SB_SD_SH_SH_SG_SH_SH_PS8_SI_PKS8_
; %bb.0:
	s_load_dword s0, s[4:5], 0x0
	s_load_dwordx2 s[2:3], s[4:5], 0x0
	s_load_dwordx2 s[72:73], s[4:5], 0x10
	s_load_dwordx4 s[8:11], s[4:5], 0xb8
	s_mov_b64 s[12:13], s[4:5]
	s_waitcnt lgkmcnt(0)
	s_bitcmp1_b32 s0, 0
	s_cselect_b64 s[68:69], -1, 0
	s_bitcmp1_b32 s0, 8
	s_cselect_b64 s[34:35], -1, 0
	;; [unrolled: 2-line block ×3, first 2 shown]
	v_lshrrev_b32_e32 v19, 2, v0
	s_lshl_b32 s5, s6, 10
	s_mov_b32 s1, s3
                                        ; implicit-def: $vgpr43 : SGPR spill to VGPR lane
	v_or_b32_e32 v21, s5, v19
	v_writelane_b32 v43, s0, 0
	s_cmp_gt_i32 s3, 0
	v_cmp_gt_i32_e32 vcc, s73, v21
	v_writelane_b32 v43, s1, 1
	s_cselect_b64 s[0:1], -1, 0
	v_and_b32_e32 v20, 3, v0
	v_lshlrev_b32_e32 v17, 2, v0
	s_mov_b32 s33, 0
	v_mov_b32_e32 v1, 0
	s_and_b64 s[0:1], s[0:1], vcc
	v_mov_b32_e32 v22, 0
	v_mov_b32_e32 v18, 0
	ds_write_b32 v17, v1
	s_waitcnt lgkmcnt(0)
	s_barrier
	s_and_saveexec_b64 s[2:3], s[0:1]
	s_cbranch_execnz .LBB37_3
; %bb.1:
	s_or_b64 exec, exec, s[2:3]
	s_andn2_b64 vcc, exec, s[68:69]
	s_cbranch_vccz .LBB37_186
.LBB37_2:
	v_cmp_eq_u32_e32 vcc, 0, v0
	s_and_b64 s[0:1], vcc, s[34:35]
	s_and_saveexec_b64 s[2:3], s[0:1]
	s_cbranch_execnz .LBB37_208
	s_branch .LBB37_214
.LBB37_3:
	s_load_dwordx2 s[0:1], s[12:13], 0xc8
	v_writelane_b32 v43, s2, 2
	v_writelane_b32 v43, s3, 3
	s_load_dwordx4 s[64:67], s[12:13], 0xa8
	s_load_dwordx8 s[36:43], s[12:13], 0x78
	s_load_dwordx8 s[44:51], s[12:13], 0x48
	;; [unrolled: 1-line block ×3, first 2 shown]
	s_addk_i32 s5, 0x400
	s_waitcnt lgkmcnt(0)
	v_writelane_b32 v43, s0, 4
	v_writelane_b32 v43, s1, 5
	s_xor_b64 s[0:1], s[34:35], -1
	v_writelane_b32 v43, s0, 6
	v_writelane_b32 v43, s1, 7
	s_load_dword s0, s[12:13], 0x40
	s_load_dwordx2 s[80:81], s[12:13], 0x68
	s_load_dword s1, s[12:13], 0x70
	s_load_dwordx2 s[82:83], s[12:13], 0x98
	v_writelane_b32 v43, s12, 8
	v_writelane_b32 v43, s13, 9
	v_cmp_gt_u32_e64 s[2:3], s5, v21
	v_writelane_b32 v43, s2, 10
	v_writelane_b32 v43, s3, 11
	v_cmp_eq_u32_e64 s[2:3], 3, v20
	v_writelane_b32 v43, s2, 12
	v_writelane_b32 v43, s3, 13
	s_movk_i32 s2, 0x80
	s_load_dword s4, s[12:13], 0xa0
	v_cmp_gt_u32_e64 s[2:3], s2, v0
	v_writelane_b32 v43, s2, 14
	v_writelane_b32 v43, s3, 15
	s_and_b64 s[2:3], s[34:35], s[30:31]
	s_xor_b64 s[2:3], s[2:3], -1
	v_writelane_b32 v43, s2, 16
	s_waitcnt lgkmcnt(0)
	v_subrev_u32_e32 v23, s0, v20
	v_lshlrev_b32_e32 v24, 2, v19
	v_cmp_gt_u32_e64 s[8:9], 64, v0
	v_cmp_gt_u32_e64 s[10:11], 32, v0
	;; [unrolled: 1-line block ×6, first 2 shown]
	v_cmp_eq_u32_e64 s[20:21], 0, v0
	v_subrev_u32_e32 v25, s1, v20
	v_subrev_u32_e32 v26, s4, v20
	v_cmp_eq_u32_e64 s[22:23], 0, v20
	v_writelane_b32 v43, s3, 17
	v_mov_b32_e32 v2, 0
	s_mov_b64 s[86:87], 0
	s_mov_b32 s2, 0xf800000
	v_mov_b32_e32 v27, 0x260
	s_movk_i32 s3, 0x1f8
	v_mov_b32_e32 v18, 0
	v_mov_b32_e32 v22, 0
	s_branch .LBB37_5
.LBB37_4:                               ;   in Loop: Header=BB37_5 Depth=1
	s_or_b64 exec, exec, s[24:25]
	s_and_b64 s[6:7], exec, s[26:27]
	s_or_b64 s[86:87], s[6:7], s[86:87]
	s_andn2_b64 exec, exec, s[86:87]
	s_cbranch_execz .LBB37_185
.LBB37_5:                               ; =>This Loop Header: Depth=1
                                        ;     Child Loop BB37_9 Depth 2
                                        ;       Child Loop BB37_14 Depth 3
                                        ;         Child Loop BB37_18 Depth 4
                                        ;         Child Loop BB37_53 Depth 4
	;; [unrolled: 1-line block ×5, first 2 shown]
                                        ;     Child Loop BB37_164 Depth 2
                                        ;       Child Loop BB37_167 Depth 3
                                        ;       Child Loop BB37_170 Depth 3
	v_cndmask_b32_e64 v22, v22, 0, s[34:35]
	v_cndmask_b32_e64 v18, v18, 0, s[30:31]
	s_mov_b32 s6, 0
	s_branch .LBB37_9
.LBB37_6:                               ;   in Loop: Header=BB37_9 Depth=2
	s_or_b64 exec, exec, s[92:93]
.LBB37_7:                               ;   in Loop: Header=BB37_9 Depth=2
	s_or_b64 exec, exec, s[90:91]
.LBB37_8:                               ;   in Loop: Header=BB37_9 Depth=2
	s_or_b64 exec, exec, s[88:89]
	s_add_i32 s6, s6, 1
	s_cmp_eq_u32 s6, 4
	s_cbranch_scc1 .LBB37_121
.LBB37_9:                               ;   Parent Loop BB37_5 Depth=1
                                        ; =>  This Loop Header: Depth=2
                                        ;       Child Loop BB37_14 Depth 3
                                        ;         Child Loop BB37_18 Depth 4
                                        ;         Child Loop BB37_53 Depth 4
	;; [unrolled: 1-line block ×5, first 2 shown]
	v_lshl_add_u32 v3, s6, 8, v21
	v_cmp_gt_i32_e32 vcc, s73, v3
	s_and_saveexec_b64 s[88:89], vcc
	s_cbranch_execz .LBB37_8
; %bb.10:                               ;   in Loop: Header=BB37_9 Depth=2
	v_ashrrev_i32_e32 v4, 31, v3
	v_lshlrev_b64 v[5:6], 2, v[3:4]
	v_mov_b32_e32 v1, s53
	v_add_co_u32_e32 v7, vcc, s52, v5
	v_addc_co_u32_e32 v8, vcc, v1, v6, vcc
	global_load_dword v1, v[7:8], off
	v_mov_b32_e32 v4, s55
	v_add_co_u32_e32 v7, vcc, s54, v5
	v_addc_co_u32_e32 v8, vcc, v4, v6, vcc
	global_load_dword v7, v[7:8], off
	s_waitcnt vmcnt(1)
	v_add_u32_e32 v4, v23, v1
	s_waitcnt vmcnt(0)
	v_subrev_u32_e32 v28, s0, v7
	v_cmp_lt_i32_e32 vcc, v4, v28
	s_and_saveexec_b64 s[90:91], vcc
	s_cbranch_execz .LBB37_7
; %bb.11:                               ;   in Loop: Header=BB37_9 Depth=2
	v_mov_b32_e32 v1, s47
	v_add_co_u32_e32 v7, vcc, s46, v5
	v_addc_co_u32_e32 v8, vcc, v1, v6, vcc
	v_mov_b32_e32 v1, s45
	v_add_co_u32_e32 v5, vcc, s44, v5
	v_addc_co_u32_e32 v6, vcc, v1, v6, vcc
	global_load_dword v1, v[5:6], off
	s_nop 0
	global_load_dword v5, v[7:8], off
	v_mov_b32_e32 v12, s49
	v_mov_b32_e32 v13, s51
	s_mov_b64 s[92:93], 0
	s_waitcnt vmcnt(1)
	v_subrev_u32_e32 v6, s1, v1
	v_ashrrev_i32_e32 v7, 31, v6
	v_lshlrev_b64 v[8:9], 2, v[6:7]
	v_lshlrev_b64 v[10:11], 3, v[6:7]
	v_add_co_u32_e32 v30, vcc, s48, v8
	v_addc_co_u32_e32 v31, vcc, v12, v9, vcc
	s_waitcnt vmcnt(0)
	v_sub_u32_e32 v29, v5, v1
	v_add_co_u32_e32 v32, vcc, s50, v10
	v_cmp_lt_i32_e64 s[24:25], 0, v29
	v_addc_co_u32_e32 v33, vcc, v13, v11, vcc
	s_branch .LBB37_14
.LBB37_12:                              ;   in Loop: Header=BB37_14 Depth=3
	s_or_b64 exec, exec, s[26:27]
.LBB37_13:                              ;   in Loop: Header=BB37_14 Depth=3
	s_or_b64 exec, exec, s[28:29]
	v_add_u32_e32 v4, 4, v4
	v_cmp_ge_i32_e32 vcc, v4, v28
	s_or_b64 s[92:93], vcc, s[92:93]
	s_andn2_b64 exec, exec, s[92:93]
	s_cbranch_execz .LBB37_6
.LBB37_14:                              ;   Parent Loop BB37_5 Depth=1
                                        ;     Parent Loop BB37_9 Depth=2
                                        ; =>    This Loop Header: Depth=3
                                        ;         Child Loop BB37_18 Depth 4
                                        ;         Child Loop BB37_53 Depth 4
	;; [unrolled: 1-line block ×5, first 2 shown]
	v_ashrrev_i32_e32 v5, 31, v4
	v_lshlrev_b64 v[7:8], 2, v[4:5]
	v_mov_b32_e32 v1, s57
	v_add_co_u32_e32 v7, vcc, s56, v7
	v_addc_co_u32_e32 v8, vcc, v1, v8, vcc
	global_load_dword v1, v[7:8], off
	v_mov_b32_e32 v12, s37
	v_mov_b32_e32 v13, s39
	;; [unrolled: 1-line block ×4, first 2 shown]
	s_waitcnt vmcnt(0)
	v_subrev_u32_e32 v7, s0, v1
	v_ashrrev_i32_e32 v8, 31, v7
	v_lshlrev_b64 v[9:10], 2, v[7:8]
	v_mov_b32_e32 v1, 0
	v_add_co_u32_e32 v11, vcc, s36, v9
	v_addc_co_u32_e32 v12, vcc, v12, v10, vcc
	v_add_co_u32_e32 v9, vcc, s38, v9
	v_addc_co_u32_e32 v10, vcc, v13, v10, vcc
	global_load_dword v12, v[11:12], off
	s_nop 0
	global_load_dword v9, v[9:10], off
	s_waitcnt vmcnt(1)
	v_subrev_u32_e32 v11, s4, v12
	s_waitcnt vmcnt(0)
	v_sub_u32_e32 v36, v9, v12
	v_mov_b32_e32 v12, v1
	s_and_saveexec_b64 s[26:27], s[24:25]
	s_cbranch_execz .LBB37_22
; %bb.15:                               ;   in Loop: Header=BB37_14 Depth=3
	v_ashrrev_i32_e32 v12, 31, v11
	v_lshlrev_b64 v[9:10], 2, v[11:12]
	v_mov_b32_e32 v1, s41
	v_add_co_u32_e32 v9, vcc, s40, v9
	v_lshlrev_b64 v[12:13], 3, v[11:12]
	v_addc_co_u32_e32 v10, vcc, v1, v10, vcc
	v_mov_b32_e32 v1, s43
	v_add_co_u32_e32 v14, vcc, s42, v12
	v_mov_b32_e32 v12, 0
	v_addc_co_u32_e32 v15, vcc, v1, v13, vcc
	v_mov_b32_e32 v34, 0
	s_mov_b64 s[28:29], 0
	v_mov_b32_e32 v1, v12
	v_mov_b32_e32 v35, 0
                                        ; implicit-def: $sgpr74_sgpr75
	s_branch .LBB37_18
.LBB37_16:                              ;   in Loop: Header=BB37_18 Depth=4
	s_or_b64 exec, exec, s[60:61]
	v_cmp_le_i32_e32 vcc, v16, v37
	v_addc_co_u32_e32 v1, vcc, 0, v1, vcc
	v_cmp_ge_i32_e32 vcc, v16, v37
	v_addc_co_u32_e32 v12, vcc, 0, v12, vcc
	v_cmp_ge_i32_e32 vcc, v1, v29
	s_andn2_b64 s[60:61], s[74:75], exec
	s_and_b64 s[62:63], vcc, exec
	s_or_b64 s[74:75], s[60:61], s[62:63]
.LBB37_17:                              ;   in Loop: Header=BB37_18 Depth=4
	s_or_b64 exec, exec, s[76:77]
	s_and_b64 s[60:61], exec, s[74:75]
	s_or_b64 s[28:29], s[60:61], s[28:29]
	s_andn2_b64 exec, exec, s[28:29]
	s_cbranch_execz .LBB37_21
.LBB37_18:                              ;   Parent Loop BB37_5 Depth=1
                                        ;     Parent Loop BB37_9 Depth=2
                                        ;       Parent Loop BB37_14 Depth=3
                                        ; =>      This Inner Loop Header: Depth=4
	v_cmp_lt_i32_e32 vcc, v12, v36
	s_or_b64 s[74:75], s[74:75], exec
	s_and_saveexec_b64 s[76:77], vcc
	s_cbranch_execz .LBB37_17
; %bb.19:                               ;   in Loop: Header=BB37_18 Depth=4
	v_lshlrev_b64 v[37:38], 2, v[1:2]
	v_mov_b32_e32 v13, v2
	v_add_co_u32_e32 v37, vcc, v30, v37
	v_addc_co_u32_e32 v38, vcc, v31, v38, vcc
	global_load_dword v16, v[37:38], off
	v_lshlrev_b64 v[37:38], 2, v[12:13]
	v_add_co_u32_e32 v37, vcc, v9, v37
	v_addc_co_u32_e32 v38, vcc, v10, v38, vcc
	global_load_dword v37, v[37:38], off
	s_waitcnt vmcnt(1)
	v_subrev_u32_e32 v16, s1, v16
	s_waitcnt vmcnt(0)
	v_subrev_u32_e32 v37, s4, v37
	v_cmp_eq_u32_e32 vcc, v16, v37
	s_and_saveexec_b64 s[60:61], vcc
	s_cbranch_execz .LBB37_16
; %bb.20:                               ;   in Loop: Header=BB37_18 Depth=4
	v_lshlrev_b64 v[38:39], 3, v[1:2]
	v_lshlrev_b64 v[40:41], 3, v[12:13]
	v_add_co_u32_e32 v38, vcc, v32, v38
	v_addc_co_u32_e32 v39, vcc, v33, v39, vcc
	v_add_co_u32_e32 v40, vcc, v14, v40
	v_addc_co_u32_e32 v41, vcc, v15, v41, vcc
	global_load_dwordx2 v[38:39], v[38:39], off
	s_nop 0
	global_load_dwordx2 v[40:41], v[40:41], off
	s_waitcnt vmcnt(0)
	v_fmac_f32_e32 v34, v38, v40
	v_fmac_f32_e32 v35, v39, v40
	v_fma_f32 v34, -v39, v41, v34
	v_fmac_f32_e32 v35, v38, v41
	s_branch .LBB37_16
.LBB37_21:                              ;   in Loop: Header=BB37_14 Depth=3
	s_or_b64 exec, exec, s[28:29]
.LBB37_22:                              ;   in Loop: Header=BB37_14 Depth=3
	s_or_b64 exec, exec, s[26:27]
	v_lshlrev_b64 v[9:10], 3, v[4:5]
	v_mov_b32_e32 v5, s59
	v_add_co_u32_e32 v9, vcc, s58, v9
	v_addc_co_u32_e32 v10, vcc, v5, v10, vcc
	global_load_dwordx2 v[9:10], v[9:10], off
	v_cmp_le_i32_e64 s[26:27], v3, v7
	v_cmp_gt_i32_e32 vcc, v3, v7
	s_waitcnt vmcnt(0)
	v_sub_f32_e32 v13, v9, v34
	v_sub_f32_e32 v14, v10, v35
	s_and_saveexec_b64 s[74:75], vcc
	s_cbranch_execz .LBB37_32
; %bb.23:                               ;   in Loop: Header=BB37_14 Depth=3
	v_lshlrev_b64 v[15:16], 3, v[7:8]
	v_mov_b32_e32 v5, s65
	v_add_co_u32_e32 v15, vcc, s64, v15
	v_addc_co_u32_e32 v16, vcc, v5, v16, vcc
	global_load_dwordx2 v[15:16], v[15:16], off
                                        ; implicit-def: $vgpr38
	s_waitcnt vmcnt(0)
	v_cmp_gt_f32_e32 vcc, 0, v15
	v_cndmask_b32_e64 v5, v15, -v15, vcc
	v_cmp_gt_f32_e32 vcc, 0, v16
	v_cndmask_b32_e64 v37, v16, -v16, vcc
	v_cmp_ngt_f32_e32 vcc, v5, v37
	s_and_saveexec_b64 s[28:29], vcc
	s_xor_b64 s[60:61], exec, s[28:29]
	s_cbranch_execz .LBB37_27
; %bb.24:                               ;   in Loop: Header=BB37_14 Depth=3
	v_mov_b32_e32 v38, 0
	v_cmp_neq_f32_e32 vcc, 0, v16
	s_and_saveexec_b64 s[62:63], vcc
	s_cbranch_execz .LBB37_26
; %bb.25:                               ;   in Loop: Header=BB37_14 Depth=3
	v_div_scale_f32 v38, s[28:29], v37, v37, v5
	v_div_scale_f32 v39, vcc, v5, v37, v5
	v_rcp_f32_e32 v40, v38
	v_fma_f32 v41, -v38, v40, 1.0
	v_fmac_f32_e32 v40, v41, v40
	v_mul_f32_e32 v41, v39, v40
	v_fma_f32 v42, -v38, v41, v39
	v_fmac_f32_e32 v41, v42, v40
	v_fma_f32 v38, -v38, v41, v39
	v_div_fmas_f32 v38, v38, v40, v41
	v_div_fixup_f32 v5, v38, v37, v5
	v_fma_f32 v5, v5, v5, 1.0
	v_mul_f32_e32 v38, 0x4f800000, v5
	v_cmp_gt_f32_e32 vcc, s2, v5
	v_cndmask_b32_e32 v5, v5, v38, vcc
	v_sqrt_f32_e32 v38, v5
	v_add_u32_e32 v39, -1, v38
	v_add_u32_e32 v40, 1, v38
	v_fma_f32 v41, -v39, v38, v5
	v_fma_f32 v42, -v40, v38, v5
	v_cmp_ge_f32_e64 s[28:29], 0, v41
	v_cndmask_b32_e64 v38, v38, v39, s[28:29]
	v_cmp_lt_f32_e64 s[28:29], 0, v42
	v_cndmask_b32_e64 v38, v38, v40, s[28:29]
	v_mul_f32_e32 v39, 0x37800000, v38
	v_cndmask_b32_e32 v38, v38, v39, vcc
	v_cmp_class_f32_e32 vcc, v5, v27
	v_cndmask_b32_e32 v5, v38, v5, vcc
	v_mul_f32_e32 v38, v37, v5
.LBB37_26:                              ;   in Loop: Header=BB37_14 Depth=3
	s_or_b64 exec, exec, s[62:63]
                                        ; implicit-def: $vgpr5
                                        ; implicit-def: $vgpr37
.LBB37_27:                              ;   in Loop: Header=BB37_14 Depth=3
	s_andn2_saveexec_b64 s[60:61], s[60:61]
	s_cbranch_execz .LBB37_29
; %bb.28:                               ;   in Loop: Header=BB37_14 Depth=3
	v_div_scale_f32 v38, s[28:29], v5, v5, v37
	v_div_scale_f32 v39, vcc, v37, v5, v37
	v_rcp_f32_e32 v40, v38
	v_fma_f32 v41, -v38, v40, 1.0
	v_fmac_f32_e32 v40, v41, v40
	v_mul_f32_e32 v41, v39, v40
	v_fma_f32 v42, -v38, v41, v39
	v_fmac_f32_e32 v41, v42, v40
	v_fma_f32 v38, -v38, v41, v39
	v_div_fmas_f32 v38, v38, v40, v41
	v_div_fixup_f32 v37, v38, v5, v37
	v_fma_f32 v37, v37, v37, 1.0
	v_mul_f32_e32 v38, 0x4f800000, v37
	v_cmp_gt_f32_e32 vcc, s2, v37
	v_cndmask_b32_e32 v37, v37, v38, vcc
	v_sqrt_f32_e32 v38, v37
	v_add_u32_e32 v39, -1, v38
	v_add_u32_e32 v40, 1, v38
	v_fma_f32 v41, -v39, v38, v37
	v_fma_f32 v42, -v40, v38, v37
	v_cmp_ge_f32_e64 s[28:29], 0, v41
	v_cndmask_b32_e64 v38, v38, v39, s[28:29]
	v_cmp_lt_f32_e64 s[28:29], 0, v42
	v_cndmask_b32_e64 v38, v38, v40, s[28:29]
	v_mul_f32_e32 v39, 0x37800000, v38
	v_cndmask_b32_e32 v38, v38, v39, vcc
	v_cmp_class_f32_e32 vcc, v37, v27
	v_cndmask_b32_e32 v37, v38, v37, vcc
	v_mul_f32_e32 v38, v5, v37
.LBB37_29:                              ;   in Loop: Header=BB37_14 Depth=3
	s_or_b64 exec, exec, s[60:61]
	v_mov_b32_e32 v5, 0
	v_cmp_lt_f32_e32 vcc, 0, v38
	v_mov_b32_e32 v37, 0
	s_and_saveexec_b64 s[28:29], vcc
	s_cbranch_execz .LBB37_31
; %bb.30:                               ;   in Loop: Header=BB37_14 Depth=3
	v_mul_f32_e32 v5, v16, v16
	v_fmac_f32_e32 v5, v15, v15
	v_div_scale_f32 v37, s[60:61], v5, v5, 1.0
	v_div_scale_f32 v38, vcc, 1.0, v5, 1.0
	v_rcp_f32_e32 v39, v37
	v_fma_f32 v40, -v37, v39, 1.0
	v_fmac_f32_e32 v39, v40, v39
	v_mul_f32_e32 v40, v38, v39
	v_fma_f32 v41, -v37, v40, v38
	v_fmac_f32_e32 v40, v41, v39
	v_fma_f32 v37, -v37, v40, v38
	v_div_fmas_f32 v37, v37, v39, v40
	v_mul_f32_e32 v38, v14, v16
	v_mul_f32_e64 v16, v16, -v13
	v_fmac_f32_e32 v38, v13, v15
	v_fmac_f32_e32 v16, v14, v15
	v_div_fixup_f32 v5, v37, v5, 1.0
	v_mul_f32_e32 v37, v38, v5
	v_mul_f32_e32 v5, v16, v5
.LBB37_31:                              ;   in Loop: Header=BB37_14 Depth=3
	s_or_b64 exec, exec, s[28:29]
	v_mov_b32_e32 v14, v5
	v_mov_b32_e32 v13, v37
.LBB37_32:                              ;   in Loop: Header=BB37_14 Depth=3
	s_or_b64 exec, exec, s[74:75]
	v_cmp_gt_f32_e32 vcc, 0, v13
	v_cndmask_b32_e64 v5, v13, -v13, vcc
	v_cmp_gt_f32_e32 vcc, 0, v14
	v_cndmask_b32_e64 v15, v14, -v14, vcc
	v_cmp_ngt_f32_e32 vcc, v5, v15
                                        ; implicit-def: $vgpr16
	s_and_saveexec_b64 s[28:29], vcc
	s_xor_b64 s[60:61], exec, s[28:29]
	s_cbranch_execnz .LBB37_36
; %bb.33:                               ;   in Loop: Header=BB37_14 Depth=3
	s_andn2_saveexec_b64 s[60:61], s[60:61]
	s_cbranch_execnz .LBB37_39
.LBB37_34:                              ;   in Loop: Header=BB37_14 Depth=3
	s_or_b64 exec, exec, s[60:61]
	v_cmp_class_f32_e64 s[28:29], v16, s3
	s_and_saveexec_b64 s[94:95], s[28:29]
	s_cbranch_execnz .LBB37_40
.LBB37_35:                              ;   in Loop: Header=BB37_14 Depth=3
	s_or_b64 exec, exec, s[94:95]
	s_and_b64 s[26:27], s[30:31], s[28:29]
	s_and_saveexec_b64 s[28:29], s[26:27]
	s_cbranch_execz .LBB37_13
	s_branch .LBB37_81
.LBB37_36:                              ;   in Loop: Header=BB37_14 Depth=3
	v_mov_b32_e32 v16, 0
	v_cmp_neq_f32_e32 vcc, 0, v14
	s_and_saveexec_b64 s[62:63], vcc
	s_cbranch_execz .LBB37_38
; %bb.37:                               ;   in Loop: Header=BB37_14 Depth=3
	v_div_scale_f32 v16, s[28:29], v15, v15, v5
	v_div_scale_f32 v37, vcc, v5, v15, v5
	v_rcp_f32_e32 v38, v16
	v_fma_f32 v39, -v16, v38, 1.0
	v_fmac_f32_e32 v38, v39, v38
	v_mul_f32_e32 v39, v37, v38
	v_fma_f32 v40, -v16, v39, v37
	v_fmac_f32_e32 v39, v40, v38
	v_fma_f32 v16, -v16, v39, v37
	v_div_fmas_f32 v16, v16, v38, v39
	v_div_fixup_f32 v5, v16, v15, v5
	v_fma_f32 v5, v5, v5, 1.0
	v_mul_f32_e32 v16, 0x4f800000, v5
	v_cmp_gt_f32_e32 vcc, s2, v5
	v_cndmask_b32_e32 v5, v5, v16, vcc
	v_sqrt_f32_e32 v16, v5
	v_add_u32_e32 v37, -1, v16
	v_add_u32_e32 v38, 1, v16
	v_fma_f32 v39, -v37, v16, v5
	v_fma_f32 v40, -v38, v16, v5
	v_cmp_ge_f32_e64 s[28:29], 0, v39
	v_cndmask_b32_e64 v16, v16, v37, s[28:29]
	v_cmp_lt_f32_e64 s[28:29], 0, v40
	v_cndmask_b32_e64 v16, v16, v38, s[28:29]
	v_mul_f32_e32 v37, 0x37800000, v16
	v_cndmask_b32_e32 v16, v16, v37, vcc
	v_cmp_class_f32_e32 vcc, v5, v27
	v_cndmask_b32_e32 v5, v16, v5, vcc
	v_mul_f32_e32 v16, v15, v5
.LBB37_38:                              ;   in Loop: Header=BB37_14 Depth=3
	s_or_b64 exec, exec, s[62:63]
                                        ; implicit-def: $vgpr5
                                        ; implicit-def: $vgpr15
	s_andn2_saveexec_b64 s[60:61], s[60:61]
	s_cbranch_execz .LBB37_34
.LBB37_39:                              ;   in Loop: Header=BB37_14 Depth=3
	v_div_scale_f32 v16, s[28:29], v5, v5, v15
	v_div_scale_f32 v37, vcc, v15, v5, v15
	v_rcp_f32_e32 v38, v16
	v_fma_f32 v39, -v16, v38, 1.0
	v_fmac_f32_e32 v38, v39, v38
	v_mul_f32_e32 v39, v37, v38
	v_fma_f32 v40, -v16, v39, v37
	v_fmac_f32_e32 v39, v40, v38
	v_fma_f32 v16, -v16, v39, v37
	v_div_fmas_f32 v16, v16, v38, v39
	v_div_fixup_f32 v15, v16, v5, v15
	v_fma_f32 v15, v15, v15, 1.0
	v_mul_f32_e32 v16, 0x4f800000, v15
	v_cmp_gt_f32_e32 vcc, s2, v15
	v_cndmask_b32_e32 v15, v15, v16, vcc
	v_sqrt_f32_e32 v16, v15
	v_add_u32_e32 v37, -1, v16
	v_add_u32_e32 v38, 1, v16
	v_fma_f32 v39, -v37, v16, v15
	v_fma_f32 v40, -v38, v16, v15
	v_cmp_ge_f32_e64 s[28:29], 0, v39
	v_cndmask_b32_e64 v16, v16, v37, s[28:29]
	v_cmp_lt_f32_e64 s[28:29], 0, v40
	v_cndmask_b32_e64 v16, v16, v38, s[28:29]
	v_mul_f32_e32 v37, 0x37800000, v16
	v_cndmask_b32_e32 v16, v16, v37, vcc
	v_cmp_class_f32_e32 vcc, v15, v27
	v_cndmask_b32_e32 v15, v16, v15, vcc
	v_mul_f32_e32 v16, v5, v15
	s_or_b64 exec, exec, s[60:61]
	v_cmp_class_f32_e64 s[28:29], v16, s3
	s_and_saveexec_b64 s[94:95], s[28:29]
	s_cbranch_execz .LBB37_35
.LBB37_40:                              ;   in Loop: Header=BB37_14 Depth=3
	s_and_saveexec_b64 s[60:61], s[26:27]
	s_xor_b64 s[74:75], exec, s[60:61]
	s_cbranch_execz .LBB37_65
; %bb.41:                               ;   in Loop: Header=BB37_14 Depth=3
	v_cmp_ge_i32_e32 vcc, v3, v7
	s_and_saveexec_b64 s[26:27], vcc
	s_xor_b64 s[76:77], exec, s[26:27]
	s_cbranch_execz .LBB37_49
; %bb.42:                               ;   in Loop: Header=BB37_14 Depth=3
	v_lshlrev_b64 v[15:16], 3, v[7:8]
	v_mov_b32_e32 v5, s67
	v_add_co_u32_e32 v37, vcc, s66, v15
	v_addc_co_u32_e32 v38, vcc, v5, v16, vcc
	s_andn2_b64 vcc, exec, s[34:35]
	global_store_dwordx2 v[37:38], v[13:14], off
	s_cbranch_vccnz .LBB37_48
; %bb.43:                               ;   in Loop: Header=BB37_14 Depth=3
	v_mov_b32_e32 v5, s65
	v_add_co_u32_e32 v15, vcc, s64, v15
	v_addc_co_u32_e32 v16, vcc, v5, v16, vcc
	global_load_dwordx2 v[15:16], v[15:16], off
	s_waitcnt vmcnt(0)
	v_sub_f32_e32 v5, v15, v13
	v_sub_f32_e32 v15, v16, v14
	v_cmp_gt_f32_e32 vcc, 0, v5
	v_cndmask_b32_e64 v5, v5, -v5, vcc
	v_cmp_gt_f32_e32 vcc, 0, v15
	v_cndmask_b32_e64 v13, v15, -v15, vcc
	v_cmp_ngt_f32_e32 vcc, v5, v13
                                        ; implicit-def: $vgpr14
	s_and_saveexec_b64 s[26:27], vcc
	s_xor_b64 s[60:61], exec, s[26:27]
	s_cbranch_execnz .LBB37_109
; %bb.44:                               ;   in Loop: Header=BB37_14 Depth=3
	s_andn2_saveexec_b64 s[60:61], s[60:61]
	s_cbranch_execnz .LBB37_112
.LBB37_45:                              ;   in Loop: Header=BB37_14 Depth=3
	s_or_b64 exec, exec, s[60:61]
	v_cmp_class_f32_e64 s[60:61], v14, s3
	s_and_saveexec_b64 s[26:27], s[60:61]
.LBB37_46:                              ;   in Loop: Header=BB37_14 Depth=3
	v_cmp_lt_f32_e32 vcc, v22, v14
	v_cndmask_b32_e32 v22, v22, v14, vcc
.LBB37_47:                              ;   in Loop: Header=BB37_14 Depth=3
	s_or_b64 exec, exec, s[26:27]
.LBB37_48:                              ;   in Loop: Header=BB37_14 Depth=3
                                        ; implicit-def: $vgpr13
.LBB37_49:                              ;   in Loop: Header=BB37_14 Depth=3
	s_andn2_saveexec_b64 s[78:79], s[76:77]
	s_cbranch_execz .LBB37_64
; %bb.50:                               ;   in Loop: Header=BB37_14 Depth=3
	v_cmp_lt_i32_e32 vcc, v12, v36
	s_and_saveexec_b64 s[76:77], vcc
	s_cbranch_execz .LBB37_63
; %bb.51:                               ;   in Loop: Header=BB37_14 Depth=3
	s_mov_b64 s[26:27], 0
	v_mov_b32_e32 v5, v12
                                        ; implicit-def: $sgpr84_sgpr85
                                        ; implicit-def: $sgpr60_sgpr61
                                        ; implicit-def: $sgpr70_sgpr71
	s_branch .LBB37_53
.LBB37_52:                              ;   in Loop: Header=BB37_53 Depth=4
	s_or_b64 exec, exec, s[62:63]
	s_and_b64 s[62:63], exec, s[60:61]
	s_or_b64 s[26:27], s[62:63], s[26:27]
	s_andn2_b64 s[62:63], s[84:85], exec
	s_and_b64 s[84:85], s[70:71], exec
	s_or_b64 s[84:85], s[62:63], s[84:85]
	s_andn2_b64 exec, exec, s[26:27]
	s_cbranch_execz .LBB37_55
.LBB37_53:                              ;   Parent Loop BB37_5 Depth=1
                                        ;     Parent Loop BB37_9 Depth=2
                                        ;       Parent Loop BB37_14 Depth=3
                                        ; =>      This Inner Loop Header: Depth=4
	v_add_u32_e32 v15, v11, v5
	v_ashrrev_i32_e32 v16, 31, v15
	v_lshlrev_b64 v[37:38], 2, v[15:16]
	v_mov_b32_e32 v39, s41
	v_add_co_u32_e32 v37, vcc, s40, v37
	v_addc_co_u32_e32 v38, vcc, v39, v38, vcc
	global_load_dword v37, v[37:38], off
	s_or_b64 s[70:71], s[70:71], exec
	s_or_b64 s[60:61], s[60:61], exec
	s_waitcnt vmcnt(0)
	v_subrev_u32_e32 v37, s4, v37
	v_cmp_ne_u32_e32 vcc, v37, v3
	s_and_saveexec_b64 s[62:63], vcc
	s_cbranch_execz .LBB37_52
; %bb.54:                               ;   in Loop: Header=BB37_53 Depth=4
	v_add_u32_e32 v5, 1, v5
	v_cmp_ge_i32_e32 vcc, v5, v36
	s_andn2_b64 s[60:61], s[60:61], exec
	s_and_b64 vcc, vcc, exec
	s_andn2_b64 s[70:71], s[70:71], exec
	s_or_b64 s[60:61], s[60:61], vcc
	s_branch .LBB37_52
.LBB37_55:                              ;   in Loop: Header=BB37_14 Depth=3
	s_or_b64 exec, exec, s[26:27]
	s_and_saveexec_b64 s[26:27], s[84:85]
	s_xor_b64 s[84:85], exec, s[26:27]
	s_cbranch_execz .LBB37_62
; %bb.56:                               ;   in Loop: Header=BB37_14 Depth=3
	v_lshlrev_b64 v[15:16], 3, v[15:16]
	v_mov_b32_e32 v5, s83
	v_add_co_u32_e32 v37, vcc, s82, v15
	v_addc_co_u32_e32 v38, vcc, v5, v16, vcc
	s_andn2_b64 vcc, exec, s[34:35]
	global_store_dwordx2 v[37:38], v[13:14], off
	s_cbranch_vccnz .LBB37_62
; %bb.57:                               ;   in Loop: Header=BB37_14 Depth=3
	v_mov_b32_e32 v5, s43
	v_add_co_u32_e32 v15, vcc, s42, v15
	v_addc_co_u32_e32 v16, vcc, v5, v16, vcc
	global_load_dwordx2 v[15:16], v[15:16], off
	s_waitcnt vmcnt(0)
	v_sub_f32_e32 v5, v15, v13
	v_sub_f32_e32 v15, v16, v14
	v_cmp_gt_f32_e32 vcc, 0, v5
	v_cndmask_b32_e64 v5, v5, -v5, vcc
	v_cmp_gt_f32_e32 vcc, 0, v15
	v_cndmask_b32_e64 v13, v15, -v15, vcc
	v_cmp_ngt_f32_e32 vcc, v5, v13
                                        ; implicit-def: $vgpr14
	s_and_saveexec_b64 s[26:27], vcc
	s_xor_b64 s[60:61], exec, s[26:27]
	s_cbranch_execnz .LBB37_117
; %bb.58:                               ;   in Loop: Header=BB37_14 Depth=3
	s_andn2_saveexec_b64 s[60:61], s[60:61]
	s_cbranch_execnz .LBB37_120
.LBB37_59:                              ;   in Loop: Header=BB37_14 Depth=3
	s_or_b64 exec, exec, s[60:61]
	v_cmp_class_f32_e64 s[60:61], v14, s3
	s_and_saveexec_b64 s[26:27], s[60:61]
.LBB37_60:                              ;   in Loop: Header=BB37_14 Depth=3
	v_cmp_lt_f32_e32 vcc, v22, v14
	v_cndmask_b32_e32 v22, v22, v14, vcc
.LBB37_61:                              ;   in Loop: Header=BB37_14 Depth=3
	s_or_b64 exec, exec, s[26:27]
.LBB37_62:                              ;   in Loop: Header=BB37_14 Depth=3
	s_or_b64 exec, exec, s[84:85]
.LBB37_63:                              ;   in Loop: Header=BB37_14 Depth=3
	s_or_b64 exec, exec, s[76:77]
.LBB37_64:                              ;   in Loop: Header=BB37_14 Depth=3
	s_or_b64 exec, exec, s[78:79]
                                        ; implicit-def: $vgpr13
.LBB37_65:                              ;   in Loop: Header=BB37_14 Depth=3
	s_andn2_saveexec_b64 s[74:75], s[74:75]
	s_cbranch_execz .LBB37_80
; %bb.66:                               ;   in Loop: Header=BB37_14 Depth=3
	v_cmp_lt_i32_e32 vcc, v1, v29
	s_and_saveexec_b64 s[78:79], vcc
	s_cbranch_execz .LBB37_79
; %bb.67:                               ;   in Loop: Header=BB37_14 Depth=3
	s_mov_b64 s[26:27], 0
	v_mov_b32_e32 v5, v1
                                        ; implicit-def: $sgpr76_sgpr77
                                        ; implicit-def: $sgpr60_sgpr61
                                        ; implicit-def: $sgpr70_sgpr71
	s_branch .LBB37_69
.LBB37_68:                              ;   in Loop: Header=BB37_69 Depth=4
	s_or_b64 exec, exec, s[62:63]
	s_and_b64 s[62:63], exec, s[60:61]
	s_or_b64 s[26:27], s[62:63], s[26:27]
	s_andn2_b64 s[62:63], s[76:77], exec
	s_and_b64 s[76:77], s[70:71], exec
	s_or_b64 s[76:77], s[62:63], s[76:77]
	s_andn2_b64 exec, exec, s[26:27]
	s_cbranch_execz .LBB37_71
.LBB37_69:                              ;   Parent Loop BB37_5 Depth=1
                                        ;     Parent Loop BB37_9 Depth=2
                                        ;       Parent Loop BB37_14 Depth=3
                                        ; =>      This Inner Loop Header: Depth=4
	v_add_u32_e32 v15, v6, v5
	v_ashrrev_i32_e32 v16, 31, v15
	v_lshlrev_b64 v[37:38], 2, v[15:16]
	v_mov_b32_e32 v39, s49
	v_add_co_u32_e32 v37, vcc, s48, v37
	v_addc_co_u32_e32 v38, vcc, v39, v38, vcc
	global_load_dword v37, v[37:38], off
	s_or_b64 s[70:71], s[70:71], exec
	s_or_b64 s[60:61], s[60:61], exec
	s_waitcnt vmcnt(0)
	v_subrev_u32_e32 v37, s1, v37
	v_cmp_ne_u32_e32 vcc, v37, v7
	s_and_saveexec_b64 s[62:63], vcc
	s_cbranch_execz .LBB37_68
; %bb.70:                               ;   in Loop: Header=BB37_69 Depth=4
	v_add_u32_e32 v5, 1, v5
	v_cmp_ge_i32_e32 vcc, v5, v29
	s_andn2_b64 s[60:61], s[60:61], exec
	s_and_b64 s[84:85], vcc, exec
	s_andn2_b64 s[70:71], s[70:71], exec
	s_or_b64 s[60:61], s[60:61], s[84:85]
	s_branch .LBB37_68
.LBB37_71:                              ;   in Loop: Header=BB37_14 Depth=3
	s_or_b64 exec, exec, s[26:27]
	s_and_saveexec_b64 s[26:27], s[76:77]
	s_xor_b64 s[76:77], exec, s[26:27]
	s_cbranch_execz .LBB37_78
; %bb.72:                               ;   in Loop: Header=BB37_14 Depth=3
	v_lshlrev_b64 v[15:16], 3, v[15:16]
	v_mov_b32_e32 v5, s81
	v_add_co_u32_e32 v37, vcc, s80, v15
	v_addc_co_u32_e32 v38, vcc, v5, v16, vcc
	s_andn2_b64 vcc, exec, s[34:35]
	global_store_dwordx2 v[37:38], v[13:14], off
	s_cbranch_vccnz .LBB37_78
; %bb.73:                               ;   in Loop: Header=BB37_14 Depth=3
	v_mov_b32_e32 v5, s51
	v_add_co_u32_e32 v15, vcc, s50, v15
	v_addc_co_u32_e32 v16, vcc, v5, v16, vcc
	global_load_dwordx2 v[15:16], v[15:16], off
	s_waitcnt vmcnt(0)
	v_sub_f32_e32 v5, v15, v13
	v_sub_f32_e32 v15, v16, v14
	v_cmp_gt_f32_e32 vcc, 0, v5
	v_cndmask_b32_e64 v5, v5, -v5, vcc
	v_cmp_gt_f32_e32 vcc, 0, v15
	v_cndmask_b32_e64 v13, v15, -v15, vcc
	v_cmp_ngt_f32_e32 vcc, v5, v13
                                        ; implicit-def: $vgpr14
	s_and_saveexec_b64 s[26:27], vcc
	s_xor_b64 s[60:61], exec, s[26:27]
	s_cbranch_execnz .LBB37_113
; %bb.74:                               ;   in Loop: Header=BB37_14 Depth=3
	s_andn2_saveexec_b64 s[60:61], s[60:61]
	s_cbranch_execnz .LBB37_116
.LBB37_75:                              ;   in Loop: Header=BB37_14 Depth=3
	s_or_b64 exec, exec, s[60:61]
	v_cmp_class_f32_e64 s[60:61], v14, s3
	s_and_saveexec_b64 s[26:27], s[60:61]
.LBB37_76:                              ;   in Loop: Header=BB37_14 Depth=3
	v_cmp_lt_f32_e32 vcc, v22, v14
	v_cndmask_b32_e32 v22, v22, v14, vcc
.LBB37_77:                              ;   in Loop: Header=BB37_14 Depth=3
	s_or_b64 exec, exec, s[26:27]
.LBB37_78:                              ;   in Loop: Header=BB37_14 Depth=3
	s_or_b64 exec, exec, s[76:77]
.LBB37_79:                              ;   in Loop: Header=BB37_14 Depth=3
	s_or_b64 exec, exec, s[78:79]
.LBB37_80:                              ;   in Loop: Header=BB37_14 Depth=3
	s_or_b64 exec, exec, s[74:75]
	s_or_b64 exec, exec, s[94:95]
	s_and_b64 s[26:27], s[30:31], s[28:29]
	s_and_saveexec_b64 s[28:29], s[26:27]
	s_cbranch_execz .LBB37_13
.LBB37_81:                              ;   in Loop: Header=BB37_14 Depth=3
	v_cmp_ge_i32_e32 vcc, v12, v36
	s_and_saveexec_b64 s[26:27], vcc
	s_xor_b64 s[26:27], exec, s[26:27]
	s_cbranch_execnz .LBB37_88
; %bb.82:                               ;   in Loop: Header=BB37_14 Depth=3
	s_andn2_saveexec_b64 s[26:27], s[26:27]
	s_cbranch_execnz .LBB37_102
.LBB37_83:                              ;   in Loop: Header=BB37_14 Depth=3
	s_or_b64 exec, exec, s[26:27]
	v_cmp_eq_u32_e32 vcc, v3, v7
	s_and_saveexec_b64 s[26:27], vcc
	s_cbranch_execz .LBB37_85
.LBB37_84:                              ;   in Loop: Header=BB37_14 Depth=3
	v_lshlrev_b64 v[7:8], 3, v[7:8]
	v_mov_b32_e32 v1, s65
	v_add_co_u32_e32 v7, vcc, s64, v7
	v_addc_co_u32_e32 v8, vcc, v1, v8, vcc
	global_load_dwordx2 v[7:8], v[7:8], off
	s_waitcnt vmcnt(0)
	v_add_f32_e32 v34, v34, v7
	v_add_f32_e32 v35, v35, v8
.LBB37_85:                              ;   in Loop: Header=BB37_14 Depth=3
	s_or_b64 exec, exec, s[26:27]
	v_sub_f32_e32 v1, v9, v34
	v_sub_f32_e32 v8, v10, v35
	v_cmp_gt_f32_e32 vcc, 0, v1
	v_cndmask_b32_e64 v1, v1, -v1, vcc
	v_cmp_gt_f32_e32 vcc, 0, v8
	v_cndmask_b32_e64 v5, v8, -v8, vcc
	v_cmp_ngt_f32_e32 vcc, v1, v5
                                        ; implicit-def: $vgpr7
	s_and_saveexec_b64 s[26:27], vcc
	s_xor_b64 s[60:61], exec, s[26:27]
	s_cbranch_execnz .LBB37_93
; %bb.86:                               ;   in Loop: Header=BB37_14 Depth=3
	s_andn2_saveexec_b64 s[60:61], s[60:61]
	s_cbranch_execnz .LBB37_96
.LBB37_87:                              ;   in Loop: Header=BB37_14 Depth=3
	s_or_b64 exec, exec, s[60:61]
	v_cmp_class_f32_e64 s[60:61], v7, s3
	s_and_saveexec_b64 s[26:27], s[60:61]
	s_cbranch_execz .LBB37_12
	s_branch .LBB37_97
.LBB37_88:                              ;   in Loop: Header=BB37_14 Depth=3
	v_cmp_lt_i32_e32 vcc, v1, v29
	s_and_saveexec_b64 s[74:75], vcc
	s_cbranch_execz .LBB37_101
; %bb.89:                               ;   in Loop: Header=BB37_14 Depth=3
	s_mov_b64 s[78:79], 0
                                        ; implicit-def: $sgpr76_sgpr77
                                        ; implicit-def: $sgpr60_sgpr61
                                        ; implicit-def: $sgpr70_sgpr71
	s_branch .LBB37_91
.LBB37_90:                              ;   in Loop: Header=BB37_91 Depth=4
	s_or_b64 exec, exec, s[62:63]
	s_and_b64 s[62:63], exec, s[60:61]
	s_or_b64 s[78:79], s[62:63], s[78:79]
	s_andn2_b64 s[62:63], s[76:77], exec
	s_and_b64 s[76:77], s[70:71], exec
	s_or_b64 s[76:77], s[62:63], s[76:77]
	s_andn2_b64 exec, exec, s[78:79]
	s_cbranch_execz .LBB37_98
.LBB37_91:                              ;   Parent Loop BB37_5 Depth=1
                                        ;     Parent Loop BB37_9 Depth=2
                                        ;       Parent Loop BB37_14 Depth=3
                                        ; =>      This Inner Loop Header: Depth=4
	v_add_u32_e32 v11, v6, v1
	v_ashrrev_i32_e32 v12, 31, v11
	v_lshlrev_b64 v[13:14], 2, v[11:12]
	v_mov_b32_e32 v5, s49
	v_add_co_u32_e32 v13, vcc, s48, v13
	v_addc_co_u32_e32 v14, vcc, v5, v14, vcc
	global_load_dword v5, v[13:14], off
	s_or_b64 s[70:71], s[70:71], exec
	s_or_b64 s[60:61], s[60:61], exec
	s_waitcnt vmcnt(0)
	v_subrev_u32_e32 v5, s1, v5
	v_cmp_ne_u32_e32 vcc, v5, v7
	s_and_saveexec_b64 s[62:63], vcc
	s_cbranch_execz .LBB37_90
; %bb.92:                               ;   in Loop: Header=BB37_91 Depth=4
	v_add_u32_e32 v1, 1, v1
	v_cmp_ge_i32_e32 vcc, v1, v29
	s_andn2_b64 s[60:61], s[60:61], exec
	s_and_b64 s[84:85], vcc, exec
	s_andn2_b64 s[70:71], s[70:71], exec
	s_or_b64 s[60:61], s[60:61], s[84:85]
	s_branch .LBB37_90
.LBB37_93:                              ;   in Loop: Header=BB37_14 Depth=3
	v_mov_b32_e32 v7, 0
	v_cmp_neq_f32_e32 vcc, 0, v8
	s_and_saveexec_b64 s[62:63], vcc
	s_cbranch_execz .LBB37_95
; %bb.94:                               ;   in Loop: Header=BB37_14 Depth=3
	v_div_scale_f32 v7, s[26:27], v5, v5, v1
	v_div_scale_f32 v8, vcc, v1, v5, v1
	v_rcp_f32_e32 v9, v7
	v_fma_f32 v10, -v7, v9, 1.0
	v_fmac_f32_e32 v9, v10, v9
	v_mul_f32_e32 v10, v8, v9
	v_fma_f32 v11, -v7, v10, v8
	v_fmac_f32_e32 v10, v11, v9
	v_fma_f32 v7, -v7, v10, v8
	v_div_fmas_f32 v7, v7, v9, v10
	v_div_fixup_f32 v1, v7, v5, v1
	v_fma_f32 v1, v1, v1, 1.0
	v_mul_f32_e32 v7, 0x4f800000, v1
	v_cmp_gt_f32_e32 vcc, s2, v1
	v_cndmask_b32_e32 v1, v1, v7, vcc
	v_sqrt_f32_e32 v7, v1
	v_add_u32_e32 v8, -1, v7
	v_add_u32_e32 v9, 1, v7
	v_fma_f32 v10, -v8, v7, v1
	v_fma_f32 v11, -v9, v7, v1
	v_cmp_ge_f32_e64 s[26:27], 0, v10
	v_cndmask_b32_e64 v7, v7, v8, s[26:27]
	v_cmp_lt_f32_e64 s[26:27], 0, v11
	v_cndmask_b32_e64 v7, v7, v9, s[26:27]
	v_mul_f32_e32 v8, 0x37800000, v7
	v_cndmask_b32_e32 v7, v7, v8, vcc
	v_cmp_class_f32_e32 vcc, v1, v27
	v_cndmask_b32_e32 v1, v7, v1, vcc
	v_mul_f32_e32 v7, v5, v1
.LBB37_95:                              ;   in Loop: Header=BB37_14 Depth=3
	s_or_b64 exec, exec, s[62:63]
                                        ; implicit-def: $vgpr1
                                        ; implicit-def: $vgpr5
	s_andn2_saveexec_b64 s[60:61], s[60:61]
	s_cbranch_execz .LBB37_87
.LBB37_96:                              ;   in Loop: Header=BB37_14 Depth=3
	v_div_scale_f32 v7, s[26:27], v1, v1, v5
	v_div_scale_f32 v8, vcc, v5, v1, v5
	v_rcp_f32_e32 v9, v7
	v_fma_f32 v10, -v7, v9, 1.0
	v_fmac_f32_e32 v9, v10, v9
	v_mul_f32_e32 v10, v8, v9
	v_fma_f32 v11, -v7, v10, v8
	v_fmac_f32_e32 v10, v11, v9
	v_fma_f32 v7, -v7, v10, v8
	v_div_fmas_f32 v7, v7, v9, v10
	v_div_fixup_f32 v5, v7, v1, v5
	v_fma_f32 v5, v5, v5, 1.0
	v_mul_f32_e32 v7, 0x4f800000, v5
	v_cmp_gt_f32_e32 vcc, s2, v5
	v_cndmask_b32_e32 v5, v5, v7, vcc
	v_sqrt_f32_e32 v7, v5
	v_add_u32_e32 v8, -1, v7
	v_add_u32_e32 v9, 1, v7
	v_fma_f32 v10, -v8, v7, v5
	v_fma_f32 v11, -v9, v7, v5
	v_cmp_ge_f32_e64 s[26:27], 0, v10
	v_cndmask_b32_e64 v7, v7, v8, s[26:27]
	v_cmp_lt_f32_e64 s[26:27], 0, v11
	v_cndmask_b32_e64 v7, v7, v9, s[26:27]
	v_mul_f32_e32 v8, 0x37800000, v7
	v_cndmask_b32_e32 v7, v7, v8, vcc
	v_cmp_class_f32_e32 vcc, v5, v27
	v_cndmask_b32_e32 v5, v7, v5, vcc
	v_mul_f32_e32 v7, v1, v5
	s_or_b64 exec, exec, s[60:61]
	v_cmp_class_f32_e64 s[60:61], v7, s3
	s_and_saveexec_b64 s[26:27], s[60:61]
	s_cbranch_execz .LBB37_12
.LBB37_97:                              ;   in Loop: Header=BB37_14 Depth=3
	v_cmp_lt_f32_e32 vcc, v18, v7
	v_cndmask_b32_e32 v18, v18, v7, vcc
	s_branch .LBB37_12
.LBB37_98:                              ;   in Loop: Header=BB37_14 Depth=3
	s_or_b64 exec, exec, s[78:79]
	s_and_saveexec_b64 s[60:61], s[76:77]
	s_xor_b64 s[60:61], exec, s[60:61]
	s_cbranch_execz .LBB37_100
; %bb.99:                               ;   in Loop: Header=BB37_14 Depth=3
	v_lshlrev_b64 v[11:12], 3, v[11:12]
	v_mov_b32_e32 v1, s51
	v_add_co_u32_e32 v11, vcc, s50, v11
	v_lshlrev_b64 v[13:14], 3, v[7:8]
	v_addc_co_u32_e32 v12, vcc, v1, v12, vcc
	v_mov_b32_e32 v1, s65
	v_add_co_u32_e32 v13, vcc, s64, v13
	v_addc_co_u32_e32 v14, vcc, v1, v14, vcc
	global_load_dwordx2 v[11:12], v[11:12], off
	s_nop 0
	global_load_dwordx2 v[13:14], v[13:14], off
	s_waitcnt vmcnt(0)
	v_mul_f32_e64 v1, v14, -v12
	v_mul_f32_e32 v5, v14, v11
	v_fmac_f32_e32 v1, v11, v13
	v_fmac_f32_e32 v5, v12, v13
	v_add_f32_e32 v34, v34, v1
	v_add_f32_e32 v35, v35, v5
.LBB37_100:                             ;   in Loop: Header=BB37_14 Depth=3
	s_or_b64 exec, exec, s[60:61]
.LBB37_101:                             ;   in Loop: Header=BB37_14 Depth=3
	s_or_b64 exec, exec, s[74:75]
                                        ; implicit-def: $vgpr12
                                        ; implicit-def: $vgpr11
                                        ; implicit-def: $vgpr36
	s_andn2_saveexec_b64 s[26:27], s[26:27]
	s_cbranch_execz .LBB37_83
.LBB37_102:                             ;   in Loop: Header=BB37_14 Depth=3
	s_mov_b64 s[76:77], 0
                                        ; implicit-def: $sgpr74_sgpr75
                                        ; implicit-def: $sgpr60_sgpr61
                                        ; implicit-def: $sgpr70_sgpr71
	s_branch .LBB37_104
.LBB37_103:                             ;   in Loop: Header=BB37_104 Depth=4
	s_or_b64 exec, exec, s[62:63]
	s_and_b64 s[62:63], exec, s[60:61]
	s_or_b64 s[76:77], s[62:63], s[76:77]
	s_andn2_b64 s[62:63], s[74:75], exec
	s_and_b64 s[74:75], s[70:71], exec
	s_or_b64 s[74:75], s[62:63], s[74:75]
	s_andn2_b64 exec, exec, s[76:77]
	s_cbranch_execz .LBB37_106
.LBB37_104:                             ;   Parent Loop BB37_5 Depth=1
                                        ;     Parent Loop BB37_9 Depth=2
                                        ;       Parent Loop BB37_14 Depth=3
                                        ; =>      This Inner Loop Header: Depth=4
	v_add_u32_e32 v13, v11, v12
	v_ashrrev_i32_e32 v14, 31, v13
	v_lshlrev_b64 v[15:16], 2, v[13:14]
	v_mov_b32_e32 v1, s41
	v_add_co_u32_e32 v15, vcc, s40, v15
	v_addc_co_u32_e32 v16, vcc, v1, v16, vcc
	global_load_dword v1, v[15:16], off
	s_or_b64 s[70:71], s[70:71], exec
	s_or_b64 s[60:61], s[60:61], exec
	s_waitcnt vmcnt(0)
	v_subrev_u32_e32 v1, s4, v1
	v_cmp_ne_u32_e32 vcc, v1, v3
	s_and_saveexec_b64 s[62:63], vcc
	s_cbranch_execz .LBB37_103
; %bb.105:                              ;   in Loop: Header=BB37_104 Depth=4
	v_add_u32_e32 v12, 1, v12
	v_cmp_ge_i32_e32 vcc, v12, v36
	s_andn2_b64 s[60:61], s[60:61], exec
	s_and_b64 s[78:79], vcc, exec
	s_andn2_b64 s[70:71], s[70:71], exec
	s_or_b64 s[60:61], s[60:61], s[78:79]
	s_branch .LBB37_103
.LBB37_106:                             ;   in Loop: Header=BB37_14 Depth=3
	s_or_b64 exec, exec, s[76:77]
	s_and_saveexec_b64 s[60:61], s[74:75]
	s_xor_b64 s[60:61], exec, s[60:61]
	s_cbranch_execz .LBB37_108
; %bb.107:                              ;   in Loop: Header=BB37_14 Depth=3
	v_lshlrev_b64 v[11:12], 3, v[13:14]
	v_mov_b32_e32 v1, s43
	v_add_co_u32_e32 v11, vcc, s42, v11
	v_addc_co_u32_e32 v12, vcc, v1, v12, vcc
	global_load_dwordx2 v[11:12], v[11:12], off
	s_waitcnt vmcnt(0)
	v_add_f32_e32 v34, v34, v11
	v_add_f32_e32 v35, v35, v12
.LBB37_108:                             ;   in Loop: Header=BB37_14 Depth=3
	s_or_b64 exec, exec, s[60:61]
	s_or_b64 exec, exec, s[26:27]
	v_cmp_eq_u32_e32 vcc, v3, v7
	s_and_saveexec_b64 s[26:27], vcc
	s_cbranch_execnz .LBB37_84
	s_branch .LBB37_85
.LBB37_109:                             ;   in Loop: Header=BB37_14 Depth=3
	v_mov_b32_e32 v14, 0
	v_cmp_neq_f32_e32 vcc, 0, v15
	s_and_saveexec_b64 s[62:63], vcc
	s_cbranch_execz .LBB37_111
; %bb.110:                              ;   in Loop: Header=BB37_14 Depth=3
	v_div_scale_f32 v14, s[26:27], v13, v13, v5
	v_div_scale_f32 v15, vcc, v5, v13, v5
	v_rcp_f32_e32 v16, v14
	v_fma_f32 v37, -v14, v16, 1.0
	v_fmac_f32_e32 v16, v37, v16
	v_mul_f32_e32 v37, v15, v16
	v_fma_f32 v38, -v14, v37, v15
	v_fmac_f32_e32 v37, v38, v16
	v_fma_f32 v14, -v14, v37, v15
	v_div_fmas_f32 v14, v14, v16, v37
	v_div_fixup_f32 v5, v14, v13, v5
	v_fma_f32 v5, v5, v5, 1.0
	v_mul_f32_e32 v14, 0x4f800000, v5
	v_cmp_gt_f32_e32 vcc, s2, v5
	v_cndmask_b32_e32 v5, v5, v14, vcc
	v_sqrt_f32_e32 v14, v5
	v_add_u32_e32 v15, -1, v14
	v_add_u32_e32 v16, 1, v14
	v_fma_f32 v37, -v15, v14, v5
	v_fma_f32 v38, -v16, v14, v5
	v_cmp_ge_f32_e64 s[26:27], 0, v37
	v_cndmask_b32_e64 v14, v14, v15, s[26:27]
	v_cmp_lt_f32_e64 s[26:27], 0, v38
	v_cndmask_b32_e64 v14, v14, v16, s[26:27]
	v_mul_f32_e32 v15, 0x37800000, v14
	v_cndmask_b32_e32 v14, v14, v15, vcc
	v_cmp_class_f32_e32 vcc, v5, v27
	v_cndmask_b32_e32 v5, v14, v5, vcc
	v_mul_f32_e32 v14, v13, v5
.LBB37_111:                             ;   in Loop: Header=BB37_14 Depth=3
	s_or_b64 exec, exec, s[62:63]
                                        ; implicit-def: $vgpr5
                                        ; implicit-def: $vgpr13
	s_andn2_saveexec_b64 s[60:61], s[60:61]
	s_cbranch_execz .LBB37_45
.LBB37_112:                             ;   in Loop: Header=BB37_14 Depth=3
	v_div_scale_f32 v14, s[26:27], v5, v5, v13
	v_div_scale_f32 v15, vcc, v13, v5, v13
	v_rcp_f32_e32 v16, v14
	v_fma_f32 v37, -v14, v16, 1.0
	v_fmac_f32_e32 v16, v37, v16
	v_mul_f32_e32 v37, v15, v16
	v_fma_f32 v38, -v14, v37, v15
	v_fmac_f32_e32 v37, v38, v16
	v_fma_f32 v14, -v14, v37, v15
	v_div_fmas_f32 v14, v14, v16, v37
	v_div_fixup_f32 v13, v14, v5, v13
	v_fma_f32 v13, v13, v13, 1.0
	v_mul_f32_e32 v14, 0x4f800000, v13
	v_cmp_gt_f32_e32 vcc, s2, v13
	v_cndmask_b32_e32 v13, v13, v14, vcc
	v_sqrt_f32_e32 v14, v13
	v_add_u32_e32 v15, -1, v14
	v_add_u32_e32 v16, 1, v14
	v_fma_f32 v37, -v15, v14, v13
	v_fma_f32 v38, -v16, v14, v13
	v_cmp_ge_f32_e64 s[26:27], 0, v37
	v_cndmask_b32_e64 v14, v14, v15, s[26:27]
	v_cmp_lt_f32_e64 s[26:27], 0, v38
	v_cndmask_b32_e64 v14, v14, v16, s[26:27]
	v_mul_f32_e32 v15, 0x37800000, v14
	v_cndmask_b32_e32 v14, v14, v15, vcc
	v_cmp_class_f32_e32 vcc, v13, v27
	v_cndmask_b32_e32 v13, v14, v13, vcc
	v_mul_f32_e32 v14, v5, v13
	s_or_b64 exec, exec, s[60:61]
	v_cmp_class_f32_e64 s[60:61], v14, s3
	s_and_saveexec_b64 s[26:27], s[60:61]
	s_cbranch_execnz .LBB37_46
	s_branch .LBB37_47
.LBB37_113:                             ;   in Loop: Header=BB37_14 Depth=3
	v_mov_b32_e32 v14, 0
	v_cmp_neq_f32_e32 vcc, 0, v15
	s_and_saveexec_b64 s[62:63], vcc
	s_cbranch_execz .LBB37_115
; %bb.114:                              ;   in Loop: Header=BB37_14 Depth=3
	v_div_scale_f32 v14, s[26:27], v13, v13, v5
	v_div_scale_f32 v15, vcc, v5, v13, v5
	v_rcp_f32_e32 v16, v14
	v_fma_f32 v37, -v14, v16, 1.0
	v_fmac_f32_e32 v16, v37, v16
	v_mul_f32_e32 v37, v15, v16
	v_fma_f32 v38, -v14, v37, v15
	v_fmac_f32_e32 v37, v38, v16
	v_fma_f32 v14, -v14, v37, v15
	v_div_fmas_f32 v14, v14, v16, v37
	v_div_fixup_f32 v5, v14, v13, v5
	v_fma_f32 v5, v5, v5, 1.0
	v_mul_f32_e32 v14, 0x4f800000, v5
	v_cmp_gt_f32_e32 vcc, s2, v5
	v_cndmask_b32_e32 v5, v5, v14, vcc
	v_sqrt_f32_e32 v14, v5
	v_add_u32_e32 v15, -1, v14
	v_add_u32_e32 v16, 1, v14
	v_fma_f32 v37, -v15, v14, v5
	v_fma_f32 v38, -v16, v14, v5
	v_cmp_ge_f32_e64 s[26:27], 0, v37
	v_cndmask_b32_e64 v14, v14, v15, s[26:27]
	v_cmp_lt_f32_e64 s[26:27], 0, v38
	v_cndmask_b32_e64 v14, v14, v16, s[26:27]
	v_mul_f32_e32 v15, 0x37800000, v14
	v_cndmask_b32_e32 v14, v14, v15, vcc
	v_cmp_class_f32_e32 vcc, v5, v27
	v_cndmask_b32_e32 v5, v14, v5, vcc
	v_mul_f32_e32 v14, v13, v5
.LBB37_115:                             ;   in Loop: Header=BB37_14 Depth=3
	s_or_b64 exec, exec, s[62:63]
                                        ; implicit-def: $vgpr5
                                        ; implicit-def: $vgpr13
	s_andn2_saveexec_b64 s[60:61], s[60:61]
	s_cbranch_execz .LBB37_75
.LBB37_116:                             ;   in Loop: Header=BB37_14 Depth=3
	v_div_scale_f32 v14, s[26:27], v5, v5, v13
	v_div_scale_f32 v15, vcc, v13, v5, v13
	v_rcp_f32_e32 v16, v14
	v_fma_f32 v37, -v14, v16, 1.0
	v_fmac_f32_e32 v16, v37, v16
	v_mul_f32_e32 v37, v15, v16
	v_fma_f32 v38, -v14, v37, v15
	v_fmac_f32_e32 v37, v38, v16
	v_fma_f32 v14, -v14, v37, v15
	v_div_fmas_f32 v14, v14, v16, v37
	v_div_fixup_f32 v13, v14, v5, v13
	v_fma_f32 v13, v13, v13, 1.0
	v_mul_f32_e32 v14, 0x4f800000, v13
	v_cmp_gt_f32_e32 vcc, s2, v13
	v_cndmask_b32_e32 v13, v13, v14, vcc
	v_sqrt_f32_e32 v14, v13
	v_add_u32_e32 v15, -1, v14
	v_add_u32_e32 v16, 1, v14
	v_fma_f32 v37, -v15, v14, v13
	v_fma_f32 v38, -v16, v14, v13
	v_cmp_ge_f32_e64 s[26:27], 0, v37
	v_cndmask_b32_e64 v14, v14, v15, s[26:27]
	v_cmp_lt_f32_e64 s[26:27], 0, v38
	v_cndmask_b32_e64 v14, v14, v16, s[26:27]
	v_mul_f32_e32 v15, 0x37800000, v14
	v_cndmask_b32_e32 v14, v14, v15, vcc
	v_cmp_class_f32_e32 vcc, v13, v27
	v_cndmask_b32_e32 v13, v14, v13, vcc
	v_mul_f32_e32 v14, v5, v13
	s_or_b64 exec, exec, s[60:61]
	v_cmp_class_f32_e64 s[60:61], v14, s3
	s_and_saveexec_b64 s[26:27], s[60:61]
	s_cbranch_execnz .LBB37_76
	s_branch .LBB37_77
.LBB37_117:                             ;   in Loop: Header=BB37_14 Depth=3
	v_mov_b32_e32 v14, 0
	v_cmp_neq_f32_e32 vcc, 0, v15
	s_and_saveexec_b64 s[62:63], vcc
	s_cbranch_execz .LBB37_119
; %bb.118:                              ;   in Loop: Header=BB37_14 Depth=3
	v_div_scale_f32 v14, s[26:27], v13, v13, v5
	v_div_scale_f32 v15, vcc, v5, v13, v5
	v_rcp_f32_e32 v16, v14
	v_fma_f32 v37, -v14, v16, 1.0
	v_fmac_f32_e32 v16, v37, v16
	v_mul_f32_e32 v37, v15, v16
	v_fma_f32 v38, -v14, v37, v15
	v_fmac_f32_e32 v37, v38, v16
	v_fma_f32 v14, -v14, v37, v15
	v_div_fmas_f32 v14, v14, v16, v37
	v_div_fixup_f32 v5, v14, v13, v5
	v_fma_f32 v5, v5, v5, 1.0
	v_mul_f32_e32 v14, 0x4f800000, v5
	v_cmp_gt_f32_e32 vcc, s2, v5
	v_cndmask_b32_e32 v5, v5, v14, vcc
	v_sqrt_f32_e32 v14, v5
	v_add_u32_e32 v15, -1, v14
	v_add_u32_e32 v16, 1, v14
	v_fma_f32 v37, -v15, v14, v5
	v_fma_f32 v38, -v16, v14, v5
	v_cmp_ge_f32_e64 s[26:27], 0, v37
	v_cndmask_b32_e64 v14, v14, v15, s[26:27]
	v_cmp_lt_f32_e64 s[26:27], 0, v38
	v_cndmask_b32_e64 v14, v14, v16, s[26:27]
	v_mul_f32_e32 v15, 0x37800000, v14
	v_cndmask_b32_e32 v14, v14, v15, vcc
	v_cmp_class_f32_e32 vcc, v5, v27
	v_cndmask_b32_e32 v5, v14, v5, vcc
	v_mul_f32_e32 v14, v13, v5
.LBB37_119:                             ;   in Loop: Header=BB37_14 Depth=3
	s_or_b64 exec, exec, s[62:63]
                                        ; implicit-def: $vgpr5
                                        ; implicit-def: $vgpr13
	s_andn2_saveexec_b64 s[60:61], s[60:61]
	s_cbranch_execz .LBB37_59
.LBB37_120:                             ;   in Loop: Header=BB37_14 Depth=3
	v_div_scale_f32 v14, s[26:27], v5, v5, v13
	v_div_scale_f32 v15, vcc, v13, v5, v13
	v_rcp_f32_e32 v16, v14
	v_fma_f32 v37, -v14, v16, 1.0
	v_fmac_f32_e32 v16, v37, v16
	v_mul_f32_e32 v37, v15, v16
	v_fma_f32 v38, -v14, v37, v15
	v_fmac_f32_e32 v37, v38, v16
	v_fma_f32 v14, -v14, v37, v15
	v_div_fmas_f32 v14, v14, v16, v37
	v_div_fixup_f32 v13, v14, v5, v13
	v_fma_f32 v13, v13, v13, 1.0
	v_mul_f32_e32 v14, 0x4f800000, v13
	v_cmp_gt_f32_e32 vcc, s2, v13
	v_cndmask_b32_e32 v13, v13, v14, vcc
	v_sqrt_f32_e32 v14, v13
	v_add_u32_e32 v15, -1, v14
	v_add_u32_e32 v16, 1, v14
	v_fma_f32 v37, -v15, v14, v13
	v_fma_f32 v38, -v16, v14, v13
	v_cmp_ge_f32_e64 s[26:27], 0, v37
	v_cndmask_b32_e64 v14, v14, v15, s[26:27]
	v_cmp_lt_f32_e64 s[26:27], 0, v38
	v_cndmask_b32_e64 v14, v14, v16, s[26:27]
	v_mul_f32_e32 v15, 0x37800000, v14
	v_cndmask_b32_e32 v14, v14, v15, vcc
	v_cmp_class_f32_e32 vcc, v13, v27
	v_cndmask_b32_e32 v13, v14, v13, vcc
	v_mul_f32_e32 v14, v5, v13
	s_or_b64 exec, exec, s[60:61]
	v_cmp_class_f32_e64 s[60:61], v14, s3
	s_and_saveexec_b64 s[26:27], s[60:61]
	s_cbranch_execnz .LBB37_60
	s_branch .LBB37_61
.LBB37_121:                             ;   in Loop: Header=BB37_5 Depth=1
	s_and_b64 vcc, exec, s[34:35]
	s_cbranch_vccz .LBB37_141
; %bb.122:                              ;   in Loop: Header=BB37_5 Depth=1
	v_mov_b32_dpp v1, v22 row_shr:1 row_mask:0xf bank_mask:0xf
	v_cmp_lt_f32_e32 vcc, v22, v1
	v_cndmask_b32_e32 v1, v22, v1, vcc
	s_nop 1
	v_mov_b32_dpp v3, v1 row_shr:2 row_mask:0xf bank_mask:0xf
	s_mov_b64 s[24:25], exec
	v_readlane_b32 s6, v43, 12
	v_readlane_b32 s7, v43, 13
	s_and_b64 s[6:7], s[24:25], s[6:7]
	s_mov_b64 exec, s[6:7]
; %bb.123:                              ;   in Loop: Header=BB37_5 Depth=1
	v_cmp_lt_f32_e32 vcc, v1, v3
	v_cndmask_b32_e32 v1, v1, v3, vcc
	ds_write_b32 v24, v1
; %bb.124:                              ;   in Loop: Header=BB37_5 Depth=1
	s_or_b64 exec, exec, s[24:25]
	s_waitcnt vmcnt(0) lgkmcnt(0)
	s_barrier
	s_mov_b64 s[24:25], exec
	v_readlane_b32 s6, v43, 14
	v_readlane_b32 s7, v43, 15
	s_and_b64 s[6:7], s[24:25], s[6:7]
	s_mov_b64 exec, s[6:7]
	s_cbranch_execz .LBB37_126
; %bb.125:                              ;   in Loop: Header=BB37_5 Depth=1
	ds_read2st64_b32 v[3:4], v17 offset1:2
	s_waitcnt lgkmcnt(0)
	v_cmp_lt_f32_e32 vcc, v3, v4
	v_cndmask_b32_e32 v1, v3, v4, vcc
	ds_write_b32 v17, v1
.LBB37_126:                             ;   in Loop: Header=BB37_5 Depth=1
	s_or_b64 exec, exec, s[24:25]
	s_waitcnt lgkmcnt(0)
	s_barrier
	s_and_saveexec_b64 s[24:25], s[8:9]
	s_cbranch_execz .LBB37_128
; %bb.127:                              ;   in Loop: Header=BB37_5 Depth=1
	ds_read2st64_b32 v[3:4], v17 offset1:1
	s_waitcnt lgkmcnt(0)
	v_cmp_lt_f32_e32 vcc, v3, v4
	v_cndmask_b32_e32 v1, v3, v4, vcc
	ds_write_b32 v17, v1
.LBB37_128:                             ;   in Loop: Header=BB37_5 Depth=1
	s_or_b64 exec, exec, s[24:25]
	s_waitcnt lgkmcnt(0)
	s_barrier
	s_and_saveexec_b64 s[24:25], s[10:11]
	s_cbranch_execz .LBB37_130
; %bb.129:                              ;   in Loop: Header=BB37_5 Depth=1
	ds_read2_b32 v[3:4], v17 offset1:32
	s_waitcnt lgkmcnt(0)
	v_cmp_lt_f32_e32 vcc, v3, v4
	v_cndmask_b32_e32 v1, v3, v4, vcc
	ds_write_b32 v17, v1
.LBB37_130:                             ;   in Loop: Header=BB37_5 Depth=1
	s_or_b64 exec, exec, s[24:25]
	s_waitcnt lgkmcnt(0)
	s_barrier
	s_and_saveexec_b64 s[24:25], s[12:13]
	s_cbranch_execz .LBB37_132
; %bb.131:                              ;   in Loop: Header=BB37_5 Depth=1
	ds_read2_b32 v[3:4], v17 offset1:16
	s_waitcnt lgkmcnt(0)
	v_cmp_lt_f32_e32 vcc, v3, v4
	v_cndmask_b32_e32 v1, v3, v4, vcc
	ds_write_b32 v17, v1
.LBB37_132:                             ;   in Loop: Header=BB37_5 Depth=1
	;; [unrolled: 12-line block ×5, first 2 shown]
	s_or_b64 exec, exec, s[24:25]
	s_waitcnt lgkmcnt(0)
	s_barrier
	s_and_saveexec_b64 s[24:25], s[20:21]
	s_cbranch_execz .LBB37_140
; %bb.139:                              ;   in Loop: Header=BB37_5 Depth=1
	ds_read_b64 v[3:4], v2
	s_waitcnt lgkmcnt(0)
	v_cmp_lt_f32_e32 vcc, v3, v4
	v_cndmask_b32_e32 v1, v3, v4, vcc
	ds_write_b32 v2, v1
.LBB37_140:                             ;   in Loop: Header=BB37_5 Depth=1
	s_or_b64 exec, exec, s[24:25]
	v_readlane_b32 s6, v43, 4
	v_readlane_b32 s7, v43, 5
	s_waitcnt lgkmcnt(0)
	s_barrier
	ds_read_b32 v1, v2
	s_load_dword s24, s[6:7], 0x0
	s_waitcnt lgkmcnt(0)
	v_div_scale_f32 v3, s[6:7], s24, s24, v1
	v_div_scale_f32 v4, vcc, v1, s24, v1
	v_rcp_f32_e32 v5, v3
	v_fma_f32 v6, -v3, v5, 1.0
	v_fmac_f32_e32 v5, v6, v5
	v_mul_f32_e32 v6, v4, v5
	v_fma_f32 v7, -v3, v6, v4
	v_fmac_f32_e32 v6, v7, v5
	v_fma_f32 v3, -v3, v6, v4
	v_div_fmas_f32 v3, v3, v5, v6
	v_div_fixup_f32 v22, v3, s24, v1
.LBB37_141:                             ;   in Loop: Header=BB37_5 Depth=1
	s_andn2_b64 vcc, exec, s[30:31]
	s_cbranch_vccnz .LBB37_161
; %bb.142:                              ;   in Loop: Header=BB37_5 Depth=1
	v_mov_b32_dpp v1, v18 row_shr:1 row_mask:0xf bank_mask:0xf
	v_cmp_lt_f32_e32 vcc, v18, v1
	v_cndmask_b32_e32 v1, v18, v1, vcc
	s_nop 1
	v_mov_b32_dpp v3, v1 row_shr:2 row_mask:0xf bank_mask:0xf
	s_mov_b64 s[24:25], exec
	v_readlane_b32 s6, v43, 12
	v_readlane_b32 s7, v43, 13
	s_and_b64 s[6:7], s[24:25], s[6:7]
	s_mov_b64 exec, s[6:7]
; %bb.143:                              ;   in Loop: Header=BB37_5 Depth=1
	v_cmp_lt_f32_e32 vcc, v1, v3
	v_cndmask_b32_e32 v1, v1, v3, vcc
	ds_write_b32 v24, v1
; %bb.144:                              ;   in Loop: Header=BB37_5 Depth=1
	s_or_b64 exec, exec, s[24:25]
	s_waitcnt vmcnt(0) lgkmcnt(0)
	s_barrier
	s_mov_b64 s[24:25], exec
	v_readlane_b32 s6, v43, 14
	v_readlane_b32 s7, v43, 15
	s_and_b64 s[6:7], s[24:25], s[6:7]
	s_mov_b64 exec, s[6:7]
	s_cbranch_execz .LBB37_146
; %bb.145:                              ;   in Loop: Header=BB37_5 Depth=1
	ds_read2st64_b32 v[3:4], v17 offset1:2
	s_waitcnt lgkmcnt(0)
	v_cmp_lt_f32_e32 vcc, v3, v4
	v_cndmask_b32_e32 v1, v3, v4, vcc
	ds_write_b32 v17, v1
.LBB37_146:                             ;   in Loop: Header=BB37_5 Depth=1
	s_or_b64 exec, exec, s[24:25]
	s_waitcnt lgkmcnt(0)
	s_barrier
	s_and_saveexec_b64 s[24:25], s[8:9]
	s_cbranch_execz .LBB37_148
; %bb.147:                              ;   in Loop: Header=BB37_5 Depth=1
	ds_read2st64_b32 v[3:4], v17 offset1:1
	s_waitcnt lgkmcnt(0)
	v_cmp_lt_f32_e32 vcc, v3, v4
	v_cndmask_b32_e32 v1, v3, v4, vcc
	ds_write_b32 v17, v1
.LBB37_148:                             ;   in Loop: Header=BB37_5 Depth=1
	s_or_b64 exec, exec, s[24:25]
	s_waitcnt lgkmcnt(0)
	s_barrier
	s_and_saveexec_b64 s[24:25], s[10:11]
	s_cbranch_execz .LBB37_150
; %bb.149:                              ;   in Loop: Header=BB37_5 Depth=1
	ds_read2_b32 v[3:4], v17 offset1:32
	s_waitcnt lgkmcnt(0)
	v_cmp_lt_f32_e32 vcc, v3, v4
	v_cndmask_b32_e32 v1, v3, v4, vcc
	ds_write_b32 v17, v1
.LBB37_150:                             ;   in Loop: Header=BB37_5 Depth=1
	s_or_b64 exec, exec, s[24:25]
	s_waitcnt lgkmcnt(0)
	s_barrier
	s_and_saveexec_b64 s[24:25], s[12:13]
	s_cbranch_execz .LBB37_152
; %bb.151:                              ;   in Loop: Header=BB37_5 Depth=1
	ds_read2_b32 v[3:4], v17 offset1:16
	s_waitcnt lgkmcnt(0)
	v_cmp_lt_f32_e32 vcc, v3, v4
	v_cndmask_b32_e32 v1, v3, v4, vcc
	ds_write_b32 v17, v1
.LBB37_152:                             ;   in Loop: Header=BB37_5 Depth=1
	;; [unrolled: 12-line block ×5, first 2 shown]
	s_or_b64 exec, exec, s[24:25]
	s_waitcnt lgkmcnt(0)
	s_barrier
	s_and_saveexec_b64 s[24:25], s[20:21]
	s_cbranch_execz .LBB37_160
; %bb.159:                              ;   in Loop: Header=BB37_5 Depth=1
	ds_read_b64 v[3:4], v2
	s_waitcnt lgkmcnt(0)
	v_cmp_lt_f32_e32 vcc, v3, v4
	v_cndmask_b32_e32 v1, v3, v4, vcc
	ds_write_b32 v2, v1
.LBB37_160:                             ;   in Loop: Header=BB37_5 Depth=1
	s_or_b64 exec, exec, s[24:25]
	v_readlane_b32 s6, v43, 4
	v_readlane_b32 s7, v43, 5
	s_waitcnt lgkmcnt(0)
	s_barrier
	ds_read_b32 v1, v2
	s_load_dword s24, s[6:7], 0x0
	s_waitcnt lgkmcnt(0)
	v_div_scale_f32 v3, s[6:7], s24, s24, v1
	v_div_scale_f32 v4, vcc, v1, s24, v1
	v_rcp_f32_e32 v5, v3
	v_fma_f32 v6, -v3, v5, 1.0
	v_fmac_f32_e32 v5, v6, v5
	v_mul_f32_e32 v6, v4, v5
	v_fma_f32 v7, -v3, v6, v4
	v_fmac_f32_e32 v6, v7, v5
	v_fma_f32 v3, -v3, v6, v4
	v_div_fmas_f32 v3, v3, v5, v6
	v_div_fixup_f32 v18, v3, s24, v1
.LBB37_161:                             ;   in Loop: Header=BB37_5 Depth=1
	s_mov_b64 s[24:25], exec
	v_readlane_b32 s6, v43, 10
	v_readlane_b32 s7, v43, 11
	s_and_b64 s[6:7], s[24:25], s[6:7]
	s_mov_b64 exec, s[6:7]
	s_cbranch_execz .LBB37_173
; %bb.162:                              ;   in Loop: Header=BB37_5 Depth=1
	s_mov_b64 s[26:27], 0
	v_mov_b32_e32 v3, v21
	s_branch .LBB37_164
.LBB37_163:                             ;   in Loop: Header=BB37_164 Depth=2
	s_or_b64 exec, exec, s[28:29]
	v_add_u32_e32 v3, 0x100, v3
	v_cmp_le_u32_e32 vcc, s5, v3
	s_or_b64 s[26:27], vcc, s[26:27]
	s_andn2_b64 exec, exec, s[26:27]
	s_cbranch_execz .LBB37_173
.LBB37_164:                             ;   Parent Loop BB37_5 Depth=1
                                        ; =>  This Loop Header: Depth=2
                                        ;       Child Loop BB37_167 Depth 3
                                        ;       Child Loop BB37_170 Depth 3
	v_cmp_gt_i32_e32 vcc, s73, v3
	s_and_saveexec_b64 s[28:29], vcc
	s_cbranch_execz .LBB37_163
; %bb.165:                              ;   in Loop: Header=BB37_164 Depth=2
	v_ashrrev_i32_e32 v4, 31, v3
	v_lshlrev_b64 v[5:6], 2, v[3:4]
	v_mov_b32_e32 v1, s45
	v_add_co_u32_e32 v7, vcc, s44, v5
	v_addc_co_u32_e32 v8, vcc, v1, v6, vcc
	global_load_dword v1, v[7:8], off
	v_mov_b32_e32 v8, s47
	v_add_co_u32_e32 v7, vcc, s46, v5
	v_addc_co_u32_e32 v8, vcc, v8, v6, vcc
	global_load_dword v8, v[7:8], off
	s_waitcnt vmcnt(1)
	v_add_u32_e32 v7, v25, v1
	s_waitcnt vmcnt(0)
	v_subrev_u32_e32 v1, s1, v8
	v_cmp_lt_i32_e32 vcc, v7, v1
	s_and_saveexec_b64 s[60:61], vcc
	s_cbranch_execz .LBB37_168
; %bb.166:                              ;   in Loop: Header=BB37_164 Depth=2
	v_ashrrev_i32_e32 v8, 31, v7
	v_lshlrev_b64 v[10:11], 3, v[7:8]
	v_mov_b32_e32 v9, s81
	v_add_co_u32_e32 v8, vcc, s80, v10
	v_addc_co_u32_e32 v9, vcc, v9, v11, vcc
	v_mov_b32_e32 v12, s51
	v_add_co_u32_e32 v10, vcc, s50, v10
	v_addc_co_u32_e32 v11, vcc, v12, v11, vcc
	s_mov_b64 s[62:63], 0
.LBB37_167:                             ;   Parent Loop BB37_5 Depth=1
                                        ;     Parent Loop BB37_164 Depth=2
                                        ; =>    This Inner Loop Header: Depth=3
	global_load_dwordx2 v[12:13], v[8:9], off
	v_add_co_u32_e32 v8, vcc, 32, v8
	v_add_u32_e32 v7, 4, v7
	v_addc_co_u32_e32 v9, vcc, 0, v9, vcc
	v_cmp_ge_i32_e32 vcc, v7, v1
	s_or_b64 s[62:63], vcc, s[62:63]
	s_waitcnt vmcnt(0)
	global_store_dwordx2 v[10:11], v[12:13], off
	v_add_co_u32_e32 v10, vcc, 32, v10
	v_addc_co_u32_e32 v11, vcc, 0, v11, vcc
	s_andn2_b64 exec, exec, s[62:63]
	s_cbranch_execnz .LBB37_167
.LBB37_168:                             ;   in Loop: Header=BB37_164 Depth=2
	s_or_b64 exec, exec, s[60:61]
	v_mov_b32_e32 v1, s37
	v_add_co_u32_e32 v7, vcc, s36, v5
	v_addc_co_u32_e32 v8, vcc, v1, v6, vcc
	global_load_dword v1, v[7:8], off
	v_mov_b32_e32 v7, s39
	v_add_co_u32_e32 v5, vcc, s38, v5
	v_addc_co_u32_e32 v6, vcc, v7, v6, vcc
	global_load_dword v6, v[5:6], off
	s_waitcnt vmcnt(1)
	v_add_u32_e32 v5, v26, v1
	s_waitcnt vmcnt(0)
	v_subrev_u32_e32 v1, s4, v6
	v_cmp_lt_i32_e32 vcc, v5, v1
	s_and_saveexec_b64 s[60:61], vcc
	s_cbranch_execz .LBB37_171
; %bb.169:                              ;   in Loop: Header=BB37_164 Depth=2
	v_ashrrev_i32_e32 v6, 31, v5
	v_lshlrev_b64 v[8:9], 3, v[5:6]
	v_mov_b32_e32 v7, s83
	v_add_co_u32_e32 v6, vcc, s82, v8
	v_addc_co_u32_e32 v7, vcc, v7, v9, vcc
	v_mov_b32_e32 v10, s43
	v_add_co_u32_e32 v8, vcc, s42, v8
	v_addc_co_u32_e32 v9, vcc, v10, v9, vcc
	s_mov_b64 s[62:63], 0
.LBB37_170:                             ;   Parent Loop BB37_5 Depth=1
                                        ;     Parent Loop BB37_164 Depth=2
                                        ; =>    This Inner Loop Header: Depth=3
	global_load_dwordx2 v[10:11], v[6:7], off
	v_add_co_u32_e32 v6, vcc, 32, v6
	v_add_u32_e32 v5, 4, v5
	v_addc_co_u32_e32 v7, vcc, 0, v7, vcc
	v_cmp_ge_i32_e32 vcc, v5, v1
	s_or_b64 s[62:63], vcc, s[62:63]
	s_waitcnt vmcnt(0)
	global_store_dwordx2 v[8:9], v[10:11], off
	v_add_co_u32_e32 v8, vcc, 32, v8
	v_addc_co_u32_e32 v9, vcc, 0, v9, vcc
	s_andn2_b64 exec, exec, s[62:63]
	s_cbranch_execnz .LBB37_170
.LBB37_171:                             ;   in Loop: Header=BB37_164 Depth=2
	s_or_b64 exec, exec, s[60:61]
	s_and_b64 exec, exec, s[22:23]
	s_cbranch_execz .LBB37_163
; %bb.172:                              ;   in Loop: Header=BB37_164 Depth=2
	v_lshlrev_b64 v[4:5], 3, v[3:4]
	v_mov_b32_e32 v1, s67
	v_add_co_u32_e32 v6, vcc, s66, v4
	v_addc_co_u32_e32 v7, vcc, v1, v5, vcc
	global_load_dwordx2 v[6:7], v[6:7], off
	v_mov_b32_e32 v1, s65
	v_add_co_u32_e32 v4, vcc, s64, v4
	v_addc_co_u32_e32 v5, vcc, v1, v5, vcc
	s_waitcnt vmcnt(0)
	global_store_dwordx2 v[4:5], v[6:7], off
	s_branch .LBB37_163
.LBB37_173:                             ;   in Loop: Header=BB37_5 Depth=1
	s_or_b64 exec, exec, s[24:25]
	s_mov_b64 s[26:27], -1
	s_and_b64 vcc, exec, s[68:69]
	s_mov_b64 s[28:29], -1
	s_cbranch_vccz .LBB37_183
; %bb.174:                              ;   in Loop: Header=BB37_5 Depth=1
	v_readlane_b32 s6, v43, 16
	v_readlane_b32 s7, v43, 17
	s_mov_b64 s[24:25], -1
	s_and_b64 vcc, exec, s[6:7]
                                        ; implicit-def: $sgpr28_sgpr29
	s_cbranch_vccz .LBB37_180
; %bb.175:                              ;   in Loop: Header=BB37_5 Depth=1
	v_readlane_b32 s6, v43, 6
	v_readlane_b32 s7, v43, 7
	s_and_b64 vcc, exec, s[6:7]
                                        ; implicit-def: $sgpr28_sgpr29
	s_cbranch_vccz .LBB37_177
; %bb.176:                              ;   in Loop: Header=BB37_5 Depth=1
	v_cmp_ge_f32_e64 s[28:29], s72, v18
	s_mov_b64 s[24:25], 0
.LBB37_177:                             ;   in Loop: Header=BB37_5 Depth=1
	s_andn2_b64 vcc, exec, s[24:25]
	s_cbranch_vccnz .LBB37_179
; %bb.178:                              ;   in Loop: Header=BB37_5 Depth=1
	v_cmp_ge_f32_e32 vcc, s72, v22
	s_andn2_b64 s[6:7], s[28:29], exec
	s_and_b64 s[24:25], vcc, exec
	s_or_b64 s[28:29], s[6:7], s[24:25]
.LBB37_179:                             ;   in Loop: Header=BB37_5 Depth=1
	s_mov_b64 s[24:25], 0
.LBB37_180:                             ;   in Loop: Header=BB37_5 Depth=1
	s_andn2_b64 vcc, exec, s[24:25]
	s_cbranch_vccnz .LBB37_182
; %bb.181:                              ;   in Loop: Header=BB37_5 Depth=1
	v_cmp_ge_f32_e32 vcc, s72, v22
	v_cmp_ge_f32_e64 s[24:25], s72, v18
	s_and_b64 s[6:7], vcc, s[24:25]
	s_andn2_b64 s[24:25], s[28:29], exec
	s_and_b64 s[6:7], s[6:7], exec
	s_or_b64 s[28:29], s[24:25], s[6:7]
.LBB37_182:                             ;   in Loop: Header=BB37_5 Depth=1
	s_xor_b64 s[28:29], s[28:29], -1
.LBB37_183:                             ;   in Loop: Header=BB37_5 Depth=1
	v_mov_b32_e32 v1, s33
	s_and_saveexec_b64 s[24:25], s[28:29]
	s_cbranch_execz .LBB37_4
; %bb.184:                              ;   in Loop: Header=BB37_5 Depth=1
	v_readlane_b32 s6, v43, 0
	s_add_i32 s33, s33, 1
	v_readlane_b32 s7, v43, 1
	s_cmp_eq_u32 s33, s7
	s_mov_b32 s27, s7
	s_cselect_b64 s[6:7], -1, 0
	v_mov_b32_e32 v1, s27
	s_orn2_b64 s[26:27], s[6:7], exec
	s_branch .LBB37_4
.LBB37_185:
	s_or_b64 exec, exec, s[86:87]
	v_readlane_b32 s12, v43, 8
	v_readlane_b32 s13, v43, 9
	s_load_dwordx4 s[8:11], s[12:13], 0xb8
	v_readlane_b32 s2, v43, 2
	v_readlane_b32 s3, v43, 3
	s_or_b64 exec, exec, s[2:3]
	s_andn2_b64 vcc, exec, s[68:69]
	s_cbranch_vccnz .LBB37_2
.LBB37_186:
	v_mov_b32_dpp v2, v1 row_shr:1 row_mask:0xf bank_mask:0xf
	v_max_i32_e32 v1, v1, v2
	v_cmp_eq_u32_e32 vcc, 3, v20
	s_nop 0
	v_mov_b32_dpp v2, v1 row_shr:2 row_mask:0xf bank_mask:0xf
	s_and_saveexec_b64 s[0:1], vcc
; %bb.187:
	v_lshlrev_b32_e32 v3, 2, v19
	v_max_i32_e32 v1, v1, v2
	ds_write_b32 v3, v1 offset:1024
; %bb.188:
	s_or_b64 exec, exec, s[0:1]
	s_movk_i32 s0, 0x80
	v_cmp_gt_u32_e32 vcc, s0, v0
	s_waitcnt vmcnt(0) lgkmcnt(0)
	s_barrier
	s_and_saveexec_b64 s[0:1], vcc
	s_cbranch_execz .LBB37_190
; %bb.189:
	ds_read2st64_b32 v[1:2], v17 offset0:4 offset1:6
	s_waitcnt lgkmcnt(0)
	v_max_i32_e32 v1, v1, v2
	ds_write_b32 v17, v1 offset:1024
.LBB37_190:
	s_or_b64 exec, exec, s[0:1]
	v_cmp_gt_u32_e32 vcc, 64, v0
	s_waitcnt lgkmcnt(0)
	s_barrier
	s_and_saveexec_b64 s[0:1], vcc
	s_cbranch_execz .LBB37_192
; %bb.191:
	ds_read2st64_b32 v[1:2], v17 offset0:4 offset1:5
	s_waitcnt lgkmcnt(0)
	v_max_i32_e32 v1, v1, v2
	ds_write_b32 v17, v1 offset:1024
.LBB37_192:
	s_or_b64 exec, exec, s[0:1]
	v_cmp_gt_u32_e32 vcc, 32, v0
	s_waitcnt lgkmcnt(0)
	s_barrier
	s_and_saveexec_b64 s[0:1], vcc
	s_cbranch_execz .LBB37_194
; %bb.193:
	v_add_u32_e32 v1, 0x400, v17
	ds_read2_b32 v[1:2], v1 offset1:32
	s_waitcnt lgkmcnt(0)
	v_max_i32_e32 v1, v1, v2
	ds_write_b32 v17, v1 offset:1024
.LBB37_194:
	s_or_b64 exec, exec, s[0:1]
	v_cmp_gt_u32_e32 vcc, 16, v0
	s_waitcnt lgkmcnt(0)
	s_barrier
	s_and_saveexec_b64 s[0:1], vcc
	s_cbranch_execz .LBB37_196
; %bb.195:
	v_add_u32_e32 v1, 0x400, v17
	ds_read2_b32 v[1:2], v1 offset1:16
	s_waitcnt lgkmcnt(0)
	v_max_i32_e32 v1, v1, v2
	ds_write_b32 v17, v1 offset:1024
.LBB37_196:
	;; [unrolled: 13-line block ×5, first 2 shown]
	s_or_b64 exec, exec, s[0:1]
	v_cmp_eq_u32_e32 vcc, 0, v0
	s_waitcnt lgkmcnt(0)
	s_barrier
	s_and_saveexec_b64 s[0:1], vcc
	s_cbranch_execz .LBB37_204
; %bb.203:
	v_mov_b32_e32 v3, 0
	ds_read_b64 v[1:2], v3 offset:1024
	s_waitcnt lgkmcnt(0)
	v_max_i32_e32 v1, v1, v2
	ds_write_b32 v3, v1 offset:1024
.LBB37_204:
	s_or_b64 exec, exec, s[0:1]
	s_waitcnt lgkmcnt(0)
	s_barrier
	s_and_saveexec_b64 s[0:1], vcc
	s_cbranch_execz .LBB37_207
; %bb.205:
	v_mbcnt_lo_u32_b32 v1, exec_lo, 0
	v_mbcnt_hi_u32_b32 v1, exec_hi, v1
	v_cmp_eq_u32_e32 vcc, 0, v1
	s_and_b64 exec, exec, vcc
	s_cbranch_execz .LBB37_207
; %bb.206:
	v_mov_b32_e32 v1, 0
	ds_read_b32 v2, v1 offset:1024
	s_load_dwordx2 s[2:3], s[12:13], 0x8
	s_waitcnt lgkmcnt(0)
	v_add_u32_e32 v2, 1, v2
	global_atomic_smax v1, v2, s[2:3]
.LBB37_207:
	s_or_b64 exec, exec, s[0:1]
	v_cmp_eq_u32_e32 vcc, 0, v0
	s_and_b64 s[0:1], vcc, s[34:35]
	s_and_saveexec_b64 s[2:3], s[0:1]
	s_cbranch_execz .LBB37_214
.LBB37_208:
	s_mov_b64 s[0:1], exec
	v_mov_b32_e32 v0, 0x7fc00000
.LBB37_209:                             ; =>This Inner Loop Header: Depth=1
	s_ff1_i32_b64 s4, s[0:1]
	v_readlane_b32 s6, v22, s4
	s_lshl_b64 s[4:5], 1, s4
	v_max_f32_e32 v0, v0, v0
	v_max_f32_e64 v1, s6, s6
	s_andn2_b64 s[0:1], s[0:1], s[4:5]
	s_cmp_lg_u64 s[0:1], 0
	v_max_f32_e32 v0, v0, v1
	s_cbranch_scc1 .LBB37_209
; %bb.210:
	v_mbcnt_lo_u32_b32 v1, exec_lo, 0
	v_mbcnt_hi_u32_b32 v1, exec_hi, v1
	v_cmp_eq_u32_e64 s[0:1], 0, v1
	s_and_saveexec_b64 s[4:5], s[0:1]
	s_xor_b64 s[4:5], exec, s[4:5]
	s_cbranch_execz .LBB37_214
; %bb.211:
	v_mov_b32_e32 v2, 0
	s_waitcnt lgkmcnt(0)
	global_load_dword v1, v2, s[8:9]
	s_mov_b64 s[4:5], 0
	v_max_f32_e32 v3, v0, v0
.LBB37_212:                             ; =>This Inner Loop Header: Depth=1
	s_waitcnt vmcnt(0)
	v_max_f32_e32 v0, v1, v1
	v_max_f32_e32 v0, v0, v3
	global_atomic_cmpswap v0, v2, v[0:1], s[8:9] glc
	s_waitcnt vmcnt(0)
	v_cmp_eq_u32_e64 s[0:1], v0, v1
	s_or_b64 s[4:5], s[0:1], s[4:5]
	v_mov_b32_e32 v1, v0
	s_andn2_b64 exec, exec, s[4:5]
	s_cbranch_execnz .LBB37_212
; %bb.213:
	s_or_b64 exec, exec, s[4:5]
.LBB37_214:
	s_or_b64 exec, exec, s[2:3]
	s_and_b64 s[0:1], vcc, s[30:31]
	s_and_saveexec_b64 s[2:3], s[0:1]
	s_cbranch_execz .LBB37_220
; %bb.215:
	s_mov_b64 s[0:1], exec
	v_mov_b32_e32 v0, 0x7fc00000
.LBB37_216:                             ; =>This Inner Loop Header: Depth=1
	s_ff1_i32_b64 s2, s[0:1]
	v_readlane_b32 s4, v18, s2
	s_lshl_b64 s[2:3], 1, s2
	v_max_f32_e32 v0, v0, v0
	v_max_f32_e64 v1, s4, s4
	s_andn2_b64 s[0:1], s[0:1], s[2:3]
	s_cmp_lg_u64 s[0:1], 0
	v_max_f32_e32 v0, v0, v1
	s_cbranch_scc1 .LBB37_216
; %bb.217:
	v_mbcnt_lo_u32_b32 v1, exec_lo, 0
	v_mbcnt_hi_u32_b32 v1, exec_hi, v1
	v_cmp_eq_u32_e32 vcc, 0, v1
	s_and_saveexec_b64 s[0:1], vcc
	s_xor_b64 s[0:1], exec, s[0:1]
	s_cbranch_execz .LBB37_220
; %bb.218:
	v_mov_b32_e32 v2, 0
	s_waitcnt lgkmcnt(0)
	global_load_dword v1, v2, s[10:11]
	s_mov_b64 s[0:1], 0
	v_max_f32_e32 v3, v0, v0
.LBB37_219:                             ; =>This Inner Loop Header: Depth=1
	s_waitcnt vmcnt(0)
	v_max_f32_e32 v0, v1, v1
	v_max_f32_e32 v0, v0, v3
	global_atomic_cmpswap v0, v2, v[0:1], s[10:11] glc
	s_waitcnt vmcnt(0)
	v_cmp_eq_u32_e32 vcc, v0, v1
	s_or_b64 s[0:1], vcc, s[0:1]
	v_mov_b32_e32 v1, v0
	s_andn2_b64 exec, exec, s[0:1]
	s_cbranch_execnz .LBB37_219
.LBB37_220:
	s_endpgm
	.section	.rodata,"a",@progbits
	.p2align	6, 0x0
	.amdhsa_kernel _ZN9rocsparseL6kernelILi1024ELi4E21rocsparse_complex_numIfEiiEEvbbbT3_PS3_NS_15floating_traitsIT1_E6data_tES3_T2_PKS9_SB_PKS3_PKS6_21rocsparse_index_base_SB_SB_SD_PS6_SH_SG_SB_SB_SD_SH_SH_SG_SH_SH_PS8_SI_PKS8_
		.amdhsa_group_segment_fixed_size 2048
		.amdhsa_private_segment_fixed_size 0
		.amdhsa_kernarg_size 208
		.amdhsa_user_sgpr_count 6
		.amdhsa_user_sgpr_private_segment_buffer 1
		.amdhsa_user_sgpr_dispatch_ptr 0
		.amdhsa_user_sgpr_queue_ptr 0
		.amdhsa_user_sgpr_kernarg_segment_ptr 1
		.amdhsa_user_sgpr_dispatch_id 0
		.amdhsa_user_sgpr_flat_scratch_init 0
		.amdhsa_user_sgpr_private_segment_size 0
		.amdhsa_uses_dynamic_stack 0
		.amdhsa_system_sgpr_private_segment_wavefront_offset 0
		.amdhsa_system_sgpr_workgroup_id_x 1
		.amdhsa_system_sgpr_workgroup_id_y 0
		.amdhsa_system_sgpr_workgroup_id_z 0
		.amdhsa_system_sgpr_workgroup_info 0
		.amdhsa_system_vgpr_workitem_id 0
		.amdhsa_next_free_vgpr 44
		.amdhsa_next_free_sgpr 96
		.amdhsa_reserve_vcc 1
		.amdhsa_reserve_flat_scratch 0
		.amdhsa_float_round_mode_32 0
		.amdhsa_float_round_mode_16_64 0
		.amdhsa_float_denorm_mode_32 3
		.amdhsa_float_denorm_mode_16_64 3
		.amdhsa_dx10_clamp 1
		.amdhsa_ieee_mode 1
		.amdhsa_fp16_overflow 0
		.amdhsa_exception_fp_ieee_invalid_op 0
		.amdhsa_exception_fp_denorm_src 0
		.amdhsa_exception_fp_ieee_div_zero 0
		.amdhsa_exception_fp_ieee_overflow 0
		.amdhsa_exception_fp_ieee_underflow 0
		.amdhsa_exception_fp_ieee_inexact 0
		.amdhsa_exception_int_div_zero 0
	.end_amdhsa_kernel
	.section	.text._ZN9rocsparseL6kernelILi1024ELi4E21rocsparse_complex_numIfEiiEEvbbbT3_PS3_NS_15floating_traitsIT1_E6data_tES3_T2_PKS9_SB_PKS3_PKS6_21rocsparse_index_base_SB_SB_SD_PS6_SH_SG_SB_SB_SD_SH_SH_SG_SH_SH_PS8_SI_PKS8_,"axG",@progbits,_ZN9rocsparseL6kernelILi1024ELi4E21rocsparse_complex_numIfEiiEEvbbbT3_PS3_NS_15floating_traitsIT1_E6data_tES3_T2_PKS9_SB_PKS3_PKS6_21rocsparse_index_base_SB_SB_SD_PS6_SH_SG_SB_SB_SD_SH_SH_SG_SH_SH_PS8_SI_PKS8_,comdat
.Lfunc_end37:
	.size	_ZN9rocsparseL6kernelILi1024ELi4E21rocsparse_complex_numIfEiiEEvbbbT3_PS3_NS_15floating_traitsIT1_E6data_tES3_T2_PKS9_SB_PKS3_PKS6_21rocsparse_index_base_SB_SB_SD_PS6_SH_SG_SB_SB_SD_SH_SH_SG_SH_SH_PS8_SI_PKS8_, .Lfunc_end37-_ZN9rocsparseL6kernelILi1024ELi4E21rocsparse_complex_numIfEiiEEvbbbT3_PS3_NS_15floating_traitsIT1_E6data_tES3_T2_PKS9_SB_PKS3_PKS6_21rocsparse_index_base_SB_SB_SD_PS6_SH_SG_SB_SB_SD_SH_SH_SG_SH_SH_PS8_SI_PKS8_
                                        ; -- End function
	.set _ZN9rocsparseL6kernelILi1024ELi4E21rocsparse_complex_numIfEiiEEvbbbT3_PS3_NS_15floating_traitsIT1_E6data_tES3_T2_PKS9_SB_PKS3_PKS6_21rocsparse_index_base_SB_SB_SD_PS6_SH_SG_SB_SB_SD_SH_SH_SG_SH_SH_PS8_SI_PKS8_.num_vgpr, 44
	.set _ZN9rocsparseL6kernelILi1024ELi4E21rocsparse_complex_numIfEiiEEvbbbT3_PS3_NS_15floating_traitsIT1_E6data_tES3_T2_PKS9_SB_PKS3_PKS6_21rocsparse_index_base_SB_SB_SD_PS6_SH_SG_SB_SB_SD_SH_SH_SG_SH_SH_PS8_SI_PKS8_.num_agpr, 0
	.set _ZN9rocsparseL6kernelILi1024ELi4E21rocsparse_complex_numIfEiiEEvbbbT3_PS3_NS_15floating_traitsIT1_E6data_tES3_T2_PKS9_SB_PKS3_PKS6_21rocsparse_index_base_SB_SB_SD_PS6_SH_SG_SB_SB_SD_SH_SH_SG_SH_SH_PS8_SI_PKS8_.numbered_sgpr, 96
	.set _ZN9rocsparseL6kernelILi1024ELi4E21rocsparse_complex_numIfEiiEEvbbbT3_PS3_NS_15floating_traitsIT1_E6data_tES3_T2_PKS9_SB_PKS3_PKS6_21rocsparse_index_base_SB_SB_SD_PS6_SH_SG_SB_SB_SD_SH_SH_SG_SH_SH_PS8_SI_PKS8_.num_named_barrier, 0
	.set _ZN9rocsparseL6kernelILi1024ELi4E21rocsparse_complex_numIfEiiEEvbbbT3_PS3_NS_15floating_traitsIT1_E6data_tES3_T2_PKS9_SB_PKS3_PKS6_21rocsparse_index_base_SB_SB_SD_PS6_SH_SG_SB_SB_SD_SH_SH_SG_SH_SH_PS8_SI_PKS8_.private_seg_size, 0
	.set _ZN9rocsparseL6kernelILi1024ELi4E21rocsparse_complex_numIfEiiEEvbbbT3_PS3_NS_15floating_traitsIT1_E6data_tES3_T2_PKS9_SB_PKS3_PKS6_21rocsparse_index_base_SB_SB_SD_PS6_SH_SG_SB_SB_SD_SH_SH_SG_SH_SH_PS8_SI_PKS8_.uses_vcc, 1
	.set _ZN9rocsparseL6kernelILi1024ELi4E21rocsparse_complex_numIfEiiEEvbbbT3_PS3_NS_15floating_traitsIT1_E6data_tES3_T2_PKS9_SB_PKS3_PKS6_21rocsparse_index_base_SB_SB_SD_PS6_SH_SG_SB_SB_SD_SH_SH_SG_SH_SH_PS8_SI_PKS8_.uses_flat_scratch, 0
	.set _ZN9rocsparseL6kernelILi1024ELi4E21rocsparse_complex_numIfEiiEEvbbbT3_PS3_NS_15floating_traitsIT1_E6data_tES3_T2_PKS9_SB_PKS3_PKS6_21rocsparse_index_base_SB_SB_SD_PS6_SH_SG_SB_SB_SD_SH_SH_SG_SH_SH_PS8_SI_PKS8_.has_dyn_sized_stack, 0
	.set _ZN9rocsparseL6kernelILi1024ELi4E21rocsparse_complex_numIfEiiEEvbbbT3_PS3_NS_15floating_traitsIT1_E6data_tES3_T2_PKS9_SB_PKS3_PKS6_21rocsparse_index_base_SB_SB_SD_PS6_SH_SG_SB_SB_SD_SH_SH_SG_SH_SH_PS8_SI_PKS8_.has_recursion, 0
	.set _ZN9rocsparseL6kernelILi1024ELi4E21rocsparse_complex_numIfEiiEEvbbbT3_PS3_NS_15floating_traitsIT1_E6data_tES3_T2_PKS9_SB_PKS3_PKS6_21rocsparse_index_base_SB_SB_SD_PS6_SH_SG_SB_SB_SD_SH_SH_SG_SH_SH_PS8_SI_PKS8_.has_indirect_call, 0
	.section	.AMDGPU.csdata,"",@progbits
; Kernel info:
; codeLenInByte = 8544
; TotalNumSgprs: 100
; NumVgprs: 44
; ScratchSize: 0
; MemoryBound: 0
; FloatMode: 240
; IeeeMode: 1
; LDSByteSize: 2048 bytes/workgroup (compile time only)
; SGPRBlocks: 12
; VGPRBlocks: 10
; NumSGPRsForWavesPerEU: 100
; NumVGPRsForWavesPerEU: 44
; Occupancy: 5
; WaveLimiterHint : 1
; COMPUTE_PGM_RSRC2:SCRATCH_EN: 0
; COMPUTE_PGM_RSRC2:USER_SGPR: 6
; COMPUTE_PGM_RSRC2:TRAP_HANDLER: 0
; COMPUTE_PGM_RSRC2:TGID_X_EN: 1
; COMPUTE_PGM_RSRC2:TGID_Y_EN: 0
; COMPUTE_PGM_RSRC2:TGID_Z_EN: 0
; COMPUTE_PGM_RSRC2:TIDIG_COMP_CNT: 0
	.section	.text._ZN9rocsparseL6kernelILi1024ELi8E21rocsparse_complex_numIfEiiEEvbbbT3_PS3_NS_15floating_traitsIT1_E6data_tES3_T2_PKS9_SB_PKS3_PKS6_21rocsparse_index_base_SB_SB_SD_PS6_SH_SG_SB_SB_SD_SH_SH_SG_SH_SH_PS8_SI_PKS8_,"axG",@progbits,_ZN9rocsparseL6kernelILi1024ELi8E21rocsparse_complex_numIfEiiEEvbbbT3_PS3_NS_15floating_traitsIT1_E6data_tES3_T2_PKS9_SB_PKS3_PKS6_21rocsparse_index_base_SB_SB_SD_PS6_SH_SG_SB_SB_SD_SH_SH_SG_SH_SH_PS8_SI_PKS8_,comdat
	.globl	_ZN9rocsparseL6kernelILi1024ELi8E21rocsparse_complex_numIfEiiEEvbbbT3_PS3_NS_15floating_traitsIT1_E6data_tES3_T2_PKS9_SB_PKS3_PKS6_21rocsparse_index_base_SB_SB_SD_PS6_SH_SG_SB_SB_SD_SH_SH_SG_SH_SH_PS8_SI_PKS8_ ; -- Begin function _ZN9rocsparseL6kernelILi1024ELi8E21rocsparse_complex_numIfEiiEEvbbbT3_PS3_NS_15floating_traitsIT1_E6data_tES3_T2_PKS9_SB_PKS3_PKS6_21rocsparse_index_base_SB_SB_SD_PS6_SH_SG_SB_SB_SD_SH_SH_SG_SH_SH_PS8_SI_PKS8_
	.p2align	8
	.type	_ZN9rocsparseL6kernelILi1024ELi8E21rocsparse_complex_numIfEiiEEvbbbT3_PS3_NS_15floating_traitsIT1_E6data_tES3_T2_PKS9_SB_PKS3_PKS6_21rocsparse_index_base_SB_SB_SD_PS6_SH_SG_SB_SB_SD_SH_SH_SG_SH_SH_PS8_SI_PKS8_,@function
_ZN9rocsparseL6kernelILi1024ELi8E21rocsparse_complex_numIfEiiEEvbbbT3_PS3_NS_15floating_traitsIT1_E6data_tES3_T2_PKS9_SB_PKS3_PKS6_21rocsparse_index_base_SB_SB_SD_PS6_SH_SG_SB_SB_SD_SH_SH_SG_SH_SH_PS8_SI_PKS8_: ; @_ZN9rocsparseL6kernelILi1024ELi8E21rocsparse_complex_numIfEiiEEvbbbT3_PS3_NS_15floating_traitsIT1_E6data_tES3_T2_PKS9_SB_PKS3_PKS6_21rocsparse_index_base_SB_SB_SD_PS6_SH_SG_SB_SB_SD_SH_SH_SG_SH_SH_PS8_SI_PKS8_
; %bb.0:
	s_load_dword s0, s[4:5], 0x0
	s_load_dwordx2 s[12:13], s[4:5], 0x0
	s_load_dwordx2 s[70:71], s[4:5], 0x10
	s_load_dwordx4 s[8:11], s[4:5], 0xb8
	v_lshrrev_b32_e32 v18, 3, v0
	s_waitcnt lgkmcnt(0)
	s_bitcmp1_b32 s0, 0
	s_cselect_b64 s[66:67], -1, 0
	s_bitcmp1_b32 s0, 8
	s_cselect_b64 s[64:65], -1, 0
	;; [unrolled: 2-line block ×3, first 2 shown]
	s_lshl_b32 s1, s6, 10
	s_mov_b32 s3, s13
                                        ; implicit-def: $vgpr43 : SGPR spill to VGPR lane
	v_or_b32_e32 v21, s1, v18
	v_writelane_b32 v43, s2, 0
	s_cmp_gt_i32 s13, 0
	v_cmp_gt_i32_e32 vcc, s71, v21
	v_writelane_b32 v43, s3, 1
	s_cselect_b64 s[2:3], -1, 0
	v_and_b32_e32 v20, 7, v0
	v_lshlrev_b32_e32 v17, 2, v0
	s_mov_b32 s30, 0
	v_mov_b32_e32 v1, 0
	s_and_b64 s[2:3], s[2:3], vcc
	v_mov_b32_e32 v22, 0
	v_mov_b32_e32 v19, 0
	ds_write_b32 v17, v1
	s_waitcnt lgkmcnt(0)
	s_barrier
	s_and_saveexec_b64 s[6:7], s[2:3]
	s_cbranch_execnz .LBB38_3
; %bb.1:
	s_or_b64 exec, exec, s[6:7]
	s_andn2_b64 vcc, exec, s[66:67]
	s_cbranch_vccz .LBB38_182
.LBB38_2:
	v_cmp_eq_u32_e32 vcc, 0, v0
	s_and_b64 s[0:1], vcc, s[64:65]
	s_and_saveexec_b64 s[2:3], s[0:1]
	s_cbranch_execnz .LBB38_202
	s_branch .LBB38_208
.LBB38_3:
	s_load_dwordx2 s[2:3], s[4:5], 0xc8
	v_writelane_b32 v43, s6, 2
	v_writelane_b32 v43, s7, 3
	s_addk_i32 s1, 0x400
	s_load_dwordx4 s[60:63], s[4:5], 0xa8
	s_load_dwordx8 s[36:43], s[4:5], 0x78
	s_waitcnt lgkmcnt(0)
	v_writelane_b32 v43, s2, 4
	v_writelane_b32 v43, s3, 5
	s_xor_b64 s[2:3], s[64:65], -1
	v_writelane_b32 v43, s2, 6
	v_writelane_b32 v43, s3, 7
	v_cmp_gt_u32_e64 s[2:3], s1, v21
	v_writelane_b32 v43, s2, 8
	v_writelane_b32 v43, s3, 9
	v_cmp_eq_u32_e64 s[2:3], 7, v20
	v_writelane_b32 v43, s2, 10
	v_writelane_b32 v43, s3, 11
	s_and_b64 s[2:3], s[64:65], s[34:35]
	s_xor_b64 s[2:3], s[2:3], -1
	v_writelane_b32 v43, s2, 12
	s_load_dword s31, s[4:5], 0x40
	s_load_dwordx2 s[78:79], s[4:5], 0x68
	s_load_dword s33, s[4:5], 0x70
	s_load_dwordx2 s[80:81], s[4:5], 0x98
	s_load_dword s0, s[4:5], 0xa0
	v_writelane_b32 v43, s3, 13
	s_mov_b64 s[2:3], s[4:5]
	s_load_dwordx8 s[44:51], s[2:3], 0x48
	v_writelane_b32 v43, s2, 14
	s_load_dwordx8 s[52:59], s[2:3], 0x20
	s_waitcnt lgkmcnt(0)
	v_subrev_u32_e32 v23, s31, v20
	v_lshlrev_b32_e32 v24, 2, v18
	v_cmp_gt_u32_e64 s[6:7], 64, v0
	v_cmp_gt_u32_e64 s[8:9], 32, v0
	;; [unrolled: 1-line block ×6, first 2 shown]
	v_cmp_eq_u32_e64 s[18:19], 0, v0
	v_subrev_u32_e32 v25, s33, v20
	v_subrev_u32_e32 v26, s0, v20
	v_cmp_eq_u32_e64 s[20:21], 0, v20
	v_mov_b32_e32 v2, 0
	s_mov_b64 s[84:85], 0
	s_mov_b32 s4, 0xf800000
	v_mov_b32_e32 v27, 0x260
	s_movk_i32 s5, 0x1f8
	v_mov_b32_e32 v19, 0
	v_mov_b32_e32 v22, 0
	v_writelane_b32 v43, s3, 15
	s_branch .LBB38_5
.LBB38_4:                               ;   in Loop: Header=BB38_5 Depth=1
	s_or_b64 exec, exec, s[22:23]
	s_and_b64 s[2:3], exec, s[24:25]
	s_or_b64 s[84:85], s[2:3], s[84:85]
	s_andn2_b64 exec, exec, s[84:85]
	s_cbranch_execz .LBB38_181
.LBB38_5:                               ; =>This Loop Header: Depth=1
                                        ;     Child Loop BB38_9 Depth 2
                                        ;       Child Loop BB38_14 Depth 3
                                        ;         Child Loop BB38_18 Depth 4
                                        ;         Child Loop BB38_53 Depth 4
	;; [unrolled: 1-line block ×5, first 2 shown]
                                        ;     Child Loop BB38_160 Depth 2
                                        ;       Child Loop BB38_163 Depth 3
                                        ;       Child Loop BB38_166 Depth 3
	v_cndmask_b32_e64 v22, v22, 0, s[64:65]
	v_cndmask_b32_e64 v19, v19, 0, s[34:35]
	s_mov_b32 s2, 0
	s_branch .LBB38_9
.LBB38_6:                               ;   in Loop: Header=BB38_9 Depth=2
	s_or_b64 exec, exec, s[90:91]
.LBB38_7:                               ;   in Loop: Header=BB38_9 Depth=2
	s_or_b64 exec, exec, s[88:89]
.LBB38_8:                               ;   in Loop: Header=BB38_9 Depth=2
	s_or_b64 exec, exec, s[86:87]
	s_add_i32 s2, s2, 1
	s_cmp_eq_u32 s2, 8
	s_cbranch_scc1 .LBB38_121
.LBB38_9:                               ;   Parent Loop BB38_5 Depth=1
                                        ; =>  This Loop Header: Depth=2
                                        ;       Child Loop BB38_14 Depth 3
                                        ;         Child Loop BB38_18 Depth 4
                                        ;         Child Loop BB38_53 Depth 4
                                        ;         Child Loop BB38_69 Depth 4
                                        ;         Child Loop BB38_91 Depth 4
                                        ;         Child Loop BB38_104 Depth 4
	v_lshl_add_u32 v3, s2, 7, v21
	v_cmp_gt_i32_e32 vcc, s71, v3
	s_and_saveexec_b64 s[86:87], vcc
	s_cbranch_execz .LBB38_8
; %bb.10:                               ;   in Loop: Header=BB38_9 Depth=2
	v_ashrrev_i32_e32 v4, 31, v3
	v_lshlrev_b64 v[5:6], 2, v[3:4]
	v_mov_b32_e32 v1, s53
	v_add_co_u32_e32 v7, vcc, s52, v5
	v_addc_co_u32_e32 v8, vcc, v1, v6, vcc
	global_load_dword v1, v[7:8], off
	v_mov_b32_e32 v4, s55
	v_add_co_u32_e32 v7, vcc, s54, v5
	v_addc_co_u32_e32 v8, vcc, v4, v6, vcc
	global_load_dword v7, v[7:8], off
	s_waitcnt vmcnt(1)
	v_add_u32_e32 v4, v23, v1
	s_waitcnt vmcnt(0)
	v_subrev_u32_e32 v28, s31, v7
	v_cmp_lt_i32_e32 vcc, v4, v28
	s_and_saveexec_b64 s[88:89], vcc
	s_cbranch_execz .LBB38_7
; %bb.11:                               ;   in Loop: Header=BB38_9 Depth=2
	v_mov_b32_e32 v1, s47
	v_add_co_u32_e32 v7, vcc, s46, v5
	v_addc_co_u32_e32 v8, vcc, v1, v6, vcc
	v_mov_b32_e32 v1, s45
	v_add_co_u32_e32 v5, vcc, s44, v5
	v_addc_co_u32_e32 v6, vcc, v1, v6, vcc
	global_load_dword v1, v[5:6], off
	s_nop 0
	global_load_dword v5, v[7:8], off
	v_mov_b32_e32 v12, s49
	v_mov_b32_e32 v13, s51
	s_mov_b64 s[90:91], 0
	s_waitcnt vmcnt(1)
	v_subrev_u32_e32 v6, s33, v1
	v_ashrrev_i32_e32 v7, 31, v6
	v_lshlrev_b64 v[8:9], 2, v[6:7]
	v_lshlrev_b64 v[10:11], 3, v[6:7]
	v_add_co_u32_e32 v30, vcc, s48, v8
	v_addc_co_u32_e32 v31, vcc, v12, v9, vcc
	s_waitcnt vmcnt(0)
	v_sub_u32_e32 v29, v5, v1
	v_add_co_u32_e32 v32, vcc, s50, v10
	v_cmp_lt_i32_e64 s[22:23], 0, v29
	v_addc_co_u32_e32 v33, vcc, v13, v11, vcc
	s_branch .LBB38_14
.LBB38_12:                              ;   in Loop: Header=BB38_14 Depth=3
	s_or_b64 exec, exec, s[24:25]
.LBB38_13:                              ;   in Loop: Header=BB38_14 Depth=3
	s_or_b64 exec, exec, s[26:27]
	v_add_u32_e32 v4, 8, v4
	v_cmp_ge_i32_e32 vcc, v4, v28
	s_or_b64 s[90:91], vcc, s[90:91]
	s_andn2_b64 exec, exec, s[90:91]
	s_cbranch_execz .LBB38_6
.LBB38_14:                              ;   Parent Loop BB38_5 Depth=1
                                        ;     Parent Loop BB38_9 Depth=2
                                        ; =>    This Loop Header: Depth=3
                                        ;         Child Loop BB38_18 Depth 4
                                        ;         Child Loop BB38_53 Depth 4
                                        ;         Child Loop BB38_69 Depth 4
                                        ;         Child Loop BB38_91 Depth 4
                                        ;         Child Loop BB38_104 Depth 4
	v_ashrrev_i32_e32 v5, 31, v4
	v_lshlrev_b64 v[7:8], 2, v[4:5]
	v_mov_b32_e32 v1, s57
	v_add_co_u32_e32 v7, vcc, s56, v7
	v_addc_co_u32_e32 v8, vcc, v1, v8, vcc
	global_load_dword v1, v[7:8], off
	v_mov_b32_e32 v12, s37
	v_mov_b32_e32 v13, s39
	v_mov_b32_e32 v34, 0
	v_mov_b32_e32 v35, 0
	s_waitcnt vmcnt(0)
	v_subrev_u32_e32 v7, s31, v1
	v_ashrrev_i32_e32 v8, 31, v7
	v_lshlrev_b64 v[9:10], 2, v[7:8]
	v_mov_b32_e32 v1, 0
	v_add_co_u32_e32 v11, vcc, s36, v9
	v_addc_co_u32_e32 v12, vcc, v12, v10, vcc
	v_add_co_u32_e32 v9, vcc, s38, v9
	v_addc_co_u32_e32 v10, vcc, v13, v10, vcc
	global_load_dword v12, v[11:12], off
	s_nop 0
	global_load_dword v9, v[9:10], off
	s_waitcnt vmcnt(1)
	v_subrev_u32_e32 v11, s0, v12
	s_waitcnt vmcnt(0)
	v_sub_u32_e32 v36, v9, v12
	v_mov_b32_e32 v12, v1
	s_and_saveexec_b64 s[24:25], s[22:23]
	s_cbranch_execz .LBB38_22
; %bb.15:                               ;   in Loop: Header=BB38_14 Depth=3
	v_ashrrev_i32_e32 v12, 31, v11
	v_lshlrev_b64 v[9:10], 2, v[11:12]
	v_mov_b32_e32 v1, s41
	v_add_co_u32_e32 v9, vcc, s40, v9
	v_lshlrev_b64 v[12:13], 3, v[11:12]
	v_addc_co_u32_e32 v10, vcc, v1, v10, vcc
	v_mov_b32_e32 v1, s43
	v_add_co_u32_e32 v14, vcc, s42, v12
	v_mov_b32_e32 v12, 0
	v_addc_co_u32_e32 v15, vcc, v1, v13, vcc
	v_mov_b32_e32 v34, 0
	s_mov_b64 s[26:27], 0
	v_mov_b32_e32 v1, v12
	v_mov_b32_e32 v35, 0
                                        ; implicit-def: $sgpr72_sgpr73
	s_branch .LBB38_18
.LBB38_16:                              ;   in Loop: Header=BB38_18 Depth=4
	s_or_b64 exec, exec, s[68:69]
	v_cmp_le_i32_e32 vcc, v16, v37
	v_addc_co_u32_e32 v1, vcc, 0, v1, vcc
	v_cmp_ge_i32_e32 vcc, v16, v37
	v_addc_co_u32_e32 v12, vcc, 0, v12, vcc
	v_cmp_ge_i32_e32 vcc, v1, v29
	s_andn2_b64 s[28:29], s[72:73], exec
	s_and_b64 s[68:69], vcc, exec
	s_or_b64 s[72:73], s[28:29], s[68:69]
.LBB38_17:                              ;   in Loop: Header=BB38_18 Depth=4
	s_or_b64 exec, exec, s[74:75]
	s_and_b64 s[28:29], exec, s[72:73]
	s_or_b64 s[26:27], s[28:29], s[26:27]
	s_andn2_b64 exec, exec, s[26:27]
	s_cbranch_execz .LBB38_21
.LBB38_18:                              ;   Parent Loop BB38_5 Depth=1
                                        ;     Parent Loop BB38_9 Depth=2
                                        ;       Parent Loop BB38_14 Depth=3
                                        ; =>      This Inner Loop Header: Depth=4
	v_cmp_lt_i32_e32 vcc, v12, v36
	s_or_b64 s[72:73], s[72:73], exec
	s_and_saveexec_b64 s[74:75], vcc
	s_cbranch_execz .LBB38_17
; %bb.19:                               ;   in Loop: Header=BB38_18 Depth=4
	v_lshlrev_b64 v[37:38], 2, v[1:2]
	v_mov_b32_e32 v13, v2
	v_add_co_u32_e32 v37, vcc, v30, v37
	v_addc_co_u32_e32 v38, vcc, v31, v38, vcc
	global_load_dword v16, v[37:38], off
	v_lshlrev_b64 v[37:38], 2, v[12:13]
	v_add_co_u32_e32 v37, vcc, v9, v37
	v_addc_co_u32_e32 v38, vcc, v10, v38, vcc
	global_load_dword v37, v[37:38], off
	s_waitcnt vmcnt(1)
	v_subrev_u32_e32 v16, s33, v16
	s_waitcnt vmcnt(0)
	v_subrev_u32_e32 v37, s0, v37
	v_cmp_eq_u32_e32 vcc, v16, v37
	s_and_saveexec_b64 s[68:69], vcc
	s_cbranch_execz .LBB38_16
; %bb.20:                               ;   in Loop: Header=BB38_18 Depth=4
	v_lshlrev_b64 v[38:39], 3, v[1:2]
	v_lshlrev_b64 v[40:41], 3, v[12:13]
	v_add_co_u32_e32 v38, vcc, v32, v38
	v_addc_co_u32_e32 v39, vcc, v33, v39, vcc
	v_add_co_u32_e32 v40, vcc, v14, v40
	v_addc_co_u32_e32 v41, vcc, v15, v41, vcc
	global_load_dwordx2 v[38:39], v[38:39], off
	s_nop 0
	global_load_dwordx2 v[40:41], v[40:41], off
	s_waitcnt vmcnt(0)
	v_fmac_f32_e32 v34, v38, v40
	v_fmac_f32_e32 v35, v39, v40
	v_fma_f32 v34, -v39, v41, v34
	v_fmac_f32_e32 v35, v38, v41
	s_branch .LBB38_16
.LBB38_21:                              ;   in Loop: Header=BB38_14 Depth=3
	s_or_b64 exec, exec, s[26:27]
.LBB38_22:                              ;   in Loop: Header=BB38_14 Depth=3
	s_or_b64 exec, exec, s[24:25]
	v_lshlrev_b64 v[9:10], 3, v[4:5]
	v_mov_b32_e32 v5, s59
	v_add_co_u32_e32 v9, vcc, s58, v9
	v_addc_co_u32_e32 v10, vcc, v5, v10, vcc
	global_load_dwordx2 v[9:10], v[9:10], off
	v_cmp_le_i32_e64 s[24:25], v3, v7
	v_cmp_gt_i32_e32 vcc, v3, v7
	s_waitcnt vmcnt(0)
	v_sub_f32_e32 v13, v9, v34
	v_sub_f32_e32 v14, v10, v35
	s_and_saveexec_b64 s[72:73], vcc
	s_cbranch_execz .LBB38_32
; %bb.23:                               ;   in Loop: Header=BB38_14 Depth=3
	v_lshlrev_b64 v[15:16], 3, v[7:8]
	v_mov_b32_e32 v5, s61
	v_add_co_u32_e32 v15, vcc, s60, v15
	v_addc_co_u32_e32 v16, vcc, v5, v16, vcc
	global_load_dwordx2 v[15:16], v[15:16], off
                                        ; implicit-def: $vgpr38
	s_waitcnt vmcnt(0)
	v_cmp_gt_f32_e32 vcc, 0, v15
	v_cndmask_b32_e64 v5, v15, -v15, vcc
	v_cmp_gt_f32_e32 vcc, 0, v16
	v_cndmask_b32_e64 v37, v16, -v16, vcc
	v_cmp_ngt_f32_e32 vcc, v5, v37
	s_and_saveexec_b64 s[26:27], vcc
	s_xor_b64 s[68:69], exec, s[26:27]
	s_cbranch_execz .LBB38_27
; %bb.24:                               ;   in Loop: Header=BB38_14 Depth=3
	v_mov_b32_e32 v38, 0
	v_cmp_neq_f32_e32 vcc, 0, v16
	s_and_saveexec_b64 s[74:75], vcc
	s_cbranch_execz .LBB38_26
; %bb.25:                               ;   in Loop: Header=BB38_14 Depth=3
	v_div_scale_f32 v38, s[26:27], v37, v37, v5
	v_div_scale_f32 v39, vcc, v5, v37, v5
	v_rcp_f32_e32 v40, v38
	v_fma_f32 v41, -v38, v40, 1.0
	v_fmac_f32_e32 v40, v41, v40
	v_mul_f32_e32 v41, v39, v40
	v_fma_f32 v42, -v38, v41, v39
	v_fmac_f32_e32 v41, v42, v40
	v_fma_f32 v38, -v38, v41, v39
	v_div_fmas_f32 v38, v38, v40, v41
	v_div_fixup_f32 v5, v38, v37, v5
	v_fma_f32 v5, v5, v5, 1.0
	v_mul_f32_e32 v38, 0x4f800000, v5
	v_cmp_gt_f32_e32 vcc, s4, v5
	v_cndmask_b32_e32 v5, v5, v38, vcc
	v_sqrt_f32_e32 v38, v5
	v_add_u32_e32 v39, -1, v38
	v_add_u32_e32 v40, 1, v38
	v_fma_f32 v41, -v39, v38, v5
	v_fma_f32 v42, -v40, v38, v5
	v_cmp_ge_f32_e64 s[26:27], 0, v41
	v_cndmask_b32_e64 v38, v38, v39, s[26:27]
	v_cmp_lt_f32_e64 s[26:27], 0, v42
	v_cndmask_b32_e64 v38, v38, v40, s[26:27]
	v_mul_f32_e32 v39, 0x37800000, v38
	v_cndmask_b32_e32 v38, v38, v39, vcc
	v_cmp_class_f32_e32 vcc, v5, v27
	v_cndmask_b32_e32 v5, v38, v5, vcc
	v_mul_f32_e32 v38, v37, v5
.LBB38_26:                              ;   in Loop: Header=BB38_14 Depth=3
	s_or_b64 exec, exec, s[74:75]
                                        ; implicit-def: $vgpr5
                                        ; implicit-def: $vgpr37
.LBB38_27:                              ;   in Loop: Header=BB38_14 Depth=3
	s_andn2_saveexec_b64 s[68:69], s[68:69]
	s_cbranch_execz .LBB38_29
; %bb.28:                               ;   in Loop: Header=BB38_14 Depth=3
	v_div_scale_f32 v38, s[26:27], v5, v5, v37
	v_div_scale_f32 v39, vcc, v37, v5, v37
	v_rcp_f32_e32 v40, v38
	v_fma_f32 v41, -v38, v40, 1.0
	v_fmac_f32_e32 v40, v41, v40
	v_mul_f32_e32 v41, v39, v40
	v_fma_f32 v42, -v38, v41, v39
	v_fmac_f32_e32 v41, v42, v40
	v_fma_f32 v38, -v38, v41, v39
	v_div_fmas_f32 v38, v38, v40, v41
	v_div_fixup_f32 v37, v38, v5, v37
	v_fma_f32 v37, v37, v37, 1.0
	v_mul_f32_e32 v38, 0x4f800000, v37
	v_cmp_gt_f32_e32 vcc, s4, v37
	v_cndmask_b32_e32 v37, v37, v38, vcc
	v_sqrt_f32_e32 v38, v37
	v_add_u32_e32 v39, -1, v38
	v_add_u32_e32 v40, 1, v38
	v_fma_f32 v41, -v39, v38, v37
	v_fma_f32 v42, -v40, v38, v37
	v_cmp_ge_f32_e64 s[26:27], 0, v41
	v_cndmask_b32_e64 v38, v38, v39, s[26:27]
	v_cmp_lt_f32_e64 s[26:27], 0, v42
	v_cndmask_b32_e64 v38, v38, v40, s[26:27]
	v_mul_f32_e32 v39, 0x37800000, v38
	v_cndmask_b32_e32 v38, v38, v39, vcc
	v_cmp_class_f32_e32 vcc, v37, v27
	v_cndmask_b32_e32 v37, v38, v37, vcc
	v_mul_f32_e32 v38, v5, v37
.LBB38_29:                              ;   in Loop: Header=BB38_14 Depth=3
	s_or_b64 exec, exec, s[68:69]
	v_mov_b32_e32 v5, 0
	v_cmp_lt_f32_e32 vcc, 0, v38
	v_mov_b32_e32 v37, 0
	s_and_saveexec_b64 s[26:27], vcc
	s_cbranch_execz .LBB38_31
; %bb.30:                               ;   in Loop: Header=BB38_14 Depth=3
	v_mul_f32_e32 v5, v16, v16
	v_fmac_f32_e32 v5, v15, v15
	v_div_scale_f32 v37, s[28:29], v5, v5, 1.0
	v_div_scale_f32 v38, vcc, 1.0, v5, 1.0
	v_rcp_f32_e32 v39, v37
	v_fma_f32 v40, -v37, v39, 1.0
	v_fmac_f32_e32 v39, v40, v39
	v_mul_f32_e32 v40, v38, v39
	v_fma_f32 v41, -v37, v40, v38
	v_fmac_f32_e32 v40, v41, v39
	v_fma_f32 v37, -v37, v40, v38
	v_div_fmas_f32 v37, v37, v39, v40
	v_mul_f32_e32 v38, v14, v16
	v_mul_f32_e64 v16, v16, -v13
	v_fmac_f32_e32 v38, v13, v15
	v_fmac_f32_e32 v16, v14, v15
	v_div_fixup_f32 v5, v37, v5, 1.0
	v_mul_f32_e32 v37, v38, v5
	v_mul_f32_e32 v5, v16, v5
.LBB38_31:                              ;   in Loop: Header=BB38_14 Depth=3
	s_or_b64 exec, exec, s[26:27]
	v_mov_b32_e32 v14, v5
	v_mov_b32_e32 v13, v37
.LBB38_32:                              ;   in Loop: Header=BB38_14 Depth=3
	s_or_b64 exec, exec, s[72:73]
	v_cmp_gt_f32_e32 vcc, 0, v13
	v_cndmask_b32_e64 v5, v13, -v13, vcc
	v_cmp_gt_f32_e32 vcc, 0, v14
	v_cndmask_b32_e64 v15, v14, -v14, vcc
	v_cmp_ngt_f32_e32 vcc, v5, v15
                                        ; implicit-def: $vgpr16
	s_and_saveexec_b64 s[26:27], vcc
	s_xor_b64 s[68:69], exec, s[26:27]
	s_cbranch_execnz .LBB38_36
; %bb.33:                               ;   in Loop: Header=BB38_14 Depth=3
	s_andn2_saveexec_b64 s[68:69], s[68:69]
	s_cbranch_execnz .LBB38_39
.LBB38_34:                              ;   in Loop: Header=BB38_14 Depth=3
	s_or_b64 exec, exec, s[68:69]
	v_cmp_class_f32_e64 s[26:27], v16, s5
	s_and_saveexec_b64 s[92:93], s[26:27]
	s_cbranch_execnz .LBB38_40
.LBB38_35:                              ;   in Loop: Header=BB38_14 Depth=3
	s_or_b64 exec, exec, s[92:93]
	s_and_b64 s[24:25], s[34:35], s[26:27]
	s_and_saveexec_b64 s[26:27], s[24:25]
	s_cbranch_execz .LBB38_13
	s_branch .LBB38_81
.LBB38_36:                              ;   in Loop: Header=BB38_14 Depth=3
	v_mov_b32_e32 v16, 0
	v_cmp_neq_f32_e32 vcc, 0, v14
	s_and_saveexec_b64 s[72:73], vcc
	s_cbranch_execz .LBB38_38
; %bb.37:                               ;   in Loop: Header=BB38_14 Depth=3
	v_div_scale_f32 v16, s[26:27], v15, v15, v5
	v_div_scale_f32 v37, vcc, v5, v15, v5
	v_rcp_f32_e32 v38, v16
	v_fma_f32 v39, -v16, v38, 1.0
	v_fmac_f32_e32 v38, v39, v38
	v_mul_f32_e32 v39, v37, v38
	v_fma_f32 v40, -v16, v39, v37
	v_fmac_f32_e32 v39, v40, v38
	v_fma_f32 v16, -v16, v39, v37
	v_div_fmas_f32 v16, v16, v38, v39
	v_div_fixup_f32 v5, v16, v15, v5
	v_fma_f32 v5, v5, v5, 1.0
	v_mul_f32_e32 v16, 0x4f800000, v5
	v_cmp_gt_f32_e32 vcc, s4, v5
	v_cndmask_b32_e32 v5, v5, v16, vcc
	v_sqrt_f32_e32 v16, v5
	v_add_u32_e32 v37, -1, v16
	v_add_u32_e32 v38, 1, v16
	v_fma_f32 v39, -v37, v16, v5
	v_fma_f32 v40, -v38, v16, v5
	v_cmp_ge_f32_e64 s[26:27], 0, v39
	v_cndmask_b32_e64 v16, v16, v37, s[26:27]
	v_cmp_lt_f32_e64 s[26:27], 0, v40
	v_cndmask_b32_e64 v16, v16, v38, s[26:27]
	v_mul_f32_e32 v37, 0x37800000, v16
	v_cndmask_b32_e32 v16, v16, v37, vcc
	v_cmp_class_f32_e32 vcc, v5, v27
	v_cndmask_b32_e32 v5, v16, v5, vcc
	v_mul_f32_e32 v16, v15, v5
.LBB38_38:                              ;   in Loop: Header=BB38_14 Depth=3
	s_or_b64 exec, exec, s[72:73]
                                        ; implicit-def: $vgpr5
                                        ; implicit-def: $vgpr15
	s_andn2_saveexec_b64 s[68:69], s[68:69]
	s_cbranch_execz .LBB38_34
.LBB38_39:                              ;   in Loop: Header=BB38_14 Depth=3
	v_div_scale_f32 v16, s[26:27], v5, v5, v15
	v_div_scale_f32 v37, vcc, v15, v5, v15
	v_rcp_f32_e32 v38, v16
	v_fma_f32 v39, -v16, v38, 1.0
	v_fmac_f32_e32 v38, v39, v38
	v_mul_f32_e32 v39, v37, v38
	v_fma_f32 v40, -v16, v39, v37
	v_fmac_f32_e32 v39, v40, v38
	v_fma_f32 v16, -v16, v39, v37
	v_div_fmas_f32 v16, v16, v38, v39
	v_div_fixup_f32 v15, v16, v5, v15
	v_fma_f32 v15, v15, v15, 1.0
	v_mul_f32_e32 v16, 0x4f800000, v15
	v_cmp_gt_f32_e32 vcc, s4, v15
	v_cndmask_b32_e32 v15, v15, v16, vcc
	v_sqrt_f32_e32 v16, v15
	v_add_u32_e32 v37, -1, v16
	v_add_u32_e32 v38, 1, v16
	v_fma_f32 v39, -v37, v16, v15
	v_fma_f32 v40, -v38, v16, v15
	v_cmp_ge_f32_e64 s[26:27], 0, v39
	v_cndmask_b32_e64 v16, v16, v37, s[26:27]
	v_cmp_lt_f32_e64 s[26:27], 0, v40
	v_cndmask_b32_e64 v16, v16, v38, s[26:27]
	v_mul_f32_e32 v37, 0x37800000, v16
	v_cndmask_b32_e32 v16, v16, v37, vcc
	v_cmp_class_f32_e32 vcc, v15, v27
	v_cndmask_b32_e32 v15, v16, v15, vcc
	v_mul_f32_e32 v16, v5, v15
	s_or_b64 exec, exec, s[68:69]
	v_cmp_class_f32_e64 s[26:27], v16, s5
	s_and_saveexec_b64 s[92:93], s[26:27]
	s_cbranch_execz .LBB38_35
.LBB38_40:                              ;   in Loop: Header=BB38_14 Depth=3
	s_and_saveexec_b64 s[28:29], s[24:25]
	s_xor_b64 s[94:95], exec, s[28:29]
	s_cbranch_execz .LBB38_65
; %bb.41:                               ;   in Loop: Header=BB38_14 Depth=3
	v_cmp_ge_i32_e32 vcc, v3, v7
	s_and_saveexec_b64 s[24:25], vcc
	s_xor_b64 s[72:73], exec, s[24:25]
	s_cbranch_execz .LBB38_49
; %bb.42:                               ;   in Loop: Header=BB38_14 Depth=3
	v_lshlrev_b64 v[15:16], 3, v[7:8]
	v_mov_b32_e32 v5, s63
	v_add_co_u32_e32 v37, vcc, s62, v15
	v_addc_co_u32_e32 v38, vcc, v5, v16, vcc
	s_andn2_b64 vcc, exec, s[64:65]
	global_store_dwordx2 v[37:38], v[13:14], off
	s_cbranch_vccnz .LBB38_48
; %bb.43:                               ;   in Loop: Header=BB38_14 Depth=3
	v_mov_b32_e32 v5, s61
	v_add_co_u32_e32 v15, vcc, s60, v15
	v_addc_co_u32_e32 v16, vcc, v5, v16, vcc
	global_load_dwordx2 v[15:16], v[15:16], off
	s_waitcnt vmcnt(0)
	v_sub_f32_e32 v5, v15, v13
	v_sub_f32_e32 v15, v16, v14
	v_cmp_gt_f32_e32 vcc, 0, v5
	v_cndmask_b32_e64 v5, v5, -v5, vcc
	v_cmp_gt_f32_e32 vcc, 0, v15
	v_cndmask_b32_e64 v13, v15, -v15, vcc
	v_cmp_ngt_f32_e32 vcc, v5, v13
                                        ; implicit-def: $vgpr14
	s_and_saveexec_b64 s[24:25], vcc
	s_xor_b64 s[68:69], exec, s[24:25]
	s_cbranch_execnz .LBB38_109
; %bb.44:                               ;   in Loop: Header=BB38_14 Depth=3
	s_andn2_saveexec_b64 s[68:69], s[68:69]
	s_cbranch_execnz .LBB38_112
.LBB38_45:                              ;   in Loop: Header=BB38_14 Depth=3
	s_or_b64 exec, exec, s[68:69]
	v_cmp_class_f32_e64 s[28:29], v14, s5
	s_and_saveexec_b64 s[24:25], s[28:29]
.LBB38_46:                              ;   in Loop: Header=BB38_14 Depth=3
	v_cmp_lt_f32_e32 vcc, v22, v14
	v_cndmask_b32_e32 v22, v22, v14, vcc
.LBB38_47:                              ;   in Loop: Header=BB38_14 Depth=3
	s_or_b64 exec, exec, s[24:25]
.LBB38_48:                              ;   in Loop: Header=BB38_14 Depth=3
                                        ; implicit-def: $vgpr13
.LBB38_49:                              ;   in Loop: Header=BB38_14 Depth=3
	s_andn2_saveexec_b64 s[72:73], s[72:73]
	s_cbranch_execz .LBB38_64
; %bb.50:                               ;   in Loop: Header=BB38_14 Depth=3
	v_cmp_lt_i32_e32 vcc, v12, v36
	s_and_saveexec_b64 s[76:77], vcc
	s_cbranch_execz .LBB38_63
; %bb.51:                               ;   in Loop: Header=BB38_14 Depth=3
	s_mov_b64 s[24:25], 0
	v_mov_b32_e32 v5, v12
                                        ; implicit-def: $sgpr74_sgpr75
                                        ; implicit-def: $sgpr68_sgpr69
                                        ; implicit-def: $sgpr82_sgpr83
	s_branch .LBB38_53
.LBB38_52:                              ;   in Loop: Header=BB38_53 Depth=4
	s_or_b64 exec, exec, s[28:29]
	s_and_b64 s[28:29], exec, s[68:69]
	s_or_b64 s[24:25], s[28:29], s[24:25]
	s_andn2_b64 s[28:29], s[74:75], exec
	s_and_b64 s[74:75], s[82:83], exec
	s_or_b64 s[74:75], s[28:29], s[74:75]
	s_andn2_b64 exec, exec, s[24:25]
	s_cbranch_execz .LBB38_55
.LBB38_53:                              ;   Parent Loop BB38_5 Depth=1
                                        ;     Parent Loop BB38_9 Depth=2
                                        ;       Parent Loop BB38_14 Depth=3
                                        ; =>      This Inner Loop Header: Depth=4
	v_add_u32_e32 v15, v11, v5
	v_ashrrev_i32_e32 v16, 31, v15
	v_lshlrev_b64 v[37:38], 2, v[15:16]
	v_mov_b32_e32 v39, s41
	v_add_co_u32_e32 v37, vcc, s40, v37
	v_addc_co_u32_e32 v38, vcc, v39, v38, vcc
	global_load_dword v37, v[37:38], off
	s_or_b64 s[82:83], s[82:83], exec
	s_or_b64 s[68:69], s[68:69], exec
	s_waitcnt vmcnt(0)
	v_subrev_u32_e32 v37, s0, v37
	v_cmp_ne_u32_e32 vcc, v37, v3
	s_and_saveexec_b64 s[28:29], vcc
	s_cbranch_execz .LBB38_52
; %bb.54:                               ;   in Loop: Header=BB38_53 Depth=4
	v_add_u32_e32 v5, 1, v5
	v_cmp_ge_i32_e32 vcc, v5, v36
	s_andn2_b64 s[68:69], s[68:69], exec
	s_and_b64 vcc, vcc, exec
	s_andn2_b64 s[82:83], s[82:83], exec
	s_or_b64 s[68:69], s[68:69], vcc
	s_branch .LBB38_52
.LBB38_55:                              ;   in Loop: Header=BB38_14 Depth=3
	s_or_b64 exec, exec, s[24:25]
	s_and_saveexec_b64 s[24:25], s[74:75]
	s_xor_b64 s[74:75], exec, s[24:25]
	s_cbranch_execz .LBB38_62
; %bb.56:                               ;   in Loop: Header=BB38_14 Depth=3
	v_lshlrev_b64 v[15:16], 3, v[15:16]
	v_mov_b32_e32 v5, s81
	v_add_co_u32_e32 v37, vcc, s80, v15
	v_addc_co_u32_e32 v38, vcc, v5, v16, vcc
	s_andn2_b64 vcc, exec, s[64:65]
	global_store_dwordx2 v[37:38], v[13:14], off
	s_cbranch_vccnz .LBB38_62
; %bb.57:                               ;   in Loop: Header=BB38_14 Depth=3
	v_mov_b32_e32 v5, s43
	v_add_co_u32_e32 v15, vcc, s42, v15
	v_addc_co_u32_e32 v16, vcc, v5, v16, vcc
	global_load_dwordx2 v[15:16], v[15:16], off
	s_waitcnt vmcnt(0)
	v_sub_f32_e32 v5, v15, v13
	v_sub_f32_e32 v15, v16, v14
	v_cmp_gt_f32_e32 vcc, 0, v5
	v_cndmask_b32_e64 v5, v5, -v5, vcc
	v_cmp_gt_f32_e32 vcc, 0, v15
	v_cndmask_b32_e64 v13, v15, -v15, vcc
	v_cmp_ngt_f32_e32 vcc, v5, v13
                                        ; implicit-def: $vgpr14
	s_and_saveexec_b64 s[24:25], vcc
	s_xor_b64 s[68:69], exec, s[24:25]
	s_cbranch_execnz .LBB38_117
; %bb.58:                               ;   in Loop: Header=BB38_14 Depth=3
	s_andn2_saveexec_b64 s[68:69], s[68:69]
	s_cbranch_execnz .LBB38_120
.LBB38_59:                              ;   in Loop: Header=BB38_14 Depth=3
	s_or_b64 exec, exec, s[68:69]
	v_cmp_class_f32_e64 s[28:29], v14, s5
	s_and_saveexec_b64 s[24:25], s[28:29]
.LBB38_60:                              ;   in Loop: Header=BB38_14 Depth=3
	v_cmp_lt_f32_e32 vcc, v22, v14
	v_cndmask_b32_e32 v22, v22, v14, vcc
.LBB38_61:                              ;   in Loop: Header=BB38_14 Depth=3
	s_or_b64 exec, exec, s[24:25]
.LBB38_62:                              ;   in Loop: Header=BB38_14 Depth=3
	s_or_b64 exec, exec, s[74:75]
.LBB38_63:                              ;   in Loop: Header=BB38_14 Depth=3
	s_or_b64 exec, exec, s[76:77]
.LBB38_64:                              ;   in Loop: Header=BB38_14 Depth=3
	s_or_b64 exec, exec, s[72:73]
                                        ; implicit-def: $vgpr13
.LBB38_65:                              ;   in Loop: Header=BB38_14 Depth=3
	s_andn2_saveexec_b64 s[94:95], s[94:95]
	s_cbranch_execz .LBB38_80
; %bb.66:                               ;   in Loop: Header=BB38_14 Depth=3
	v_cmp_lt_i32_e32 vcc, v1, v29
	s_and_saveexec_b64 s[72:73], vcc
	s_cbranch_execz .LBB38_79
; %bb.67:                               ;   in Loop: Header=BB38_14 Depth=3
	s_mov_b64 s[24:25], 0
	v_mov_b32_e32 v5, v1
                                        ; implicit-def: $sgpr74_sgpr75
                                        ; implicit-def: $sgpr68_sgpr69
                                        ; implicit-def: $sgpr76_sgpr77
	s_branch .LBB38_69
.LBB38_68:                              ;   in Loop: Header=BB38_69 Depth=4
	s_or_b64 exec, exec, s[82:83]
	s_and_b64 s[28:29], exec, s[68:69]
	s_or_b64 s[24:25], s[28:29], s[24:25]
	s_andn2_b64 s[28:29], s[74:75], exec
	s_and_b64 s[74:75], s[76:77], exec
	s_or_b64 s[74:75], s[28:29], s[74:75]
	s_andn2_b64 exec, exec, s[24:25]
	s_cbranch_execz .LBB38_71
.LBB38_69:                              ;   Parent Loop BB38_5 Depth=1
                                        ;     Parent Loop BB38_9 Depth=2
                                        ;       Parent Loop BB38_14 Depth=3
                                        ; =>      This Inner Loop Header: Depth=4
	v_add_u32_e32 v15, v6, v5
	v_ashrrev_i32_e32 v16, 31, v15
	v_lshlrev_b64 v[37:38], 2, v[15:16]
	v_mov_b32_e32 v39, s49
	v_add_co_u32_e32 v37, vcc, s48, v37
	v_addc_co_u32_e32 v38, vcc, v39, v38, vcc
	global_load_dword v37, v[37:38], off
	s_or_b64 s[76:77], s[76:77], exec
	s_or_b64 s[68:69], s[68:69], exec
	s_waitcnt vmcnt(0)
	v_subrev_u32_e32 v37, s33, v37
	v_cmp_ne_u32_e32 vcc, v37, v7
	s_and_saveexec_b64 s[82:83], vcc
	s_cbranch_execz .LBB38_68
; %bb.70:                               ;   in Loop: Header=BB38_69 Depth=4
	v_add_u32_e32 v5, 1, v5
	v_cmp_ge_i32_e32 vcc, v5, v29
	s_andn2_b64 s[28:29], s[68:69], exec
	s_and_b64 s[68:69], vcc, exec
	s_andn2_b64 s[76:77], s[76:77], exec
	s_or_b64 s[68:69], s[28:29], s[68:69]
	s_branch .LBB38_68
.LBB38_71:                              ;   in Loop: Header=BB38_14 Depth=3
	s_or_b64 exec, exec, s[24:25]
	s_and_saveexec_b64 s[24:25], s[74:75]
	s_xor_b64 s[74:75], exec, s[24:25]
	s_cbranch_execz .LBB38_78
; %bb.72:                               ;   in Loop: Header=BB38_14 Depth=3
	v_lshlrev_b64 v[15:16], 3, v[15:16]
	v_mov_b32_e32 v5, s79
	v_add_co_u32_e32 v37, vcc, s78, v15
	v_addc_co_u32_e32 v38, vcc, v5, v16, vcc
	s_andn2_b64 vcc, exec, s[64:65]
	global_store_dwordx2 v[37:38], v[13:14], off
	s_cbranch_vccnz .LBB38_78
; %bb.73:                               ;   in Loop: Header=BB38_14 Depth=3
	v_mov_b32_e32 v5, s51
	v_add_co_u32_e32 v15, vcc, s50, v15
	v_addc_co_u32_e32 v16, vcc, v5, v16, vcc
	global_load_dwordx2 v[15:16], v[15:16], off
	s_waitcnt vmcnt(0)
	v_sub_f32_e32 v5, v15, v13
	v_sub_f32_e32 v15, v16, v14
	v_cmp_gt_f32_e32 vcc, 0, v5
	v_cndmask_b32_e64 v5, v5, -v5, vcc
	v_cmp_gt_f32_e32 vcc, 0, v15
	v_cndmask_b32_e64 v13, v15, -v15, vcc
	v_cmp_ngt_f32_e32 vcc, v5, v13
                                        ; implicit-def: $vgpr14
	s_and_saveexec_b64 s[24:25], vcc
	s_xor_b64 s[68:69], exec, s[24:25]
	s_cbranch_execnz .LBB38_113
; %bb.74:                               ;   in Loop: Header=BB38_14 Depth=3
	s_andn2_saveexec_b64 s[68:69], s[68:69]
	s_cbranch_execnz .LBB38_116
.LBB38_75:                              ;   in Loop: Header=BB38_14 Depth=3
	s_or_b64 exec, exec, s[68:69]
	v_cmp_class_f32_e64 s[28:29], v14, s5
	s_and_saveexec_b64 s[24:25], s[28:29]
.LBB38_76:                              ;   in Loop: Header=BB38_14 Depth=3
	v_cmp_lt_f32_e32 vcc, v22, v14
	v_cndmask_b32_e32 v22, v22, v14, vcc
.LBB38_77:                              ;   in Loop: Header=BB38_14 Depth=3
	s_or_b64 exec, exec, s[24:25]
.LBB38_78:                              ;   in Loop: Header=BB38_14 Depth=3
	s_or_b64 exec, exec, s[74:75]
.LBB38_79:                              ;   in Loop: Header=BB38_14 Depth=3
	s_or_b64 exec, exec, s[72:73]
.LBB38_80:                              ;   in Loop: Header=BB38_14 Depth=3
	s_or_b64 exec, exec, s[94:95]
	s_or_b64 exec, exec, s[92:93]
	s_and_b64 s[24:25], s[34:35], s[26:27]
	s_and_saveexec_b64 s[26:27], s[24:25]
	s_cbranch_execz .LBB38_13
.LBB38_81:                              ;   in Loop: Header=BB38_14 Depth=3
	v_cmp_ge_i32_e32 vcc, v12, v36
	s_and_saveexec_b64 s[24:25], vcc
	s_xor_b64 s[24:25], exec, s[24:25]
	s_cbranch_execnz .LBB38_88
; %bb.82:                               ;   in Loop: Header=BB38_14 Depth=3
	s_andn2_saveexec_b64 s[24:25], s[24:25]
	s_cbranch_execnz .LBB38_102
.LBB38_83:                              ;   in Loop: Header=BB38_14 Depth=3
	s_or_b64 exec, exec, s[24:25]
	v_cmp_eq_u32_e32 vcc, v3, v7
	s_and_saveexec_b64 s[24:25], vcc
	s_cbranch_execz .LBB38_85
.LBB38_84:                              ;   in Loop: Header=BB38_14 Depth=3
	v_lshlrev_b64 v[7:8], 3, v[7:8]
	v_mov_b32_e32 v1, s61
	v_add_co_u32_e32 v7, vcc, s60, v7
	v_addc_co_u32_e32 v8, vcc, v1, v8, vcc
	global_load_dwordx2 v[7:8], v[7:8], off
	s_waitcnt vmcnt(0)
	v_add_f32_e32 v34, v34, v7
	v_add_f32_e32 v35, v35, v8
.LBB38_85:                              ;   in Loop: Header=BB38_14 Depth=3
	s_or_b64 exec, exec, s[24:25]
	v_sub_f32_e32 v1, v9, v34
	v_sub_f32_e32 v8, v10, v35
	v_cmp_gt_f32_e32 vcc, 0, v1
	v_cndmask_b32_e64 v1, v1, -v1, vcc
	v_cmp_gt_f32_e32 vcc, 0, v8
	v_cndmask_b32_e64 v5, v8, -v8, vcc
	v_cmp_ngt_f32_e32 vcc, v1, v5
                                        ; implicit-def: $vgpr7
	s_and_saveexec_b64 s[24:25], vcc
	s_xor_b64 s[68:69], exec, s[24:25]
	s_cbranch_execnz .LBB38_93
; %bb.86:                               ;   in Loop: Header=BB38_14 Depth=3
	s_andn2_saveexec_b64 s[68:69], s[68:69]
	s_cbranch_execnz .LBB38_96
.LBB38_87:                              ;   in Loop: Header=BB38_14 Depth=3
	s_or_b64 exec, exec, s[68:69]
	v_cmp_class_f32_e64 s[28:29], v7, s5
	s_and_saveexec_b64 s[24:25], s[28:29]
	s_cbranch_execz .LBB38_12
	s_branch .LBB38_97
.LBB38_88:                              ;   in Loop: Header=BB38_14 Depth=3
	v_cmp_lt_i32_e32 vcc, v1, v29
	s_and_saveexec_b64 s[72:73], vcc
	s_cbranch_execz .LBB38_101
; %bb.89:                               ;   in Loop: Header=BB38_14 Depth=3
	s_mov_b64 s[76:77], 0
                                        ; implicit-def: $sgpr74_sgpr75
                                        ; implicit-def: $sgpr68_sgpr69
                                        ; implicit-def: $sgpr82_sgpr83
	s_branch .LBB38_91
.LBB38_90:                              ;   in Loop: Header=BB38_91 Depth=4
	s_or_b64 exec, exec, s[28:29]
	s_and_b64 s[28:29], exec, s[68:69]
	s_or_b64 s[76:77], s[28:29], s[76:77]
	s_andn2_b64 s[28:29], s[74:75], exec
	s_and_b64 s[74:75], s[82:83], exec
	s_or_b64 s[74:75], s[28:29], s[74:75]
	s_andn2_b64 exec, exec, s[76:77]
	s_cbranch_execz .LBB38_98
.LBB38_91:                              ;   Parent Loop BB38_5 Depth=1
                                        ;     Parent Loop BB38_9 Depth=2
                                        ;       Parent Loop BB38_14 Depth=3
                                        ; =>      This Inner Loop Header: Depth=4
	v_add_u32_e32 v11, v6, v1
	v_ashrrev_i32_e32 v12, 31, v11
	v_lshlrev_b64 v[13:14], 2, v[11:12]
	v_mov_b32_e32 v5, s49
	v_add_co_u32_e32 v13, vcc, s48, v13
	v_addc_co_u32_e32 v14, vcc, v5, v14, vcc
	global_load_dword v5, v[13:14], off
	s_or_b64 s[82:83], s[82:83], exec
	s_or_b64 s[68:69], s[68:69], exec
	s_waitcnt vmcnt(0)
	v_subrev_u32_e32 v5, s33, v5
	v_cmp_ne_u32_e32 vcc, v5, v7
	s_and_saveexec_b64 s[28:29], vcc
	s_cbranch_execz .LBB38_90
; %bb.92:                               ;   in Loop: Header=BB38_91 Depth=4
	v_add_u32_e32 v1, 1, v1
	v_cmp_ge_i32_e32 vcc, v1, v29
	s_andn2_b64 s[68:69], s[68:69], exec
	s_and_b64 s[92:93], vcc, exec
	s_andn2_b64 s[82:83], s[82:83], exec
	s_or_b64 s[68:69], s[68:69], s[92:93]
	s_branch .LBB38_90
.LBB38_93:                              ;   in Loop: Header=BB38_14 Depth=3
	v_mov_b32_e32 v7, 0
	v_cmp_neq_f32_e32 vcc, 0, v8
	s_and_saveexec_b64 s[72:73], vcc
	s_cbranch_execz .LBB38_95
; %bb.94:                               ;   in Loop: Header=BB38_14 Depth=3
	v_div_scale_f32 v7, s[24:25], v5, v5, v1
	v_div_scale_f32 v8, vcc, v1, v5, v1
	v_rcp_f32_e32 v9, v7
	v_fma_f32 v10, -v7, v9, 1.0
	v_fmac_f32_e32 v9, v10, v9
	v_mul_f32_e32 v10, v8, v9
	v_fma_f32 v11, -v7, v10, v8
	v_fmac_f32_e32 v10, v11, v9
	v_fma_f32 v7, -v7, v10, v8
	v_div_fmas_f32 v7, v7, v9, v10
	v_div_fixup_f32 v1, v7, v5, v1
	v_fma_f32 v1, v1, v1, 1.0
	v_mul_f32_e32 v7, 0x4f800000, v1
	v_cmp_gt_f32_e32 vcc, s4, v1
	v_cndmask_b32_e32 v1, v1, v7, vcc
	v_sqrt_f32_e32 v7, v1
	v_add_u32_e32 v8, -1, v7
	v_add_u32_e32 v9, 1, v7
	v_fma_f32 v10, -v8, v7, v1
	v_fma_f32 v11, -v9, v7, v1
	v_cmp_ge_f32_e64 s[24:25], 0, v10
	v_cndmask_b32_e64 v7, v7, v8, s[24:25]
	v_cmp_lt_f32_e64 s[24:25], 0, v11
	v_cndmask_b32_e64 v7, v7, v9, s[24:25]
	v_mul_f32_e32 v8, 0x37800000, v7
	v_cndmask_b32_e32 v7, v7, v8, vcc
	v_cmp_class_f32_e32 vcc, v1, v27
	v_cndmask_b32_e32 v1, v7, v1, vcc
	v_mul_f32_e32 v7, v5, v1
.LBB38_95:                              ;   in Loop: Header=BB38_14 Depth=3
	s_or_b64 exec, exec, s[72:73]
                                        ; implicit-def: $vgpr1
                                        ; implicit-def: $vgpr5
	s_andn2_saveexec_b64 s[68:69], s[68:69]
	s_cbranch_execz .LBB38_87
.LBB38_96:                              ;   in Loop: Header=BB38_14 Depth=3
	v_div_scale_f32 v7, s[24:25], v1, v1, v5
	v_div_scale_f32 v8, vcc, v5, v1, v5
	v_rcp_f32_e32 v9, v7
	v_fma_f32 v10, -v7, v9, 1.0
	v_fmac_f32_e32 v9, v10, v9
	v_mul_f32_e32 v10, v8, v9
	v_fma_f32 v11, -v7, v10, v8
	v_fmac_f32_e32 v10, v11, v9
	v_fma_f32 v7, -v7, v10, v8
	v_div_fmas_f32 v7, v7, v9, v10
	v_div_fixup_f32 v5, v7, v1, v5
	v_fma_f32 v5, v5, v5, 1.0
	v_mul_f32_e32 v7, 0x4f800000, v5
	v_cmp_gt_f32_e32 vcc, s4, v5
	v_cndmask_b32_e32 v5, v5, v7, vcc
	v_sqrt_f32_e32 v7, v5
	v_add_u32_e32 v8, -1, v7
	v_add_u32_e32 v9, 1, v7
	v_fma_f32 v10, -v8, v7, v5
	v_fma_f32 v11, -v9, v7, v5
	v_cmp_ge_f32_e64 s[24:25], 0, v10
	v_cndmask_b32_e64 v7, v7, v8, s[24:25]
	v_cmp_lt_f32_e64 s[24:25], 0, v11
	v_cndmask_b32_e64 v7, v7, v9, s[24:25]
	v_mul_f32_e32 v8, 0x37800000, v7
	v_cndmask_b32_e32 v7, v7, v8, vcc
	v_cmp_class_f32_e32 vcc, v5, v27
	v_cndmask_b32_e32 v5, v7, v5, vcc
	v_mul_f32_e32 v7, v1, v5
	s_or_b64 exec, exec, s[68:69]
	v_cmp_class_f32_e64 s[28:29], v7, s5
	s_and_saveexec_b64 s[24:25], s[28:29]
	s_cbranch_execz .LBB38_12
.LBB38_97:                              ;   in Loop: Header=BB38_14 Depth=3
	v_cmp_lt_f32_e32 vcc, v19, v7
	v_cndmask_b32_e32 v19, v19, v7, vcc
	s_branch .LBB38_12
.LBB38_98:                              ;   in Loop: Header=BB38_14 Depth=3
	s_or_b64 exec, exec, s[76:77]
	s_and_saveexec_b64 s[28:29], s[74:75]
	s_xor_b64 s[68:69], exec, s[28:29]
	s_cbranch_execz .LBB38_100
; %bb.99:                               ;   in Loop: Header=BB38_14 Depth=3
	v_lshlrev_b64 v[11:12], 3, v[11:12]
	v_mov_b32_e32 v1, s51
	v_add_co_u32_e32 v11, vcc, s50, v11
	v_lshlrev_b64 v[13:14], 3, v[7:8]
	v_addc_co_u32_e32 v12, vcc, v1, v12, vcc
	v_mov_b32_e32 v1, s61
	v_add_co_u32_e32 v13, vcc, s60, v13
	v_addc_co_u32_e32 v14, vcc, v1, v14, vcc
	global_load_dwordx2 v[11:12], v[11:12], off
	s_nop 0
	global_load_dwordx2 v[13:14], v[13:14], off
	s_waitcnt vmcnt(0)
	v_mul_f32_e64 v1, v14, -v12
	v_mul_f32_e32 v5, v14, v11
	v_fmac_f32_e32 v1, v11, v13
	v_fmac_f32_e32 v5, v12, v13
	v_add_f32_e32 v34, v34, v1
	v_add_f32_e32 v35, v35, v5
.LBB38_100:                             ;   in Loop: Header=BB38_14 Depth=3
	s_or_b64 exec, exec, s[68:69]
.LBB38_101:                             ;   in Loop: Header=BB38_14 Depth=3
	s_or_b64 exec, exec, s[72:73]
                                        ; implicit-def: $vgpr12
                                        ; implicit-def: $vgpr11
                                        ; implicit-def: $vgpr36
	s_andn2_saveexec_b64 s[24:25], s[24:25]
	s_cbranch_execz .LBB38_83
.LBB38_102:                             ;   in Loop: Header=BB38_14 Depth=3
	s_mov_b64 s[74:75], 0
                                        ; implicit-def: $sgpr72_sgpr73
                                        ; implicit-def: $sgpr68_sgpr69
                                        ; implicit-def: $sgpr76_sgpr77
	s_branch .LBB38_104
.LBB38_103:                             ;   in Loop: Header=BB38_104 Depth=4
	s_or_b64 exec, exec, s[28:29]
	s_and_b64 s[28:29], exec, s[68:69]
	s_or_b64 s[74:75], s[28:29], s[74:75]
	s_andn2_b64 s[28:29], s[72:73], exec
	s_and_b64 s[72:73], s[76:77], exec
	s_or_b64 s[72:73], s[28:29], s[72:73]
	s_andn2_b64 exec, exec, s[74:75]
	s_cbranch_execz .LBB38_106
.LBB38_104:                             ;   Parent Loop BB38_5 Depth=1
                                        ;     Parent Loop BB38_9 Depth=2
                                        ;       Parent Loop BB38_14 Depth=3
                                        ; =>      This Inner Loop Header: Depth=4
	v_add_u32_e32 v13, v11, v12
	v_ashrrev_i32_e32 v14, 31, v13
	v_lshlrev_b64 v[15:16], 2, v[13:14]
	v_mov_b32_e32 v1, s41
	v_add_co_u32_e32 v15, vcc, s40, v15
	v_addc_co_u32_e32 v16, vcc, v1, v16, vcc
	global_load_dword v1, v[15:16], off
	s_or_b64 s[76:77], s[76:77], exec
	s_or_b64 s[68:69], s[68:69], exec
	s_waitcnt vmcnt(0)
	v_subrev_u32_e32 v1, s0, v1
	v_cmp_ne_u32_e32 vcc, v1, v3
	s_and_saveexec_b64 s[28:29], vcc
	s_cbranch_execz .LBB38_103
; %bb.105:                              ;   in Loop: Header=BB38_104 Depth=4
	v_add_u32_e32 v12, 1, v12
	v_cmp_ge_i32_e32 vcc, v12, v36
	s_andn2_b64 s[68:69], s[68:69], exec
	s_and_b64 s[82:83], vcc, exec
	s_andn2_b64 s[76:77], s[76:77], exec
	s_or_b64 s[68:69], s[68:69], s[82:83]
	s_branch .LBB38_103
.LBB38_106:                             ;   in Loop: Header=BB38_14 Depth=3
	s_or_b64 exec, exec, s[74:75]
	s_and_saveexec_b64 s[28:29], s[72:73]
	s_xor_b64 s[68:69], exec, s[28:29]
	s_cbranch_execz .LBB38_108
; %bb.107:                              ;   in Loop: Header=BB38_14 Depth=3
	v_lshlrev_b64 v[11:12], 3, v[13:14]
	v_mov_b32_e32 v1, s43
	v_add_co_u32_e32 v11, vcc, s42, v11
	v_addc_co_u32_e32 v12, vcc, v1, v12, vcc
	global_load_dwordx2 v[11:12], v[11:12], off
	s_waitcnt vmcnt(0)
	v_add_f32_e32 v34, v34, v11
	v_add_f32_e32 v35, v35, v12
.LBB38_108:                             ;   in Loop: Header=BB38_14 Depth=3
	s_or_b64 exec, exec, s[68:69]
	s_or_b64 exec, exec, s[24:25]
	v_cmp_eq_u32_e32 vcc, v3, v7
	s_and_saveexec_b64 s[24:25], vcc
	s_cbranch_execnz .LBB38_84
	s_branch .LBB38_85
.LBB38_109:                             ;   in Loop: Header=BB38_14 Depth=3
	v_mov_b32_e32 v14, 0
	v_cmp_neq_f32_e32 vcc, 0, v15
	s_and_saveexec_b64 s[74:75], vcc
	s_cbranch_execz .LBB38_111
; %bb.110:                              ;   in Loop: Header=BB38_14 Depth=3
	v_div_scale_f32 v14, s[24:25], v13, v13, v5
	v_div_scale_f32 v15, vcc, v5, v13, v5
	v_rcp_f32_e32 v16, v14
	v_fma_f32 v37, -v14, v16, 1.0
	v_fmac_f32_e32 v16, v37, v16
	v_mul_f32_e32 v37, v15, v16
	v_fma_f32 v38, -v14, v37, v15
	v_fmac_f32_e32 v37, v38, v16
	v_fma_f32 v14, -v14, v37, v15
	v_div_fmas_f32 v14, v14, v16, v37
	v_div_fixup_f32 v5, v14, v13, v5
	v_fma_f32 v5, v5, v5, 1.0
	v_mul_f32_e32 v14, 0x4f800000, v5
	v_cmp_gt_f32_e32 vcc, s4, v5
	v_cndmask_b32_e32 v5, v5, v14, vcc
	v_sqrt_f32_e32 v14, v5
	v_add_u32_e32 v15, -1, v14
	v_add_u32_e32 v16, 1, v14
	v_fma_f32 v37, -v15, v14, v5
	v_fma_f32 v38, -v16, v14, v5
	v_cmp_ge_f32_e64 s[24:25], 0, v37
	v_cndmask_b32_e64 v14, v14, v15, s[24:25]
	v_cmp_lt_f32_e64 s[24:25], 0, v38
	v_cndmask_b32_e64 v14, v14, v16, s[24:25]
	v_mul_f32_e32 v15, 0x37800000, v14
	v_cndmask_b32_e32 v14, v14, v15, vcc
	v_cmp_class_f32_e32 vcc, v5, v27
	v_cndmask_b32_e32 v5, v14, v5, vcc
	v_mul_f32_e32 v14, v13, v5
.LBB38_111:                             ;   in Loop: Header=BB38_14 Depth=3
	s_or_b64 exec, exec, s[74:75]
                                        ; implicit-def: $vgpr5
                                        ; implicit-def: $vgpr13
	s_andn2_saveexec_b64 s[68:69], s[68:69]
	s_cbranch_execz .LBB38_45
.LBB38_112:                             ;   in Loop: Header=BB38_14 Depth=3
	v_div_scale_f32 v14, s[24:25], v5, v5, v13
	v_div_scale_f32 v15, vcc, v13, v5, v13
	v_rcp_f32_e32 v16, v14
	v_fma_f32 v37, -v14, v16, 1.0
	v_fmac_f32_e32 v16, v37, v16
	v_mul_f32_e32 v37, v15, v16
	v_fma_f32 v38, -v14, v37, v15
	v_fmac_f32_e32 v37, v38, v16
	v_fma_f32 v14, -v14, v37, v15
	v_div_fmas_f32 v14, v14, v16, v37
	v_div_fixup_f32 v13, v14, v5, v13
	v_fma_f32 v13, v13, v13, 1.0
	v_mul_f32_e32 v14, 0x4f800000, v13
	v_cmp_gt_f32_e32 vcc, s4, v13
	v_cndmask_b32_e32 v13, v13, v14, vcc
	v_sqrt_f32_e32 v14, v13
	v_add_u32_e32 v15, -1, v14
	v_add_u32_e32 v16, 1, v14
	v_fma_f32 v37, -v15, v14, v13
	v_fma_f32 v38, -v16, v14, v13
	v_cmp_ge_f32_e64 s[24:25], 0, v37
	v_cndmask_b32_e64 v14, v14, v15, s[24:25]
	v_cmp_lt_f32_e64 s[24:25], 0, v38
	v_cndmask_b32_e64 v14, v14, v16, s[24:25]
	v_mul_f32_e32 v15, 0x37800000, v14
	v_cndmask_b32_e32 v14, v14, v15, vcc
	v_cmp_class_f32_e32 vcc, v13, v27
	v_cndmask_b32_e32 v13, v14, v13, vcc
	v_mul_f32_e32 v14, v5, v13
	s_or_b64 exec, exec, s[68:69]
	v_cmp_class_f32_e64 s[28:29], v14, s5
	s_and_saveexec_b64 s[24:25], s[28:29]
	s_cbranch_execnz .LBB38_46
	s_branch .LBB38_47
.LBB38_113:                             ;   in Loop: Header=BB38_14 Depth=3
	v_mov_b32_e32 v14, 0
	v_cmp_neq_f32_e32 vcc, 0, v15
	s_and_saveexec_b64 s[76:77], vcc
	s_cbranch_execz .LBB38_115
; %bb.114:                              ;   in Loop: Header=BB38_14 Depth=3
	v_div_scale_f32 v14, s[24:25], v13, v13, v5
	v_div_scale_f32 v15, vcc, v5, v13, v5
	v_rcp_f32_e32 v16, v14
	v_fma_f32 v37, -v14, v16, 1.0
	v_fmac_f32_e32 v16, v37, v16
	v_mul_f32_e32 v37, v15, v16
	v_fma_f32 v38, -v14, v37, v15
	v_fmac_f32_e32 v37, v38, v16
	v_fma_f32 v14, -v14, v37, v15
	v_div_fmas_f32 v14, v14, v16, v37
	v_div_fixup_f32 v5, v14, v13, v5
	v_fma_f32 v5, v5, v5, 1.0
	v_mul_f32_e32 v14, 0x4f800000, v5
	v_cmp_gt_f32_e32 vcc, s4, v5
	v_cndmask_b32_e32 v5, v5, v14, vcc
	v_sqrt_f32_e32 v14, v5
	v_add_u32_e32 v15, -1, v14
	v_add_u32_e32 v16, 1, v14
	v_fma_f32 v37, -v15, v14, v5
	v_fma_f32 v38, -v16, v14, v5
	v_cmp_ge_f32_e64 s[24:25], 0, v37
	v_cndmask_b32_e64 v14, v14, v15, s[24:25]
	v_cmp_lt_f32_e64 s[24:25], 0, v38
	v_cndmask_b32_e64 v14, v14, v16, s[24:25]
	v_mul_f32_e32 v15, 0x37800000, v14
	v_cndmask_b32_e32 v14, v14, v15, vcc
	v_cmp_class_f32_e32 vcc, v5, v27
	v_cndmask_b32_e32 v5, v14, v5, vcc
	v_mul_f32_e32 v14, v13, v5
.LBB38_115:                             ;   in Loop: Header=BB38_14 Depth=3
	s_or_b64 exec, exec, s[76:77]
                                        ; implicit-def: $vgpr5
                                        ; implicit-def: $vgpr13
	s_andn2_saveexec_b64 s[68:69], s[68:69]
	s_cbranch_execz .LBB38_75
.LBB38_116:                             ;   in Loop: Header=BB38_14 Depth=3
	v_div_scale_f32 v14, s[24:25], v5, v5, v13
	v_div_scale_f32 v15, vcc, v13, v5, v13
	v_rcp_f32_e32 v16, v14
	v_fma_f32 v37, -v14, v16, 1.0
	v_fmac_f32_e32 v16, v37, v16
	v_mul_f32_e32 v37, v15, v16
	v_fma_f32 v38, -v14, v37, v15
	v_fmac_f32_e32 v37, v38, v16
	v_fma_f32 v14, -v14, v37, v15
	v_div_fmas_f32 v14, v14, v16, v37
	v_div_fixup_f32 v13, v14, v5, v13
	v_fma_f32 v13, v13, v13, 1.0
	v_mul_f32_e32 v14, 0x4f800000, v13
	v_cmp_gt_f32_e32 vcc, s4, v13
	v_cndmask_b32_e32 v13, v13, v14, vcc
	v_sqrt_f32_e32 v14, v13
	v_add_u32_e32 v15, -1, v14
	v_add_u32_e32 v16, 1, v14
	v_fma_f32 v37, -v15, v14, v13
	v_fma_f32 v38, -v16, v14, v13
	v_cmp_ge_f32_e64 s[24:25], 0, v37
	v_cndmask_b32_e64 v14, v14, v15, s[24:25]
	v_cmp_lt_f32_e64 s[24:25], 0, v38
	v_cndmask_b32_e64 v14, v14, v16, s[24:25]
	v_mul_f32_e32 v15, 0x37800000, v14
	v_cndmask_b32_e32 v14, v14, v15, vcc
	v_cmp_class_f32_e32 vcc, v13, v27
	v_cndmask_b32_e32 v13, v14, v13, vcc
	v_mul_f32_e32 v14, v5, v13
	s_or_b64 exec, exec, s[68:69]
	v_cmp_class_f32_e64 s[28:29], v14, s5
	s_and_saveexec_b64 s[24:25], s[28:29]
	s_cbranch_execnz .LBB38_76
	s_branch .LBB38_77
.LBB38_117:                             ;   in Loop: Header=BB38_14 Depth=3
	v_mov_b32_e32 v14, 0
	v_cmp_neq_f32_e32 vcc, 0, v15
	s_and_saveexec_b64 s[82:83], vcc
	s_cbranch_execz .LBB38_119
; %bb.118:                              ;   in Loop: Header=BB38_14 Depth=3
	v_div_scale_f32 v14, s[24:25], v13, v13, v5
	v_div_scale_f32 v15, vcc, v5, v13, v5
	v_rcp_f32_e32 v16, v14
	v_fma_f32 v37, -v14, v16, 1.0
	v_fmac_f32_e32 v16, v37, v16
	v_mul_f32_e32 v37, v15, v16
	v_fma_f32 v38, -v14, v37, v15
	v_fmac_f32_e32 v37, v38, v16
	v_fma_f32 v14, -v14, v37, v15
	v_div_fmas_f32 v14, v14, v16, v37
	v_div_fixup_f32 v5, v14, v13, v5
	v_fma_f32 v5, v5, v5, 1.0
	v_mul_f32_e32 v14, 0x4f800000, v5
	v_cmp_gt_f32_e32 vcc, s4, v5
	v_cndmask_b32_e32 v5, v5, v14, vcc
	v_sqrt_f32_e32 v14, v5
	v_add_u32_e32 v15, -1, v14
	v_add_u32_e32 v16, 1, v14
	v_fma_f32 v37, -v15, v14, v5
	v_fma_f32 v38, -v16, v14, v5
	v_cmp_ge_f32_e64 s[24:25], 0, v37
	v_cndmask_b32_e64 v14, v14, v15, s[24:25]
	v_cmp_lt_f32_e64 s[24:25], 0, v38
	v_cndmask_b32_e64 v14, v14, v16, s[24:25]
	v_mul_f32_e32 v15, 0x37800000, v14
	v_cndmask_b32_e32 v14, v14, v15, vcc
	v_cmp_class_f32_e32 vcc, v5, v27
	v_cndmask_b32_e32 v5, v14, v5, vcc
	v_mul_f32_e32 v14, v13, v5
.LBB38_119:                             ;   in Loop: Header=BB38_14 Depth=3
	s_or_b64 exec, exec, s[82:83]
                                        ; implicit-def: $vgpr5
                                        ; implicit-def: $vgpr13
	s_andn2_saveexec_b64 s[68:69], s[68:69]
	s_cbranch_execz .LBB38_59
.LBB38_120:                             ;   in Loop: Header=BB38_14 Depth=3
	v_div_scale_f32 v14, s[24:25], v5, v5, v13
	v_div_scale_f32 v15, vcc, v13, v5, v13
	v_rcp_f32_e32 v16, v14
	v_fma_f32 v37, -v14, v16, 1.0
	v_fmac_f32_e32 v16, v37, v16
	v_mul_f32_e32 v37, v15, v16
	v_fma_f32 v38, -v14, v37, v15
	v_fmac_f32_e32 v37, v38, v16
	v_fma_f32 v14, -v14, v37, v15
	v_div_fmas_f32 v14, v14, v16, v37
	v_div_fixup_f32 v13, v14, v5, v13
	v_fma_f32 v13, v13, v13, 1.0
	v_mul_f32_e32 v14, 0x4f800000, v13
	v_cmp_gt_f32_e32 vcc, s4, v13
	v_cndmask_b32_e32 v13, v13, v14, vcc
	v_sqrt_f32_e32 v14, v13
	v_add_u32_e32 v15, -1, v14
	v_add_u32_e32 v16, 1, v14
	v_fma_f32 v37, -v15, v14, v13
	v_fma_f32 v38, -v16, v14, v13
	v_cmp_ge_f32_e64 s[24:25], 0, v37
	v_cndmask_b32_e64 v14, v14, v15, s[24:25]
	v_cmp_lt_f32_e64 s[24:25], 0, v38
	v_cndmask_b32_e64 v14, v14, v16, s[24:25]
	v_mul_f32_e32 v15, 0x37800000, v14
	v_cndmask_b32_e32 v14, v14, v15, vcc
	v_cmp_class_f32_e32 vcc, v13, v27
	v_cndmask_b32_e32 v13, v14, v13, vcc
	v_mul_f32_e32 v14, v5, v13
	s_or_b64 exec, exec, s[68:69]
	v_cmp_class_f32_e64 s[28:29], v14, s5
	s_and_saveexec_b64 s[24:25], s[28:29]
	s_cbranch_execnz .LBB38_60
	s_branch .LBB38_61
.LBB38_121:                             ;   in Loop: Header=BB38_5 Depth=1
	s_and_b64 vcc, exec, s[64:65]
	s_cbranch_vccz .LBB38_139
; %bb.122:                              ;   in Loop: Header=BB38_5 Depth=1
	v_mov_b32_dpp v1, v22 row_shr:1 row_mask:0xf bank_mask:0xf
	v_cmp_lt_f32_e32 vcc, v22, v1
	v_cndmask_b32_e32 v1, v22, v1, vcc
	s_nop 1
	v_mov_b32_dpp v3, v1 row_shr:2 row_mask:0xf bank_mask:0xf
	v_cmp_lt_f32_e32 vcc, v1, v3
	v_cndmask_b32_e32 v1, v1, v3, vcc
	s_nop 1
	v_mov_b32_dpp v3, v1 row_shr:4 row_mask:0xf bank_mask:0xe
	s_mov_b64 s[22:23], exec
	v_readlane_b32 s2, v43, 10
	v_readlane_b32 s3, v43, 11
	s_and_b64 s[2:3], s[22:23], s[2:3]
	s_mov_b64 exec, s[2:3]
; %bb.123:                              ;   in Loop: Header=BB38_5 Depth=1
	v_cmp_lt_f32_e32 vcc, v1, v3
	v_cndmask_b32_e32 v1, v1, v3, vcc
	ds_write_b32 v24, v1
; %bb.124:                              ;   in Loop: Header=BB38_5 Depth=1
	s_or_b64 exec, exec, s[22:23]
	s_waitcnt vmcnt(0) lgkmcnt(0)
	s_barrier
	s_and_saveexec_b64 s[22:23], s[6:7]
	s_cbranch_execz .LBB38_126
; %bb.125:                              ;   in Loop: Header=BB38_5 Depth=1
	ds_read2st64_b32 v[3:4], v17 offset1:1
	s_waitcnt lgkmcnt(0)
	v_cmp_lt_f32_e32 vcc, v3, v4
	v_cndmask_b32_e32 v1, v3, v4, vcc
	ds_write_b32 v17, v1
.LBB38_126:                             ;   in Loop: Header=BB38_5 Depth=1
	s_or_b64 exec, exec, s[22:23]
	s_waitcnt lgkmcnt(0)
	s_barrier
	s_and_saveexec_b64 s[22:23], s[8:9]
	s_cbranch_execz .LBB38_128
; %bb.127:                              ;   in Loop: Header=BB38_5 Depth=1
	ds_read2_b32 v[3:4], v17 offset1:32
	s_waitcnt lgkmcnt(0)
	v_cmp_lt_f32_e32 vcc, v3, v4
	v_cndmask_b32_e32 v1, v3, v4, vcc
	ds_write_b32 v17, v1
.LBB38_128:                             ;   in Loop: Header=BB38_5 Depth=1
	s_or_b64 exec, exec, s[22:23]
	s_waitcnt lgkmcnt(0)
	s_barrier
	s_and_saveexec_b64 s[22:23], s[10:11]
	s_cbranch_execz .LBB38_130
; %bb.129:                              ;   in Loop: Header=BB38_5 Depth=1
	ds_read2_b32 v[3:4], v17 offset1:16
	s_waitcnt lgkmcnt(0)
	v_cmp_lt_f32_e32 vcc, v3, v4
	v_cndmask_b32_e32 v1, v3, v4, vcc
	ds_write_b32 v17, v1
.LBB38_130:                             ;   in Loop: Header=BB38_5 Depth=1
	;; [unrolled: 12-line block ×5, first 2 shown]
	s_or_b64 exec, exec, s[22:23]
	s_waitcnt lgkmcnt(0)
	s_barrier
	s_and_saveexec_b64 s[22:23], s[18:19]
	s_cbranch_execz .LBB38_138
; %bb.137:                              ;   in Loop: Header=BB38_5 Depth=1
	ds_read_b64 v[3:4], v2
	s_waitcnt lgkmcnt(0)
	v_cmp_lt_f32_e32 vcc, v3, v4
	v_cndmask_b32_e32 v1, v3, v4, vcc
	ds_write_b32 v2, v1
.LBB38_138:                             ;   in Loop: Header=BB38_5 Depth=1
	s_or_b64 exec, exec, s[22:23]
	v_readlane_b32 s2, v43, 4
	v_readlane_b32 s3, v43, 5
	s_waitcnt lgkmcnt(0)
	s_barrier
	ds_read_b32 v1, v2
	s_load_dword s22, s[2:3], 0x0
	s_waitcnt lgkmcnt(0)
	v_div_scale_f32 v3, s[2:3], s22, s22, v1
	v_div_scale_f32 v4, vcc, v1, s22, v1
	v_rcp_f32_e32 v5, v3
	v_fma_f32 v6, -v3, v5, 1.0
	v_fmac_f32_e32 v5, v6, v5
	v_mul_f32_e32 v6, v4, v5
	v_fma_f32 v7, -v3, v6, v4
	v_fmac_f32_e32 v6, v7, v5
	v_fma_f32 v3, -v3, v6, v4
	v_div_fmas_f32 v3, v3, v5, v6
	v_div_fixup_f32 v22, v3, s22, v1
.LBB38_139:                             ;   in Loop: Header=BB38_5 Depth=1
	s_andn2_b64 vcc, exec, s[34:35]
	s_cbranch_vccnz .LBB38_157
; %bb.140:                              ;   in Loop: Header=BB38_5 Depth=1
	v_mov_b32_dpp v1, v19 row_shr:1 row_mask:0xf bank_mask:0xf
	v_cmp_lt_f32_e32 vcc, v19, v1
	v_cndmask_b32_e32 v1, v19, v1, vcc
	s_nop 1
	v_mov_b32_dpp v3, v1 row_shr:2 row_mask:0xf bank_mask:0xf
	v_cmp_lt_f32_e32 vcc, v1, v3
	v_cndmask_b32_e32 v1, v1, v3, vcc
	s_nop 1
	v_mov_b32_dpp v3, v1 row_shr:4 row_mask:0xf bank_mask:0xe
	s_mov_b64 s[22:23], exec
	v_readlane_b32 s2, v43, 10
	v_readlane_b32 s3, v43, 11
	s_and_b64 s[2:3], s[22:23], s[2:3]
	s_mov_b64 exec, s[2:3]
; %bb.141:                              ;   in Loop: Header=BB38_5 Depth=1
	v_cmp_lt_f32_e32 vcc, v1, v3
	v_cndmask_b32_e32 v1, v1, v3, vcc
	ds_write_b32 v24, v1
; %bb.142:                              ;   in Loop: Header=BB38_5 Depth=1
	s_or_b64 exec, exec, s[22:23]
	s_waitcnt vmcnt(0) lgkmcnt(0)
	s_barrier
	s_and_saveexec_b64 s[22:23], s[6:7]
	s_cbranch_execz .LBB38_144
; %bb.143:                              ;   in Loop: Header=BB38_5 Depth=1
	ds_read2st64_b32 v[3:4], v17 offset1:1
	s_waitcnt lgkmcnt(0)
	v_cmp_lt_f32_e32 vcc, v3, v4
	v_cndmask_b32_e32 v1, v3, v4, vcc
	ds_write_b32 v17, v1
.LBB38_144:                             ;   in Loop: Header=BB38_5 Depth=1
	s_or_b64 exec, exec, s[22:23]
	s_waitcnt lgkmcnt(0)
	s_barrier
	s_and_saveexec_b64 s[22:23], s[8:9]
	s_cbranch_execz .LBB38_146
; %bb.145:                              ;   in Loop: Header=BB38_5 Depth=1
	ds_read2_b32 v[3:4], v17 offset1:32
	s_waitcnt lgkmcnt(0)
	v_cmp_lt_f32_e32 vcc, v3, v4
	v_cndmask_b32_e32 v1, v3, v4, vcc
	ds_write_b32 v17, v1
.LBB38_146:                             ;   in Loop: Header=BB38_5 Depth=1
	s_or_b64 exec, exec, s[22:23]
	s_waitcnt lgkmcnt(0)
	s_barrier
	s_and_saveexec_b64 s[22:23], s[10:11]
	s_cbranch_execz .LBB38_148
; %bb.147:                              ;   in Loop: Header=BB38_5 Depth=1
	ds_read2_b32 v[3:4], v17 offset1:16
	s_waitcnt lgkmcnt(0)
	v_cmp_lt_f32_e32 vcc, v3, v4
	v_cndmask_b32_e32 v1, v3, v4, vcc
	ds_write_b32 v17, v1
.LBB38_148:                             ;   in Loop: Header=BB38_5 Depth=1
	;; [unrolled: 12-line block ×5, first 2 shown]
	s_or_b64 exec, exec, s[22:23]
	s_waitcnt lgkmcnt(0)
	s_barrier
	s_and_saveexec_b64 s[22:23], s[18:19]
	s_cbranch_execz .LBB38_156
; %bb.155:                              ;   in Loop: Header=BB38_5 Depth=1
	ds_read_b64 v[3:4], v2
	s_waitcnt lgkmcnt(0)
	v_cmp_lt_f32_e32 vcc, v3, v4
	v_cndmask_b32_e32 v1, v3, v4, vcc
	ds_write_b32 v2, v1
.LBB38_156:                             ;   in Loop: Header=BB38_5 Depth=1
	s_or_b64 exec, exec, s[22:23]
	v_readlane_b32 s2, v43, 4
	v_readlane_b32 s3, v43, 5
	s_waitcnt lgkmcnt(0)
	s_barrier
	ds_read_b32 v1, v2
	s_load_dword s22, s[2:3], 0x0
	s_waitcnt lgkmcnt(0)
	v_div_scale_f32 v3, s[2:3], s22, s22, v1
	v_div_scale_f32 v4, vcc, v1, s22, v1
	v_rcp_f32_e32 v5, v3
	v_fma_f32 v6, -v3, v5, 1.0
	v_fmac_f32_e32 v5, v6, v5
	v_mul_f32_e32 v6, v4, v5
	v_fma_f32 v7, -v3, v6, v4
	v_fmac_f32_e32 v6, v7, v5
	v_fma_f32 v3, -v3, v6, v4
	v_div_fmas_f32 v3, v3, v5, v6
	v_div_fixup_f32 v19, v3, s22, v1
.LBB38_157:                             ;   in Loop: Header=BB38_5 Depth=1
	s_mov_b64 s[22:23], exec
	v_readlane_b32 s2, v43, 8
	v_readlane_b32 s3, v43, 9
	s_and_b64 s[2:3], s[22:23], s[2:3]
	s_mov_b64 exec, s[2:3]
	s_cbranch_execz .LBB38_169
; %bb.158:                              ;   in Loop: Header=BB38_5 Depth=1
	s_mov_b64 s[24:25], 0
	v_mov_b32_e32 v3, v21
	s_branch .LBB38_160
.LBB38_159:                             ;   in Loop: Header=BB38_160 Depth=2
	s_or_b64 exec, exec, s[26:27]
	v_add_u32_e32 v3, 0x80, v3
	v_cmp_le_u32_e32 vcc, s1, v3
	s_or_b64 s[24:25], vcc, s[24:25]
	s_andn2_b64 exec, exec, s[24:25]
	s_cbranch_execz .LBB38_169
.LBB38_160:                             ;   Parent Loop BB38_5 Depth=1
                                        ; =>  This Loop Header: Depth=2
                                        ;       Child Loop BB38_163 Depth 3
                                        ;       Child Loop BB38_166 Depth 3
	v_cmp_gt_i32_e32 vcc, s71, v3
	s_and_saveexec_b64 s[26:27], vcc
	s_cbranch_execz .LBB38_159
; %bb.161:                              ;   in Loop: Header=BB38_160 Depth=2
	v_ashrrev_i32_e32 v4, 31, v3
	v_lshlrev_b64 v[5:6], 2, v[3:4]
	v_mov_b32_e32 v1, s45
	v_add_co_u32_e32 v7, vcc, s44, v5
	v_addc_co_u32_e32 v8, vcc, v1, v6, vcc
	global_load_dword v1, v[7:8], off
	v_mov_b32_e32 v8, s47
	v_add_co_u32_e32 v7, vcc, s46, v5
	v_addc_co_u32_e32 v8, vcc, v8, v6, vcc
	global_load_dword v8, v[7:8], off
	s_waitcnt vmcnt(1)
	v_add_u32_e32 v7, v25, v1
	s_waitcnt vmcnt(0)
	v_subrev_u32_e32 v1, s33, v8
	v_cmp_lt_i32_e32 vcc, v7, v1
	s_and_saveexec_b64 s[68:69], vcc
	s_cbranch_execz .LBB38_164
; %bb.162:                              ;   in Loop: Header=BB38_160 Depth=2
	v_ashrrev_i32_e32 v8, 31, v7
	v_lshlrev_b64 v[10:11], 3, v[7:8]
	v_mov_b32_e32 v9, s79
	v_add_co_u32_e32 v8, vcc, s78, v10
	v_addc_co_u32_e32 v9, vcc, v9, v11, vcc
	v_mov_b32_e32 v12, s51
	v_add_co_u32_e32 v10, vcc, s50, v10
	v_addc_co_u32_e32 v11, vcc, v12, v11, vcc
	s_mov_b64 s[72:73], 0
.LBB38_163:                             ;   Parent Loop BB38_5 Depth=1
                                        ;     Parent Loop BB38_160 Depth=2
                                        ; =>    This Inner Loop Header: Depth=3
	global_load_dwordx2 v[12:13], v[8:9], off
	v_add_co_u32_e32 v8, vcc, 64, v8
	v_add_u32_e32 v7, 8, v7
	v_addc_co_u32_e32 v9, vcc, 0, v9, vcc
	v_cmp_ge_i32_e32 vcc, v7, v1
	s_or_b64 s[72:73], vcc, s[72:73]
	s_waitcnt vmcnt(0)
	global_store_dwordx2 v[10:11], v[12:13], off
	v_add_co_u32_e32 v10, vcc, 64, v10
	v_addc_co_u32_e32 v11, vcc, 0, v11, vcc
	s_andn2_b64 exec, exec, s[72:73]
	s_cbranch_execnz .LBB38_163
.LBB38_164:                             ;   in Loop: Header=BB38_160 Depth=2
	s_or_b64 exec, exec, s[68:69]
	v_mov_b32_e32 v1, s37
	v_add_co_u32_e32 v7, vcc, s36, v5
	v_addc_co_u32_e32 v8, vcc, v1, v6, vcc
	global_load_dword v1, v[7:8], off
	v_mov_b32_e32 v7, s39
	v_add_co_u32_e32 v5, vcc, s38, v5
	v_addc_co_u32_e32 v6, vcc, v7, v6, vcc
	global_load_dword v6, v[5:6], off
	s_waitcnt vmcnt(1)
	v_add_u32_e32 v5, v26, v1
	s_waitcnt vmcnt(0)
	v_subrev_u32_e32 v1, s0, v6
	v_cmp_lt_i32_e32 vcc, v5, v1
	s_and_saveexec_b64 s[68:69], vcc
	s_cbranch_execz .LBB38_167
; %bb.165:                              ;   in Loop: Header=BB38_160 Depth=2
	v_ashrrev_i32_e32 v6, 31, v5
	v_lshlrev_b64 v[8:9], 3, v[5:6]
	v_mov_b32_e32 v7, s81
	v_add_co_u32_e32 v6, vcc, s80, v8
	v_addc_co_u32_e32 v7, vcc, v7, v9, vcc
	v_mov_b32_e32 v10, s43
	v_add_co_u32_e32 v8, vcc, s42, v8
	v_addc_co_u32_e32 v9, vcc, v10, v9, vcc
	s_mov_b64 s[72:73], 0
.LBB38_166:                             ;   Parent Loop BB38_5 Depth=1
                                        ;     Parent Loop BB38_160 Depth=2
                                        ; =>    This Inner Loop Header: Depth=3
	global_load_dwordx2 v[10:11], v[6:7], off
	v_add_co_u32_e32 v6, vcc, 64, v6
	v_add_u32_e32 v5, 8, v5
	v_addc_co_u32_e32 v7, vcc, 0, v7, vcc
	v_cmp_ge_i32_e32 vcc, v5, v1
	s_or_b64 s[72:73], vcc, s[72:73]
	s_waitcnt vmcnt(0)
	global_store_dwordx2 v[8:9], v[10:11], off
	v_add_co_u32_e32 v8, vcc, 64, v8
	v_addc_co_u32_e32 v9, vcc, 0, v9, vcc
	s_andn2_b64 exec, exec, s[72:73]
	s_cbranch_execnz .LBB38_166
.LBB38_167:                             ;   in Loop: Header=BB38_160 Depth=2
	s_or_b64 exec, exec, s[68:69]
	s_and_b64 exec, exec, s[20:21]
	s_cbranch_execz .LBB38_159
; %bb.168:                              ;   in Loop: Header=BB38_160 Depth=2
	v_lshlrev_b64 v[4:5], 3, v[3:4]
	v_mov_b32_e32 v1, s63
	v_add_co_u32_e32 v6, vcc, s62, v4
	v_addc_co_u32_e32 v7, vcc, v1, v5, vcc
	global_load_dwordx2 v[6:7], v[6:7], off
	v_mov_b32_e32 v1, s61
	v_add_co_u32_e32 v4, vcc, s60, v4
	v_addc_co_u32_e32 v5, vcc, v1, v5, vcc
	s_waitcnt vmcnt(0)
	global_store_dwordx2 v[4:5], v[6:7], off
	s_branch .LBB38_159
.LBB38_169:                             ;   in Loop: Header=BB38_5 Depth=1
	s_or_b64 exec, exec, s[22:23]
	s_mov_b64 s[24:25], -1
	s_and_b64 vcc, exec, s[66:67]
	s_mov_b64 s[26:27], -1
	s_cbranch_vccz .LBB38_179
; %bb.170:                              ;   in Loop: Header=BB38_5 Depth=1
	v_readlane_b32 s2, v43, 12
	v_readlane_b32 s3, v43, 13
	s_mov_b64 s[22:23], -1
	s_and_b64 vcc, exec, s[2:3]
                                        ; implicit-def: $sgpr26_sgpr27
	s_cbranch_vccz .LBB38_176
; %bb.171:                              ;   in Loop: Header=BB38_5 Depth=1
	v_readlane_b32 s2, v43, 6
	v_readlane_b32 s3, v43, 7
	s_and_b64 vcc, exec, s[2:3]
                                        ; implicit-def: $sgpr26_sgpr27
	s_cbranch_vccz .LBB38_173
; %bb.172:                              ;   in Loop: Header=BB38_5 Depth=1
	v_cmp_ge_f32_e64 s[26:27], s70, v19
	s_mov_b64 s[22:23], 0
.LBB38_173:                             ;   in Loop: Header=BB38_5 Depth=1
	s_andn2_b64 vcc, exec, s[22:23]
	s_cbranch_vccnz .LBB38_175
; %bb.174:                              ;   in Loop: Header=BB38_5 Depth=1
	v_cmp_ge_f32_e32 vcc, s70, v22
	s_andn2_b64 s[2:3], s[26:27], exec
	s_and_b64 s[22:23], vcc, exec
	s_or_b64 s[26:27], s[2:3], s[22:23]
.LBB38_175:                             ;   in Loop: Header=BB38_5 Depth=1
	s_mov_b64 s[22:23], 0
.LBB38_176:                             ;   in Loop: Header=BB38_5 Depth=1
	s_andn2_b64 vcc, exec, s[22:23]
	s_cbranch_vccnz .LBB38_178
; %bb.177:                              ;   in Loop: Header=BB38_5 Depth=1
	v_cmp_ge_f32_e32 vcc, s70, v22
	v_cmp_ge_f32_e64 s[22:23], s70, v19
	s_and_b64 s[2:3], vcc, s[22:23]
	s_andn2_b64 s[22:23], s[26:27], exec
	s_and_b64 s[2:3], s[2:3], exec
	s_or_b64 s[26:27], s[22:23], s[2:3]
.LBB38_178:                             ;   in Loop: Header=BB38_5 Depth=1
	s_xor_b64 s[26:27], s[26:27], -1
.LBB38_179:                             ;   in Loop: Header=BB38_5 Depth=1
	v_mov_b32_e32 v1, s30
	s_and_saveexec_b64 s[22:23], s[26:27]
	s_cbranch_execz .LBB38_4
; %bb.180:                              ;   in Loop: Header=BB38_5 Depth=1
	v_readlane_b32 s2, v43, 0
	s_add_i32 s30, s30, 1
	v_readlane_b32 s3, v43, 1
	s_cmp_eq_u32 s30, s3
	s_mov_b32 s25, s3
	s_cselect_b64 s[2:3], -1, 0
	v_mov_b32_e32 v1, s25
	s_orn2_b64 s[24:25], s[2:3], exec
	s_branch .LBB38_4
.LBB38_181:
	s_or_b64 exec, exec, s[84:85]
	v_readlane_b32 s4, v43, 14
	v_readlane_b32 s5, v43, 15
	s_load_dwordx4 s[8:11], s[4:5], 0xb8
	v_readlane_b32 s6, v43, 2
	v_readlane_b32 s7, v43, 3
	s_or_b64 exec, exec, s[6:7]
	s_andn2_b64 vcc, exec, s[66:67]
	s_cbranch_vccnz .LBB38_2
.LBB38_182:
	v_mov_b32_dpp v2, v1 row_shr:1 row_mask:0xf bank_mask:0xf
	v_max_i32_e32 v1, v1, v2
	v_cmp_eq_u32_e32 vcc, 7, v20
	s_nop 0
	v_mov_b32_dpp v2, v1 row_shr:2 row_mask:0xf bank_mask:0xf
	v_max_i32_e32 v1, v1, v2
	s_nop 1
	v_mov_b32_dpp v2, v1 row_shr:4 row_mask:0xf bank_mask:0xe
	s_and_saveexec_b64 s[0:1], vcc
; %bb.183:
	v_lshlrev_b32_e32 v3, 2, v18
	v_max_i32_e32 v1, v1, v2
	ds_write_b32 v3, v1 offset:512
; %bb.184:
	s_or_b64 exec, exec, s[0:1]
	v_cmp_gt_u32_e32 vcc, 64, v0
	s_waitcnt vmcnt(0) lgkmcnt(0)
	s_barrier
	s_and_saveexec_b64 s[0:1], vcc
	s_cbranch_execz .LBB38_186
; %bb.185:
	ds_read2st64_b32 v[1:2], v17 offset0:2 offset1:3
	s_waitcnt lgkmcnt(0)
	v_max_i32_e32 v1, v1, v2
	ds_write_b32 v17, v1 offset:512
.LBB38_186:
	s_or_b64 exec, exec, s[0:1]
	v_cmp_gt_u32_e32 vcc, 32, v0
	s_waitcnt lgkmcnt(0)
	s_barrier
	s_and_saveexec_b64 s[0:1], vcc
	s_cbranch_execz .LBB38_188
; %bb.187:
	ds_read2_b32 v[1:2], v17 offset0:128 offset1:160
	s_waitcnt lgkmcnt(0)
	v_max_i32_e32 v1, v1, v2
	ds_write_b32 v17, v1 offset:512
.LBB38_188:
	s_or_b64 exec, exec, s[0:1]
	v_cmp_gt_u32_e32 vcc, 16, v0
	s_waitcnt lgkmcnt(0)
	s_barrier
	s_and_saveexec_b64 s[0:1], vcc
	s_cbranch_execz .LBB38_190
; %bb.189:
	ds_read2_b32 v[1:2], v17 offset0:128 offset1:144
	s_waitcnt lgkmcnt(0)
	v_max_i32_e32 v1, v1, v2
	ds_write_b32 v17, v1 offset:512
.LBB38_190:
	;; [unrolled: 12-line block ×5, first 2 shown]
	s_or_b64 exec, exec, s[0:1]
	v_cmp_eq_u32_e32 vcc, 0, v0
	s_waitcnt lgkmcnt(0)
	s_barrier
	s_and_saveexec_b64 s[0:1], vcc
	s_cbranch_execz .LBB38_198
; %bb.197:
	v_mov_b32_e32 v3, 0
	ds_read_b64 v[1:2], v3 offset:512
	s_waitcnt lgkmcnt(0)
	v_max_i32_e32 v1, v1, v2
	ds_write_b32 v3, v1 offset:512
.LBB38_198:
	s_or_b64 exec, exec, s[0:1]
	s_waitcnt lgkmcnt(0)
	s_barrier
	s_and_saveexec_b64 s[0:1], vcc
	s_cbranch_execz .LBB38_201
; %bb.199:
	v_mbcnt_lo_u32_b32 v1, exec_lo, 0
	v_mbcnt_hi_u32_b32 v1, exec_hi, v1
	v_cmp_eq_u32_e32 vcc, 0, v1
	s_and_b64 exec, exec, vcc
	s_cbranch_execz .LBB38_201
; %bb.200:
	v_mov_b32_e32 v1, 0
	ds_read_b32 v2, v1 offset:512
	s_load_dwordx2 s[2:3], s[4:5], 0x8
	s_waitcnt lgkmcnt(0)
	v_add_u32_e32 v2, 1, v2
	global_atomic_smax v1, v2, s[2:3]
.LBB38_201:
	s_or_b64 exec, exec, s[0:1]
	v_cmp_eq_u32_e32 vcc, 0, v0
	s_and_b64 s[0:1], vcc, s[64:65]
	s_and_saveexec_b64 s[2:3], s[0:1]
	s_cbranch_execz .LBB38_208
.LBB38_202:
	s_mov_b64 s[0:1], exec
	v_mov_b32_e32 v0, 0x7fc00000
.LBB38_203:                             ; =>This Inner Loop Header: Depth=1
	s_ff1_i32_b64 s4, s[0:1]
	v_readlane_b32 s6, v22, s4
	s_lshl_b64 s[4:5], 1, s4
	v_max_f32_e32 v0, v0, v0
	v_max_f32_e64 v1, s6, s6
	s_andn2_b64 s[0:1], s[0:1], s[4:5]
	s_cmp_lg_u64 s[0:1], 0
	v_max_f32_e32 v0, v0, v1
	s_cbranch_scc1 .LBB38_203
; %bb.204:
	v_mbcnt_lo_u32_b32 v1, exec_lo, 0
	v_mbcnt_hi_u32_b32 v1, exec_hi, v1
	v_cmp_eq_u32_e64 s[0:1], 0, v1
	s_and_saveexec_b64 s[4:5], s[0:1]
	s_xor_b64 s[4:5], exec, s[4:5]
	s_cbranch_execz .LBB38_208
; %bb.205:
	v_mov_b32_e32 v2, 0
	s_waitcnt lgkmcnt(0)
	global_load_dword v1, v2, s[8:9]
	s_mov_b64 s[4:5], 0
	v_max_f32_e32 v3, v0, v0
.LBB38_206:                             ; =>This Inner Loop Header: Depth=1
	s_waitcnt vmcnt(0)
	v_max_f32_e32 v0, v1, v1
	v_max_f32_e32 v0, v0, v3
	global_atomic_cmpswap v0, v2, v[0:1], s[8:9] glc
	s_waitcnt vmcnt(0)
	v_cmp_eq_u32_e64 s[0:1], v0, v1
	s_or_b64 s[4:5], s[0:1], s[4:5]
	v_mov_b32_e32 v1, v0
	s_andn2_b64 exec, exec, s[4:5]
	s_cbranch_execnz .LBB38_206
; %bb.207:
	s_or_b64 exec, exec, s[4:5]
.LBB38_208:
	s_or_b64 exec, exec, s[2:3]
	s_and_b64 s[0:1], vcc, s[34:35]
	s_and_saveexec_b64 s[2:3], s[0:1]
	s_cbranch_execz .LBB38_214
; %bb.209:
	s_mov_b64 s[0:1], exec
	v_mov_b32_e32 v0, 0x7fc00000
.LBB38_210:                             ; =>This Inner Loop Header: Depth=1
	s_ff1_i32_b64 s2, s[0:1]
	v_readlane_b32 s4, v19, s2
	s_lshl_b64 s[2:3], 1, s2
	v_max_f32_e32 v0, v0, v0
	v_max_f32_e64 v1, s4, s4
	s_andn2_b64 s[0:1], s[0:1], s[2:3]
	s_cmp_lg_u64 s[0:1], 0
	v_max_f32_e32 v0, v0, v1
	s_cbranch_scc1 .LBB38_210
; %bb.211:
	v_mbcnt_lo_u32_b32 v1, exec_lo, 0
	v_mbcnt_hi_u32_b32 v1, exec_hi, v1
	v_cmp_eq_u32_e32 vcc, 0, v1
	s_and_saveexec_b64 s[0:1], vcc
	s_xor_b64 s[0:1], exec, s[0:1]
	s_cbranch_execz .LBB38_214
; %bb.212:
	v_mov_b32_e32 v2, 0
	s_waitcnt lgkmcnt(0)
	global_load_dword v1, v2, s[10:11]
	s_mov_b64 s[0:1], 0
	v_max_f32_e32 v3, v0, v0
.LBB38_213:                             ; =>This Inner Loop Header: Depth=1
	s_waitcnt vmcnt(0)
	v_max_f32_e32 v0, v1, v1
	v_max_f32_e32 v0, v0, v3
	global_atomic_cmpswap v0, v2, v[0:1], s[10:11] glc
	s_waitcnt vmcnt(0)
	v_cmp_eq_u32_e32 vcc, v0, v1
	s_or_b64 s[0:1], vcc, s[0:1]
	v_mov_b32_e32 v1, v0
	s_andn2_b64 exec, exec, s[0:1]
	s_cbranch_execnz .LBB38_213
.LBB38_214:
	s_endpgm
	.section	.rodata,"a",@progbits
	.p2align	6, 0x0
	.amdhsa_kernel _ZN9rocsparseL6kernelILi1024ELi8E21rocsparse_complex_numIfEiiEEvbbbT3_PS3_NS_15floating_traitsIT1_E6data_tES3_T2_PKS9_SB_PKS3_PKS6_21rocsparse_index_base_SB_SB_SD_PS6_SH_SG_SB_SB_SD_SH_SH_SG_SH_SH_PS8_SI_PKS8_
		.amdhsa_group_segment_fixed_size 1024
		.amdhsa_private_segment_fixed_size 0
		.amdhsa_kernarg_size 208
		.amdhsa_user_sgpr_count 6
		.amdhsa_user_sgpr_private_segment_buffer 1
		.amdhsa_user_sgpr_dispatch_ptr 0
		.amdhsa_user_sgpr_queue_ptr 0
		.amdhsa_user_sgpr_kernarg_segment_ptr 1
		.amdhsa_user_sgpr_dispatch_id 0
		.amdhsa_user_sgpr_flat_scratch_init 0
		.amdhsa_user_sgpr_private_segment_size 0
		.amdhsa_uses_dynamic_stack 0
		.amdhsa_system_sgpr_private_segment_wavefront_offset 0
		.amdhsa_system_sgpr_workgroup_id_x 1
		.amdhsa_system_sgpr_workgroup_id_y 0
		.amdhsa_system_sgpr_workgroup_id_z 0
		.amdhsa_system_sgpr_workgroup_info 0
		.amdhsa_system_vgpr_workitem_id 0
		.amdhsa_next_free_vgpr 44
		.amdhsa_next_free_sgpr 96
		.amdhsa_reserve_vcc 1
		.amdhsa_reserve_flat_scratch 0
		.amdhsa_float_round_mode_32 0
		.amdhsa_float_round_mode_16_64 0
		.amdhsa_float_denorm_mode_32 3
		.amdhsa_float_denorm_mode_16_64 3
		.amdhsa_dx10_clamp 1
		.amdhsa_ieee_mode 1
		.amdhsa_fp16_overflow 0
		.amdhsa_exception_fp_ieee_invalid_op 0
		.amdhsa_exception_fp_denorm_src 0
		.amdhsa_exception_fp_ieee_div_zero 0
		.amdhsa_exception_fp_ieee_overflow 0
		.amdhsa_exception_fp_ieee_underflow 0
		.amdhsa_exception_fp_ieee_inexact 0
		.amdhsa_exception_int_div_zero 0
	.end_amdhsa_kernel
	.section	.text._ZN9rocsparseL6kernelILi1024ELi8E21rocsparse_complex_numIfEiiEEvbbbT3_PS3_NS_15floating_traitsIT1_E6data_tES3_T2_PKS9_SB_PKS3_PKS6_21rocsparse_index_base_SB_SB_SD_PS6_SH_SG_SB_SB_SD_SH_SH_SG_SH_SH_PS8_SI_PKS8_,"axG",@progbits,_ZN9rocsparseL6kernelILi1024ELi8E21rocsparse_complex_numIfEiiEEvbbbT3_PS3_NS_15floating_traitsIT1_E6data_tES3_T2_PKS9_SB_PKS3_PKS6_21rocsparse_index_base_SB_SB_SD_PS6_SH_SG_SB_SB_SD_SH_SH_SG_SH_SH_PS8_SI_PKS8_,comdat
.Lfunc_end38:
	.size	_ZN9rocsparseL6kernelILi1024ELi8E21rocsparse_complex_numIfEiiEEvbbbT3_PS3_NS_15floating_traitsIT1_E6data_tES3_T2_PKS9_SB_PKS3_PKS6_21rocsparse_index_base_SB_SB_SD_PS6_SH_SG_SB_SB_SD_SH_SH_SG_SH_SH_PS8_SI_PKS8_, .Lfunc_end38-_ZN9rocsparseL6kernelILi1024ELi8E21rocsparse_complex_numIfEiiEEvbbbT3_PS3_NS_15floating_traitsIT1_E6data_tES3_T2_PKS9_SB_PKS3_PKS6_21rocsparse_index_base_SB_SB_SD_PS6_SH_SG_SB_SB_SD_SH_SH_SG_SH_SH_PS8_SI_PKS8_
                                        ; -- End function
	.set _ZN9rocsparseL6kernelILi1024ELi8E21rocsparse_complex_numIfEiiEEvbbbT3_PS3_NS_15floating_traitsIT1_E6data_tES3_T2_PKS9_SB_PKS3_PKS6_21rocsparse_index_base_SB_SB_SD_PS6_SH_SG_SB_SB_SD_SH_SH_SG_SH_SH_PS8_SI_PKS8_.num_vgpr, 44
	.set _ZN9rocsparseL6kernelILi1024ELi8E21rocsparse_complex_numIfEiiEEvbbbT3_PS3_NS_15floating_traitsIT1_E6data_tES3_T2_PKS9_SB_PKS3_PKS6_21rocsparse_index_base_SB_SB_SD_PS6_SH_SG_SB_SB_SD_SH_SH_SG_SH_SH_PS8_SI_PKS8_.num_agpr, 0
	.set _ZN9rocsparseL6kernelILi1024ELi8E21rocsparse_complex_numIfEiiEEvbbbT3_PS3_NS_15floating_traitsIT1_E6data_tES3_T2_PKS9_SB_PKS3_PKS6_21rocsparse_index_base_SB_SB_SD_PS6_SH_SG_SB_SB_SD_SH_SH_SG_SH_SH_PS8_SI_PKS8_.numbered_sgpr, 96
	.set _ZN9rocsparseL6kernelILi1024ELi8E21rocsparse_complex_numIfEiiEEvbbbT3_PS3_NS_15floating_traitsIT1_E6data_tES3_T2_PKS9_SB_PKS3_PKS6_21rocsparse_index_base_SB_SB_SD_PS6_SH_SG_SB_SB_SD_SH_SH_SG_SH_SH_PS8_SI_PKS8_.num_named_barrier, 0
	.set _ZN9rocsparseL6kernelILi1024ELi8E21rocsparse_complex_numIfEiiEEvbbbT3_PS3_NS_15floating_traitsIT1_E6data_tES3_T2_PKS9_SB_PKS3_PKS6_21rocsparse_index_base_SB_SB_SD_PS6_SH_SG_SB_SB_SD_SH_SH_SG_SH_SH_PS8_SI_PKS8_.private_seg_size, 0
	.set _ZN9rocsparseL6kernelILi1024ELi8E21rocsparse_complex_numIfEiiEEvbbbT3_PS3_NS_15floating_traitsIT1_E6data_tES3_T2_PKS9_SB_PKS3_PKS6_21rocsparse_index_base_SB_SB_SD_PS6_SH_SG_SB_SB_SD_SH_SH_SG_SH_SH_PS8_SI_PKS8_.uses_vcc, 1
	.set _ZN9rocsparseL6kernelILi1024ELi8E21rocsparse_complex_numIfEiiEEvbbbT3_PS3_NS_15floating_traitsIT1_E6data_tES3_T2_PKS9_SB_PKS3_PKS6_21rocsparse_index_base_SB_SB_SD_PS6_SH_SG_SB_SB_SD_SH_SH_SG_SH_SH_PS8_SI_PKS8_.uses_flat_scratch, 0
	.set _ZN9rocsparseL6kernelILi1024ELi8E21rocsparse_complex_numIfEiiEEvbbbT3_PS3_NS_15floating_traitsIT1_E6data_tES3_T2_PKS9_SB_PKS3_PKS6_21rocsparse_index_base_SB_SB_SD_PS6_SH_SG_SB_SB_SD_SH_SH_SG_SH_SH_PS8_SI_PKS8_.has_dyn_sized_stack, 0
	.set _ZN9rocsparseL6kernelILi1024ELi8E21rocsparse_complex_numIfEiiEEvbbbT3_PS3_NS_15floating_traitsIT1_E6data_tES3_T2_PKS9_SB_PKS3_PKS6_21rocsparse_index_base_SB_SB_SD_PS6_SH_SG_SB_SB_SD_SH_SH_SG_SH_SH_PS8_SI_PKS8_.has_recursion, 0
	.set _ZN9rocsparseL6kernelILi1024ELi8E21rocsparse_complex_numIfEiiEEvbbbT3_PS3_NS_15floating_traitsIT1_E6data_tES3_T2_PKS9_SB_PKS3_PKS6_21rocsparse_index_base_SB_SB_SD_PS6_SH_SG_SB_SB_SD_SH_SH_SG_SH_SH_PS8_SI_PKS8_.has_indirect_call, 0
	.section	.AMDGPU.csdata,"",@progbits
; Kernel info:
; codeLenInByte = 8336
; TotalNumSgprs: 100
; NumVgprs: 44
; ScratchSize: 0
; MemoryBound: 0
; FloatMode: 240
; IeeeMode: 1
; LDSByteSize: 1024 bytes/workgroup (compile time only)
; SGPRBlocks: 12
; VGPRBlocks: 10
; NumSGPRsForWavesPerEU: 100
; NumVGPRsForWavesPerEU: 44
; Occupancy: 5
; WaveLimiterHint : 1
; COMPUTE_PGM_RSRC2:SCRATCH_EN: 0
; COMPUTE_PGM_RSRC2:USER_SGPR: 6
; COMPUTE_PGM_RSRC2:TRAP_HANDLER: 0
; COMPUTE_PGM_RSRC2:TGID_X_EN: 1
; COMPUTE_PGM_RSRC2:TGID_Y_EN: 0
; COMPUTE_PGM_RSRC2:TGID_Z_EN: 0
; COMPUTE_PGM_RSRC2:TIDIG_COMP_CNT: 0
	.section	.text._ZN9rocsparseL6kernelILi1024ELi16E21rocsparse_complex_numIfEiiEEvbbbT3_PS3_NS_15floating_traitsIT1_E6data_tES3_T2_PKS9_SB_PKS3_PKS6_21rocsparse_index_base_SB_SB_SD_PS6_SH_SG_SB_SB_SD_SH_SH_SG_SH_SH_PS8_SI_PKS8_,"axG",@progbits,_ZN9rocsparseL6kernelILi1024ELi16E21rocsparse_complex_numIfEiiEEvbbbT3_PS3_NS_15floating_traitsIT1_E6data_tES3_T2_PKS9_SB_PKS3_PKS6_21rocsparse_index_base_SB_SB_SD_PS6_SH_SG_SB_SB_SD_SH_SH_SG_SH_SH_PS8_SI_PKS8_,comdat
	.globl	_ZN9rocsparseL6kernelILi1024ELi16E21rocsparse_complex_numIfEiiEEvbbbT3_PS3_NS_15floating_traitsIT1_E6data_tES3_T2_PKS9_SB_PKS3_PKS6_21rocsparse_index_base_SB_SB_SD_PS6_SH_SG_SB_SB_SD_SH_SH_SG_SH_SH_PS8_SI_PKS8_ ; -- Begin function _ZN9rocsparseL6kernelILi1024ELi16E21rocsparse_complex_numIfEiiEEvbbbT3_PS3_NS_15floating_traitsIT1_E6data_tES3_T2_PKS9_SB_PKS3_PKS6_21rocsparse_index_base_SB_SB_SD_PS6_SH_SG_SB_SB_SD_SH_SH_SG_SH_SH_PS8_SI_PKS8_
	.p2align	8
	.type	_ZN9rocsparseL6kernelILi1024ELi16E21rocsparse_complex_numIfEiiEEvbbbT3_PS3_NS_15floating_traitsIT1_E6data_tES3_T2_PKS9_SB_PKS3_PKS6_21rocsparse_index_base_SB_SB_SD_PS6_SH_SG_SB_SB_SD_SH_SH_SG_SH_SH_PS8_SI_PKS8_,@function
_ZN9rocsparseL6kernelILi1024ELi16E21rocsparse_complex_numIfEiiEEvbbbT3_PS3_NS_15floating_traitsIT1_E6data_tES3_T2_PKS9_SB_PKS3_PKS6_21rocsparse_index_base_SB_SB_SD_PS6_SH_SG_SB_SB_SD_SH_SH_SG_SH_SH_PS8_SI_PKS8_: ; @_ZN9rocsparseL6kernelILi1024ELi16E21rocsparse_complex_numIfEiiEEvbbbT3_PS3_NS_15floating_traitsIT1_E6data_tES3_T2_PKS9_SB_PKS3_PKS6_21rocsparse_index_base_SB_SB_SD_PS6_SH_SG_SB_SB_SD_SH_SH_SG_SH_SH_PS8_SI_PKS8_
; %bb.0:
	s_load_dword s0, s[4:5], 0x0
	s_load_dwordx2 s[2:3], s[4:5], 0x0
	s_load_dwordx2 s[68:69], s[4:5], 0x10
	s_load_dwordx4 s[8:11], s[4:5], 0xb8
	v_lshrrev_b32_e32 v19, 4, v0
	s_waitcnt lgkmcnt(0)
	s_bitcmp1_b32 s0, 0
	s_cselect_b64 s[64:65], -1, 0
	s_bitcmp1_b32 s0, 8
	s_cselect_b64 s[34:35], -1, 0
	;; [unrolled: 2-line block ×3, first 2 shown]
	s_lshl_b32 s31, s6, 10
	s_mov_b32 s1, s3
                                        ; implicit-def: $vgpr43 : SGPR spill to VGPR lane
	v_or_b32_e32 v21, s31, v19
	v_writelane_b32 v43, s0, 0
	s_cmp_gt_i32 s3, 0
	v_cmp_gt_i32_e32 vcc, s69, v21
	v_writelane_b32 v43, s1, 1
	s_cselect_b64 s[0:1], -1, 0
	v_and_b32_e32 v20, 15, v0
	v_lshlrev_b32_e32 v17, 2, v0
	s_mov_b32 s33, 0
	v_mov_b32_e32 v1, 0
	s_and_b64 s[0:1], s[0:1], vcc
	v_mov_b32_e32 v22, 0
	v_mov_b32_e32 v18, 0
	ds_write_b32 v17, v1
	s_waitcnt lgkmcnt(0)
	s_barrier
	s_and_saveexec_b64 s[2:3], s[0:1]
	s_cbranch_execnz .LBB39_3
; %bb.1:
	s_or_b64 exec, exec, s[2:3]
	s_andn2_b64 vcc, exec, s[64:65]
	s_cbranch_vccz .LBB39_178
.LBB39_2:
	v_cmp_eq_u32_e32 vcc, 0, v0
	s_and_b64 s[0:1], vcc, s[34:35]
	s_and_saveexec_b64 s[2:3], s[0:1]
	s_cbranch_execnz .LBB39_196
	s_branch .LBB39_202
.LBB39_3:
	s_load_dwordx2 s[0:1], s[4:5], 0xc8
	v_writelane_b32 v43, s2, 2
	v_writelane_b32 v43, s3, 3
	s_addk_i32 s31, 0x400
	s_load_dwordx4 s[60:63], s[4:5], 0xa8
	s_load_dwordx8 s[36:43], s[4:5], 0x78
	s_load_dwordx8 s[44:51], s[4:5], 0x48
	s_waitcnt lgkmcnt(0)
	v_writelane_b32 v43, s0, 4
	v_writelane_b32 v43, s1, 5
	s_xor_b64 s[0:1], s[34:35], -1
	v_writelane_b32 v43, s0, 6
	v_writelane_b32 v43, s1, 7
	v_cmp_gt_u32_e64 s[0:1], s31, v21
	v_writelane_b32 v43, s0, 8
	v_writelane_b32 v43, s1, 9
	s_and_b64 s[0:1], s[34:35], s[26:27]
	s_xor_b64 s[0:1], s[0:1], -1
	v_writelane_b32 v43, s0, 10
	s_load_dword s28, s[4:5], 0x40
	s_load_dwordx2 s[76:77], s[4:5], 0x68
	s_load_dword s29, s[4:5], 0x70
	s_load_dwordx2 s[78:79], s[4:5], 0x98
	s_load_dword s30, s[4:5], 0xa0
	v_writelane_b32 v43, s1, 11
	v_writelane_b32 v43, s4, 12
	s_load_dwordx8 s[52:59], s[4:5], 0x20
	s_waitcnt lgkmcnt(0)
	v_subrev_u32_e32 v23, s28, v20
	v_cmp_eq_u32_e64 s[2:3], 15, v20
	v_lshlrev_b32_e32 v24, 2, v19
	v_cmp_gt_u32_e64 s[6:7], 32, v0
	v_cmp_gt_u32_e64 s[8:9], 16, v0
	;; [unrolled: 1-line block ×5, first 2 shown]
	v_cmp_eq_u32_e64 s[16:17], 0, v0
	v_subrev_u32_e32 v25, s29, v20
	v_subrev_u32_e32 v26, s30, v20
	v_cmp_eq_u32_e64 s[18:19], 0, v20
	v_mov_b32_e32 v2, 0
	s_mov_b32 s0, 0xf800000
	v_mov_b32_e32 v27, 0x260
	s_movk_i32 s1, 0x1f8
	v_mov_b32_e32 v18, 0
	v_mov_b32_e32 v22, 0
	s_mov_b64 s[82:83], 0
	v_writelane_b32 v43, s5, 13
	s_branch .LBB39_5
.LBB39_4:                               ;   in Loop: Header=BB39_5 Depth=1
	s_or_b64 exec, exec, s[20:21]
	s_and_b64 s[4:5], exec, s[22:23]
	s_or_b64 s[82:83], s[4:5], s[82:83]
	s_andn2_b64 exec, exec, s[82:83]
	s_cbranch_execz .LBB39_177
.LBB39_5:                               ; =>This Loop Header: Depth=1
                                        ;     Child Loop BB39_9 Depth 2
                                        ;       Child Loop BB39_14 Depth 3
                                        ;         Child Loop BB39_18 Depth 4
                                        ;         Child Loop BB39_53 Depth 4
	;; [unrolled: 1-line block ×5, first 2 shown]
                                        ;     Child Loop BB39_156 Depth 2
                                        ;       Child Loop BB39_159 Depth 3
                                        ;       Child Loop BB39_162 Depth 3
	v_cndmask_b32_e64 v22, v22, 0, s[34:35]
	v_cndmask_b32_e64 v18, v18, 0, s[26:27]
	s_mov_b32 s4, 0
	s_branch .LBB39_9
.LBB39_6:                               ;   in Loop: Header=BB39_9 Depth=2
	s_or_b64 exec, exec, s[88:89]
.LBB39_7:                               ;   in Loop: Header=BB39_9 Depth=2
	s_or_b64 exec, exec, s[86:87]
.LBB39_8:                               ;   in Loop: Header=BB39_9 Depth=2
	s_or_b64 exec, exec, s[84:85]
	s_add_i32 s4, s4, 1
	s_cmp_eq_u32 s4, 16
	s_cbranch_scc1 .LBB39_121
.LBB39_9:                               ;   Parent Loop BB39_5 Depth=1
                                        ; =>  This Loop Header: Depth=2
                                        ;       Child Loop BB39_14 Depth 3
                                        ;         Child Loop BB39_18 Depth 4
                                        ;         Child Loop BB39_53 Depth 4
	;; [unrolled: 1-line block ×5, first 2 shown]
	v_lshl_add_u32 v3, s4, 6, v21
	v_cmp_gt_i32_e32 vcc, s69, v3
	s_and_saveexec_b64 s[84:85], vcc
	s_cbranch_execz .LBB39_8
; %bb.10:                               ;   in Loop: Header=BB39_9 Depth=2
	v_ashrrev_i32_e32 v4, 31, v3
	v_lshlrev_b64 v[5:6], 2, v[3:4]
	v_mov_b32_e32 v1, s53
	v_add_co_u32_e32 v7, vcc, s52, v5
	v_addc_co_u32_e32 v8, vcc, v1, v6, vcc
	global_load_dword v1, v[7:8], off
	v_mov_b32_e32 v4, s55
	v_add_co_u32_e32 v7, vcc, s54, v5
	v_addc_co_u32_e32 v8, vcc, v4, v6, vcc
	global_load_dword v7, v[7:8], off
	s_waitcnt vmcnt(1)
	v_add_u32_e32 v4, v23, v1
	s_waitcnt vmcnt(0)
	v_subrev_u32_e32 v28, s28, v7
	v_cmp_lt_i32_e32 vcc, v4, v28
	s_and_saveexec_b64 s[86:87], vcc
	s_cbranch_execz .LBB39_7
; %bb.11:                               ;   in Loop: Header=BB39_9 Depth=2
	v_mov_b32_e32 v1, s47
	v_add_co_u32_e32 v7, vcc, s46, v5
	v_addc_co_u32_e32 v8, vcc, v1, v6, vcc
	v_mov_b32_e32 v1, s45
	v_add_co_u32_e32 v5, vcc, s44, v5
	v_addc_co_u32_e32 v6, vcc, v1, v6, vcc
	global_load_dword v1, v[5:6], off
	s_nop 0
	global_load_dword v5, v[7:8], off
	v_mov_b32_e32 v12, s49
	v_mov_b32_e32 v13, s51
	s_mov_b64 s[88:89], 0
	s_waitcnt vmcnt(1)
	v_subrev_u32_e32 v6, s29, v1
	v_ashrrev_i32_e32 v7, 31, v6
	v_lshlrev_b64 v[8:9], 2, v[6:7]
	v_lshlrev_b64 v[10:11], 3, v[6:7]
	v_add_co_u32_e32 v30, vcc, s48, v8
	v_addc_co_u32_e32 v31, vcc, v12, v9, vcc
	s_waitcnt vmcnt(0)
	v_sub_u32_e32 v29, v5, v1
	v_add_co_u32_e32 v32, vcc, s50, v10
	v_cmp_lt_i32_e64 s[20:21], 0, v29
	v_addc_co_u32_e32 v33, vcc, v13, v11, vcc
	s_branch .LBB39_14
.LBB39_12:                              ;   in Loop: Header=BB39_14 Depth=3
	s_or_b64 exec, exec, s[22:23]
.LBB39_13:                              ;   in Loop: Header=BB39_14 Depth=3
	s_or_b64 exec, exec, s[24:25]
	v_add_u32_e32 v4, 16, v4
	v_cmp_ge_i32_e32 vcc, v4, v28
	s_or_b64 s[88:89], vcc, s[88:89]
	s_andn2_b64 exec, exec, s[88:89]
	s_cbranch_execz .LBB39_6
.LBB39_14:                              ;   Parent Loop BB39_5 Depth=1
                                        ;     Parent Loop BB39_9 Depth=2
                                        ; =>    This Loop Header: Depth=3
                                        ;         Child Loop BB39_18 Depth 4
                                        ;         Child Loop BB39_53 Depth 4
	;; [unrolled: 1-line block ×5, first 2 shown]
	v_ashrrev_i32_e32 v5, 31, v4
	v_lshlrev_b64 v[7:8], 2, v[4:5]
	v_mov_b32_e32 v1, s57
	v_add_co_u32_e32 v7, vcc, s56, v7
	v_addc_co_u32_e32 v8, vcc, v1, v8, vcc
	global_load_dword v1, v[7:8], off
	v_mov_b32_e32 v12, s37
	v_mov_b32_e32 v13, s39
	;; [unrolled: 1-line block ×4, first 2 shown]
	s_waitcnt vmcnt(0)
	v_subrev_u32_e32 v7, s28, v1
	v_ashrrev_i32_e32 v8, 31, v7
	v_lshlrev_b64 v[9:10], 2, v[7:8]
	v_mov_b32_e32 v1, 0
	v_add_co_u32_e32 v11, vcc, s36, v9
	v_addc_co_u32_e32 v12, vcc, v12, v10, vcc
	v_add_co_u32_e32 v9, vcc, s38, v9
	v_addc_co_u32_e32 v10, vcc, v13, v10, vcc
	global_load_dword v12, v[11:12], off
	s_nop 0
	global_load_dword v9, v[9:10], off
	s_waitcnt vmcnt(1)
	v_subrev_u32_e32 v11, s30, v12
	s_waitcnt vmcnt(0)
	v_sub_u32_e32 v36, v9, v12
	v_mov_b32_e32 v12, v1
	s_and_saveexec_b64 s[22:23], s[20:21]
	s_cbranch_execz .LBB39_22
; %bb.15:                               ;   in Loop: Header=BB39_14 Depth=3
	v_ashrrev_i32_e32 v12, 31, v11
	v_lshlrev_b64 v[9:10], 2, v[11:12]
	v_mov_b32_e32 v1, s41
	v_add_co_u32_e32 v9, vcc, s40, v9
	v_lshlrev_b64 v[12:13], 3, v[11:12]
	v_addc_co_u32_e32 v10, vcc, v1, v10, vcc
	v_mov_b32_e32 v1, s43
	v_add_co_u32_e32 v14, vcc, s42, v12
	v_mov_b32_e32 v12, 0
	v_addc_co_u32_e32 v15, vcc, v1, v13, vcc
	v_mov_b32_e32 v34, 0
	s_mov_b64 s[24:25], 0
	v_mov_b32_e32 v1, v12
	v_mov_b32_e32 v35, 0
                                        ; implicit-def: $sgpr70_sgpr71
	s_branch .LBB39_18
.LBB39_16:                              ;   in Loop: Header=BB39_18 Depth=4
	s_or_b64 exec, exec, s[72:73]
	v_cmp_le_i32_e32 vcc, v16, v37
	v_addc_co_u32_e32 v1, vcc, 0, v1, vcc
	v_cmp_ge_i32_e32 vcc, v16, v37
	v_addc_co_u32_e32 v12, vcc, 0, v12, vcc
	v_cmp_ge_i32_e32 vcc, v1, v29
	s_andn2_b64 s[66:67], s[70:71], exec
	s_and_b64 s[70:71], vcc, exec
	s_or_b64 s[70:71], s[66:67], s[70:71]
.LBB39_17:                              ;   in Loop: Header=BB39_18 Depth=4
	s_or_b64 exec, exec, s[74:75]
	s_and_b64 s[66:67], exec, s[70:71]
	s_or_b64 s[24:25], s[66:67], s[24:25]
	s_andn2_b64 exec, exec, s[24:25]
	s_cbranch_execz .LBB39_21
.LBB39_18:                              ;   Parent Loop BB39_5 Depth=1
                                        ;     Parent Loop BB39_9 Depth=2
                                        ;       Parent Loop BB39_14 Depth=3
                                        ; =>      This Inner Loop Header: Depth=4
	v_cmp_lt_i32_e32 vcc, v12, v36
	s_or_b64 s[70:71], s[70:71], exec
	s_and_saveexec_b64 s[74:75], vcc
	s_cbranch_execz .LBB39_17
; %bb.19:                               ;   in Loop: Header=BB39_18 Depth=4
	v_lshlrev_b64 v[37:38], 2, v[1:2]
	v_mov_b32_e32 v13, v2
	v_add_co_u32_e32 v37, vcc, v30, v37
	v_addc_co_u32_e32 v38, vcc, v31, v38, vcc
	global_load_dword v16, v[37:38], off
	v_lshlrev_b64 v[37:38], 2, v[12:13]
	v_add_co_u32_e32 v37, vcc, v9, v37
	v_addc_co_u32_e32 v38, vcc, v10, v38, vcc
	global_load_dword v37, v[37:38], off
	s_waitcnt vmcnt(1)
	v_subrev_u32_e32 v16, s29, v16
	s_waitcnt vmcnt(0)
	v_subrev_u32_e32 v37, s30, v37
	v_cmp_eq_u32_e32 vcc, v16, v37
	s_and_saveexec_b64 s[72:73], vcc
	s_cbranch_execz .LBB39_16
; %bb.20:                               ;   in Loop: Header=BB39_18 Depth=4
	v_lshlrev_b64 v[38:39], 3, v[1:2]
	v_lshlrev_b64 v[40:41], 3, v[12:13]
	v_add_co_u32_e32 v38, vcc, v32, v38
	v_addc_co_u32_e32 v39, vcc, v33, v39, vcc
	v_add_co_u32_e32 v40, vcc, v14, v40
	v_addc_co_u32_e32 v41, vcc, v15, v41, vcc
	global_load_dwordx2 v[38:39], v[38:39], off
	s_nop 0
	global_load_dwordx2 v[40:41], v[40:41], off
	s_waitcnt vmcnt(0)
	v_fmac_f32_e32 v34, v38, v40
	v_fmac_f32_e32 v35, v39, v40
	v_fma_f32 v34, -v39, v41, v34
	v_fmac_f32_e32 v35, v38, v41
	s_branch .LBB39_16
.LBB39_21:                              ;   in Loop: Header=BB39_14 Depth=3
	s_or_b64 exec, exec, s[24:25]
.LBB39_22:                              ;   in Loop: Header=BB39_14 Depth=3
	s_or_b64 exec, exec, s[22:23]
	v_lshlrev_b64 v[9:10], 3, v[4:5]
	v_mov_b32_e32 v5, s59
	v_add_co_u32_e32 v9, vcc, s58, v9
	v_addc_co_u32_e32 v10, vcc, v5, v10, vcc
	global_load_dwordx2 v[9:10], v[9:10], off
	v_cmp_le_i32_e64 s[22:23], v3, v7
	v_cmp_gt_i32_e32 vcc, v3, v7
	s_waitcnt vmcnt(0)
	v_sub_f32_e32 v13, v9, v34
	v_sub_f32_e32 v14, v10, v35
	s_and_saveexec_b64 s[70:71], vcc
	s_cbranch_execz .LBB39_32
; %bb.23:                               ;   in Loop: Header=BB39_14 Depth=3
	v_lshlrev_b64 v[15:16], 3, v[7:8]
	v_mov_b32_e32 v5, s61
	v_add_co_u32_e32 v15, vcc, s60, v15
	v_addc_co_u32_e32 v16, vcc, v5, v16, vcc
	global_load_dwordx2 v[15:16], v[15:16], off
                                        ; implicit-def: $vgpr38
	s_waitcnt vmcnt(0)
	v_cmp_gt_f32_e32 vcc, 0, v15
	v_cndmask_b32_e64 v5, v15, -v15, vcc
	v_cmp_gt_f32_e32 vcc, 0, v16
	v_cndmask_b32_e64 v37, v16, -v16, vcc
	v_cmp_ngt_f32_e32 vcc, v5, v37
	s_and_saveexec_b64 s[24:25], vcc
	s_xor_b64 s[72:73], exec, s[24:25]
	s_cbranch_execz .LBB39_27
; %bb.24:                               ;   in Loop: Header=BB39_14 Depth=3
	v_mov_b32_e32 v38, 0
	v_cmp_neq_f32_e32 vcc, 0, v16
	s_and_saveexec_b64 s[74:75], vcc
	s_cbranch_execz .LBB39_26
; %bb.25:                               ;   in Loop: Header=BB39_14 Depth=3
	v_div_scale_f32 v38, s[24:25], v37, v37, v5
	v_div_scale_f32 v39, vcc, v5, v37, v5
	v_rcp_f32_e32 v40, v38
	v_fma_f32 v41, -v38, v40, 1.0
	v_fmac_f32_e32 v40, v41, v40
	v_mul_f32_e32 v41, v39, v40
	v_fma_f32 v42, -v38, v41, v39
	v_fmac_f32_e32 v41, v42, v40
	v_fma_f32 v38, -v38, v41, v39
	v_div_fmas_f32 v38, v38, v40, v41
	v_div_fixup_f32 v5, v38, v37, v5
	v_fma_f32 v5, v5, v5, 1.0
	v_mul_f32_e32 v38, 0x4f800000, v5
	v_cmp_gt_f32_e32 vcc, s0, v5
	v_cndmask_b32_e32 v5, v5, v38, vcc
	v_sqrt_f32_e32 v38, v5
	v_add_u32_e32 v39, -1, v38
	v_add_u32_e32 v40, 1, v38
	v_fma_f32 v41, -v39, v38, v5
	v_fma_f32 v42, -v40, v38, v5
	v_cmp_ge_f32_e64 s[24:25], 0, v41
	v_cndmask_b32_e64 v38, v38, v39, s[24:25]
	v_cmp_lt_f32_e64 s[24:25], 0, v42
	v_cndmask_b32_e64 v38, v38, v40, s[24:25]
	v_mul_f32_e32 v39, 0x37800000, v38
	v_cndmask_b32_e32 v38, v38, v39, vcc
	v_cmp_class_f32_e32 vcc, v5, v27
	v_cndmask_b32_e32 v5, v38, v5, vcc
	v_mul_f32_e32 v38, v37, v5
.LBB39_26:                              ;   in Loop: Header=BB39_14 Depth=3
	s_or_b64 exec, exec, s[74:75]
                                        ; implicit-def: $vgpr5
                                        ; implicit-def: $vgpr37
.LBB39_27:                              ;   in Loop: Header=BB39_14 Depth=3
	s_andn2_saveexec_b64 s[72:73], s[72:73]
	s_cbranch_execz .LBB39_29
; %bb.28:                               ;   in Loop: Header=BB39_14 Depth=3
	v_div_scale_f32 v38, s[24:25], v5, v5, v37
	v_div_scale_f32 v39, vcc, v37, v5, v37
	v_rcp_f32_e32 v40, v38
	v_fma_f32 v41, -v38, v40, 1.0
	v_fmac_f32_e32 v40, v41, v40
	v_mul_f32_e32 v41, v39, v40
	v_fma_f32 v42, -v38, v41, v39
	v_fmac_f32_e32 v41, v42, v40
	v_fma_f32 v38, -v38, v41, v39
	v_div_fmas_f32 v38, v38, v40, v41
	v_div_fixup_f32 v37, v38, v5, v37
	v_fma_f32 v37, v37, v37, 1.0
	v_mul_f32_e32 v38, 0x4f800000, v37
	v_cmp_gt_f32_e32 vcc, s0, v37
	v_cndmask_b32_e32 v37, v37, v38, vcc
	v_sqrt_f32_e32 v38, v37
	v_add_u32_e32 v39, -1, v38
	v_add_u32_e32 v40, 1, v38
	v_fma_f32 v41, -v39, v38, v37
	v_fma_f32 v42, -v40, v38, v37
	v_cmp_ge_f32_e64 s[24:25], 0, v41
	v_cndmask_b32_e64 v38, v38, v39, s[24:25]
	v_cmp_lt_f32_e64 s[24:25], 0, v42
	v_cndmask_b32_e64 v38, v38, v40, s[24:25]
	v_mul_f32_e32 v39, 0x37800000, v38
	v_cndmask_b32_e32 v38, v38, v39, vcc
	v_cmp_class_f32_e32 vcc, v37, v27
	v_cndmask_b32_e32 v37, v38, v37, vcc
	v_mul_f32_e32 v38, v5, v37
.LBB39_29:                              ;   in Loop: Header=BB39_14 Depth=3
	s_or_b64 exec, exec, s[72:73]
	v_mov_b32_e32 v5, 0
	v_cmp_lt_f32_e32 vcc, 0, v38
	v_mov_b32_e32 v37, 0
	s_and_saveexec_b64 s[24:25], vcc
	s_cbranch_execz .LBB39_31
; %bb.30:                               ;   in Loop: Header=BB39_14 Depth=3
	v_mul_f32_e32 v5, v16, v16
	v_fmac_f32_e32 v5, v15, v15
	v_div_scale_f32 v37, s[66:67], v5, v5, 1.0
	v_div_scale_f32 v38, vcc, 1.0, v5, 1.0
	v_rcp_f32_e32 v39, v37
	v_fma_f32 v40, -v37, v39, 1.0
	v_fmac_f32_e32 v39, v40, v39
	v_mul_f32_e32 v40, v38, v39
	v_fma_f32 v41, -v37, v40, v38
	v_fmac_f32_e32 v40, v41, v39
	v_fma_f32 v37, -v37, v40, v38
	v_div_fmas_f32 v37, v37, v39, v40
	v_mul_f32_e32 v38, v14, v16
	v_mul_f32_e64 v16, v16, -v13
	v_fmac_f32_e32 v38, v13, v15
	v_fmac_f32_e32 v16, v14, v15
	v_div_fixup_f32 v5, v37, v5, 1.0
	v_mul_f32_e32 v37, v38, v5
	v_mul_f32_e32 v5, v16, v5
.LBB39_31:                              ;   in Loop: Header=BB39_14 Depth=3
	s_or_b64 exec, exec, s[24:25]
	v_mov_b32_e32 v14, v5
	v_mov_b32_e32 v13, v37
.LBB39_32:                              ;   in Loop: Header=BB39_14 Depth=3
	s_or_b64 exec, exec, s[70:71]
	v_cmp_gt_f32_e32 vcc, 0, v13
	v_cndmask_b32_e64 v5, v13, -v13, vcc
	v_cmp_gt_f32_e32 vcc, 0, v14
	v_cndmask_b32_e64 v15, v14, -v14, vcc
	v_cmp_ngt_f32_e32 vcc, v5, v15
                                        ; implicit-def: $vgpr16
	s_and_saveexec_b64 s[24:25], vcc
	s_xor_b64 s[70:71], exec, s[24:25]
	s_cbranch_execnz .LBB39_36
; %bb.33:                               ;   in Loop: Header=BB39_14 Depth=3
	s_andn2_saveexec_b64 s[70:71], s[70:71]
	s_cbranch_execnz .LBB39_39
.LBB39_34:                              ;   in Loop: Header=BB39_14 Depth=3
	s_or_b64 exec, exec, s[70:71]
	v_cmp_class_f32_e64 s[24:25], v16, s1
	s_and_saveexec_b64 s[90:91], s[24:25]
	s_cbranch_execnz .LBB39_40
.LBB39_35:                              ;   in Loop: Header=BB39_14 Depth=3
	s_or_b64 exec, exec, s[90:91]
	s_and_b64 s[22:23], s[26:27], s[24:25]
	s_and_saveexec_b64 s[24:25], s[22:23]
	s_cbranch_execz .LBB39_13
	s_branch .LBB39_81
.LBB39_36:                              ;   in Loop: Header=BB39_14 Depth=3
	v_mov_b32_e32 v16, 0
	v_cmp_neq_f32_e32 vcc, 0, v14
	s_and_saveexec_b64 s[72:73], vcc
	s_cbranch_execz .LBB39_38
; %bb.37:                               ;   in Loop: Header=BB39_14 Depth=3
	v_div_scale_f32 v16, s[24:25], v15, v15, v5
	v_div_scale_f32 v37, vcc, v5, v15, v5
	v_rcp_f32_e32 v38, v16
	v_fma_f32 v39, -v16, v38, 1.0
	v_fmac_f32_e32 v38, v39, v38
	v_mul_f32_e32 v39, v37, v38
	v_fma_f32 v40, -v16, v39, v37
	v_fmac_f32_e32 v39, v40, v38
	v_fma_f32 v16, -v16, v39, v37
	v_div_fmas_f32 v16, v16, v38, v39
	v_div_fixup_f32 v5, v16, v15, v5
	v_fma_f32 v5, v5, v5, 1.0
	v_mul_f32_e32 v16, 0x4f800000, v5
	v_cmp_gt_f32_e32 vcc, s0, v5
	v_cndmask_b32_e32 v5, v5, v16, vcc
	v_sqrt_f32_e32 v16, v5
	v_add_u32_e32 v37, -1, v16
	v_add_u32_e32 v38, 1, v16
	v_fma_f32 v39, -v37, v16, v5
	v_fma_f32 v40, -v38, v16, v5
	v_cmp_ge_f32_e64 s[24:25], 0, v39
	v_cndmask_b32_e64 v16, v16, v37, s[24:25]
	v_cmp_lt_f32_e64 s[24:25], 0, v40
	v_cndmask_b32_e64 v16, v16, v38, s[24:25]
	v_mul_f32_e32 v37, 0x37800000, v16
	v_cndmask_b32_e32 v16, v16, v37, vcc
	v_cmp_class_f32_e32 vcc, v5, v27
	v_cndmask_b32_e32 v5, v16, v5, vcc
	v_mul_f32_e32 v16, v15, v5
.LBB39_38:                              ;   in Loop: Header=BB39_14 Depth=3
	s_or_b64 exec, exec, s[72:73]
                                        ; implicit-def: $vgpr5
                                        ; implicit-def: $vgpr15
	s_andn2_saveexec_b64 s[70:71], s[70:71]
	s_cbranch_execz .LBB39_34
.LBB39_39:                              ;   in Loop: Header=BB39_14 Depth=3
	v_div_scale_f32 v16, s[24:25], v5, v5, v15
	v_div_scale_f32 v37, vcc, v15, v5, v15
	v_rcp_f32_e32 v38, v16
	v_fma_f32 v39, -v16, v38, 1.0
	v_fmac_f32_e32 v38, v39, v38
	v_mul_f32_e32 v39, v37, v38
	v_fma_f32 v40, -v16, v39, v37
	v_fmac_f32_e32 v39, v40, v38
	v_fma_f32 v16, -v16, v39, v37
	v_div_fmas_f32 v16, v16, v38, v39
	v_div_fixup_f32 v15, v16, v5, v15
	v_fma_f32 v15, v15, v15, 1.0
	v_mul_f32_e32 v16, 0x4f800000, v15
	v_cmp_gt_f32_e32 vcc, s0, v15
	v_cndmask_b32_e32 v15, v15, v16, vcc
	v_sqrt_f32_e32 v16, v15
	v_add_u32_e32 v37, -1, v16
	v_add_u32_e32 v38, 1, v16
	v_fma_f32 v39, -v37, v16, v15
	v_fma_f32 v40, -v38, v16, v15
	v_cmp_ge_f32_e64 s[24:25], 0, v39
	v_cndmask_b32_e64 v16, v16, v37, s[24:25]
	v_cmp_lt_f32_e64 s[24:25], 0, v40
	v_cndmask_b32_e64 v16, v16, v38, s[24:25]
	v_mul_f32_e32 v37, 0x37800000, v16
	v_cndmask_b32_e32 v16, v16, v37, vcc
	v_cmp_class_f32_e32 vcc, v15, v27
	v_cndmask_b32_e32 v15, v16, v15, vcc
	v_mul_f32_e32 v16, v5, v15
	s_or_b64 exec, exec, s[70:71]
	v_cmp_class_f32_e64 s[24:25], v16, s1
	s_and_saveexec_b64 s[90:91], s[24:25]
	s_cbranch_execz .LBB39_35
.LBB39_40:                              ;   in Loop: Header=BB39_14 Depth=3
	s_and_saveexec_b64 s[66:67], s[22:23]
	s_xor_b64 s[92:93], exec, s[66:67]
	s_cbranch_execz .LBB39_65
; %bb.41:                               ;   in Loop: Header=BB39_14 Depth=3
	v_cmp_ge_i32_e32 vcc, v3, v7
	s_and_saveexec_b64 s[22:23], vcc
	s_xor_b64 s[70:71], exec, s[22:23]
	s_cbranch_execz .LBB39_49
; %bb.42:                               ;   in Loop: Header=BB39_14 Depth=3
	v_lshlrev_b64 v[15:16], 3, v[7:8]
	v_mov_b32_e32 v5, s63
	v_add_co_u32_e32 v37, vcc, s62, v15
	v_addc_co_u32_e32 v38, vcc, v5, v16, vcc
	s_andn2_b64 vcc, exec, s[34:35]
	global_store_dwordx2 v[37:38], v[13:14], off
	s_cbranch_vccnz .LBB39_48
; %bb.43:                               ;   in Loop: Header=BB39_14 Depth=3
	v_mov_b32_e32 v5, s61
	v_add_co_u32_e32 v15, vcc, s60, v15
	v_addc_co_u32_e32 v16, vcc, v5, v16, vcc
	global_load_dwordx2 v[15:16], v[15:16], off
	s_waitcnt vmcnt(0)
	v_sub_f32_e32 v5, v15, v13
	v_sub_f32_e32 v15, v16, v14
	v_cmp_gt_f32_e32 vcc, 0, v5
	v_cndmask_b32_e64 v5, v5, -v5, vcc
	v_cmp_gt_f32_e32 vcc, 0, v15
	v_cndmask_b32_e64 v13, v15, -v15, vcc
	v_cmp_ngt_f32_e32 vcc, v5, v13
                                        ; implicit-def: $vgpr14
	s_and_saveexec_b64 s[22:23], vcc
	s_xor_b64 s[72:73], exec, s[22:23]
	s_cbranch_execnz .LBB39_109
; %bb.44:                               ;   in Loop: Header=BB39_14 Depth=3
	s_andn2_saveexec_b64 s[72:73], s[72:73]
	s_cbranch_execnz .LBB39_112
.LBB39_45:                              ;   in Loop: Header=BB39_14 Depth=3
	s_or_b64 exec, exec, s[72:73]
	v_cmp_class_f32_e64 s[66:67], v14, s1
	s_and_saveexec_b64 s[22:23], s[66:67]
.LBB39_46:                              ;   in Loop: Header=BB39_14 Depth=3
	v_cmp_lt_f32_e32 vcc, v22, v14
	v_cndmask_b32_e32 v22, v22, v14, vcc
.LBB39_47:                              ;   in Loop: Header=BB39_14 Depth=3
	s_or_b64 exec, exec, s[22:23]
.LBB39_48:                              ;   in Loop: Header=BB39_14 Depth=3
                                        ; implicit-def: $vgpr13
.LBB39_49:                              ;   in Loop: Header=BB39_14 Depth=3
	s_andn2_saveexec_b64 s[94:95], s[70:71]
	s_cbranch_execz .LBB39_64
; %bb.50:                               ;   in Loop: Header=BB39_14 Depth=3
	v_cmp_lt_i32_e32 vcc, v12, v36
	s_and_saveexec_b64 s[70:71], vcc
	s_cbranch_execz .LBB39_63
; %bb.51:                               ;   in Loop: Header=BB39_14 Depth=3
	s_mov_b64 s[22:23], 0
	v_mov_b32_e32 v5, v12
                                        ; implicit-def: $sgpr74_sgpr75
                                        ; implicit-def: $sgpr80_sgpr81
                                        ; implicit-def: $sgpr72_sgpr73
	s_branch .LBB39_53
.LBB39_52:                              ;   in Loop: Header=BB39_53 Depth=4
	s_or_b64 exec, exec, s[66:67]
	s_and_b64 s[66:67], exec, s[80:81]
	s_or_b64 s[22:23], s[66:67], s[22:23]
	s_andn2_b64 s[66:67], s[74:75], exec
	s_and_b64 s[74:75], s[72:73], exec
	s_or_b64 s[74:75], s[66:67], s[74:75]
	s_andn2_b64 exec, exec, s[22:23]
	s_cbranch_execz .LBB39_55
.LBB39_53:                              ;   Parent Loop BB39_5 Depth=1
                                        ;     Parent Loop BB39_9 Depth=2
                                        ;       Parent Loop BB39_14 Depth=3
                                        ; =>      This Inner Loop Header: Depth=4
	v_add_u32_e32 v15, v11, v5
	v_ashrrev_i32_e32 v16, 31, v15
	v_lshlrev_b64 v[37:38], 2, v[15:16]
	v_mov_b32_e32 v39, s41
	v_add_co_u32_e32 v37, vcc, s40, v37
	v_addc_co_u32_e32 v38, vcc, v39, v38, vcc
	global_load_dword v37, v[37:38], off
	s_or_b64 s[72:73], s[72:73], exec
	s_or_b64 s[80:81], s[80:81], exec
	s_waitcnt vmcnt(0)
	v_subrev_u32_e32 v37, s30, v37
	v_cmp_ne_u32_e32 vcc, v37, v3
	s_and_saveexec_b64 s[66:67], vcc
	s_cbranch_execz .LBB39_52
; %bb.54:                               ;   in Loop: Header=BB39_53 Depth=4
	v_add_u32_e32 v5, 1, v5
	v_cmp_ge_i32_e32 vcc, v5, v36
	s_andn2_b64 s[80:81], s[80:81], exec
	s_and_b64 vcc, vcc, exec
	s_andn2_b64 s[72:73], s[72:73], exec
	s_or_b64 s[80:81], s[80:81], vcc
	s_branch .LBB39_52
.LBB39_55:                              ;   in Loop: Header=BB39_14 Depth=3
	s_or_b64 exec, exec, s[22:23]
	s_and_saveexec_b64 s[22:23], s[74:75]
	s_xor_b64 s[74:75], exec, s[22:23]
	s_cbranch_execz .LBB39_62
; %bb.56:                               ;   in Loop: Header=BB39_14 Depth=3
	v_lshlrev_b64 v[15:16], 3, v[15:16]
	v_mov_b32_e32 v5, s79
	v_add_co_u32_e32 v37, vcc, s78, v15
	v_addc_co_u32_e32 v38, vcc, v5, v16, vcc
	s_andn2_b64 vcc, exec, s[34:35]
	global_store_dwordx2 v[37:38], v[13:14], off
	s_cbranch_vccnz .LBB39_62
; %bb.57:                               ;   in Loop: Header=BB39_14 Depth=3
	v_mov_b32_e32 v5, s43
	v_add_co_u32_e32 v15, vcc, s42, v15
	v_addc_co_u32_e32 v16, vcc, v5, v16, vcc
	global_load_dwordx2 v[15:16], v[15:16], off
	s_waitcnt vmcnt(0)
	v_sub_f32_e32 v5, v15, v13
	v_sub_f32_e32 v15, v16, v14
	v_cmp_gt_f32_e32 vcc, 0, v5
	v_cndmask_b32_e64 v5, v5, -v5, vcc
	v_cmp_gt_f32_e32 vcc, 0, v15
	v_cndmask_b32_e64 v13, v15, -v15, vcc
	v_cmp_ngt_f32_e32 vcc, v5, v13
                                        ; implicit-def: $vgpr14
	s_and_saveexec_b64 s[22:23], vcc
	s_xor_b64 s[72:73], exec, s[22:23]
	s_cbranch_execnz .LBB39_117
; %bb.58:                               ;   in Loop: Header=BB39_14 Depth=3
	s_andn2_saveexec_b64 s[72:73], s[72:73]
	s_cbranch_execnz .LBB39_120
.LBB39_59:                              ;   in Loop: Header=BB39_14 Depth=3
	s_or_b64 exec, exec, s[72:73]
	v_cmp_class_f32_e64 s[66:67], v14, s1
	s_and_saveexec_b64 s[22:23], s[66:67]
.LBB39_60:                              ;   in Loop: Header=BB39_14 Depth=3
	v_cmp_lt_f32_e32 vcc, v22, v14
	v_cndmask_b32_e32 v22, v22, v14, vcc
.LBB39_61:                              ;   in Loop: Header=BB39_14 Depth=3
	s_or_b64 exec, exec, s[22:23]
.LBB39_62:                              ;   in Loop: Header=BB39_14 Depth=3
	s_or_b64 exec, exec, s[74:75]
.LBB39_63:                              ;   in Loop: Header=BB39_14 Depth=3
	s_or_b64 exec, exec, s[70:71]
.LBB39_64:                              ;   in Loop: Header=BB39_14 Depth=3
	s_or_b64 exec, exec, s[94:95]
                                        ; implicit-def: $vgpr13
.LBB39_65:                              ;   in Loop: Header=BB39_14 Depth=3
	s_andn2_saveexec_b64 s[92:93], s[92:93]
	s_cbranch_execz .LBB39_80
; %bb.66:                               ;   in Loop: Header=BB39_14 Depth=3
	v_cmp_lt_i32_e32 vcc, v1, v29
	s_and_saveexec_b64 s[94:95], vcc
	s_cbranch_execz .LBB39_79
; %bb.67:                               ;   in Loop: Header=BB39_14 Depth=3
	s_mov_b64 s[22:23], 0
	v_mov_b32_e32 v5, v1
                                        ; implicit-def: $sgpr70_sgpr71
                                        ; implicit-def: $sgpr74_sgpr75
                                        ; implicit-def: $sgpr72_sgpr73
	s_branch .LBB39_69
.LBB39_68:                              ;   in Loop: Header=BB39_69 Depth=4
	s_or_b64 exec, exec, s[80:81]
	s_and_b64 s[66:67], exec, s[74:75]
	s_or_b64 s[22:23], s[66:67], s[22:23]
	s_andn2_b64 s[66:67], s[70:71], exec
	s_and_b64 s[70:71], s[72:73], exec
	s_or_b64 s[70:71], s[66:67], s[70:71]
	s_andn2_b64 exec, exec, s[22:23]
	s_cbranch_execz .LBB39_71
.LBB39_69:                              ;   Parent Loop BB39_5 Depth=1
                                        ;     Parent Loop BB39_9 Depth=2
                                        ;       Parent Loop BB39_14 Depth=3
                                        ; =>      This Inner Loop Header: Depth=4
	v_add_u32_e32 v15, v6, v5
	v_ashrrev_i32_e32 v16, 31, v15
	v_lshlrev_b64 v[37:38], 2, v[15:16]
	v_mov_b32_e32 v39, s49
	v_add_co_u32_e32 v37, vcc, s48, v37
	v_addc_co_u32_e32 v38, vcc, v39, v38, vcc
	global_load_dword v37, v[37:38], off
	s_or_b64 s[72:73], s[72:73], exec
	s_or_b64 s[74:75], s[74:75], exec
	s_waitcnt vmcnt(0)
	v_subrev_u32_e32 v37, s29, v37
	v_cmp_ne_u32_e32 vcc, v37, v7
	s_and_saveexec_b64 s[80:81], vcc
	s_cbranch_execz .LBB39_68
; %bb.70:                               ;   in Loop: Header=BB39_69 Depth=4
	v_add_u32_e32 v5, 1, v5
	v_cmp_ge_i32_e32 vcc, v5, v29
	s_andn2_b64 s[66:67], s[74:75], exec
	s_and_b64 s[74:75], vcc, exec
	s_andn2_b64 s[72:73], s[72:73], exec
	s_or_b64 s[74:75], s[66:67], s[74:75]
	s_branch .LBB39_68
.LBB39_71:                              ;   in Loop: Header=BB39_14 Depth=3
	s_or_b64 exec, exec, s[22:23]
	s_and_saveexec_b64 s[22:23], s[70:71]
	s_xor_b64 s[70:71], exec, s[22:23]
	s_cbranch_execz .LBB39_78
; %bb.72:                               ;   in Loop: Header=BB39_14 Depth=3
	v_lshlrev_b64 v[15:16], 3, v[15:16]
	v_mov_b32_e32 v5, s77
	v_add_co_u32_e32 v37, vcc, s76, v15
	v_addc_co_u32_e32 v38, vcc, v5, v16, vcc
	s_andn2_b64 vcc, exec, s[34:35]
	global_store_dwordx2 v[37:38], v[13:14], off
	s_cbranch_vccnz .LBB39_78
; %bb.73:                               ;   in Loop: Header=BB39_14 Depth=3
	v_mov_b32_e32 v5, s51
	v_add_co_u32_e32 v15, vcc, s50, v15
	v_addc_co_u32_e32 v16, vcc, v5, v16, vcc
	global_load_dwordx2 v[15:16], v[15:16], off
	s_waitcnt vmcnt(0)
	v_sub_f32_e32 v5, v15, v13
	v_sub_f32_e32 v15, v16, v14
	v_cmp_gt_f32_e32 vcc, 0, v5
	v_cndmask_b32_e64 v5, v5, -v5, vcc
	v_cmp_gt_f32_e32 vcc, 0, v15
	v_cndmask_b32_e64 v13, v15, -v15, vcc
	v_cmp_ngt_f32_e32 vcc, v5, v13
                                        ; implicit-def: $vgpr14
	s_and_saveexec_b64 s[22:23], vcc
	s_xor_b64 s[72:73], exec, s[22:23]
	s_cbranch_execnz .LBB39_113
; %bb.74:                               ;   in Loop: Header=BB39_14 Depth=3
	s_andn2_saveexec_b64 s[72:73], s[72:73]
	s_cbranch_execnz .LBB39_116
.LBB39_75:                              ;   in Loop: Header=BB39_14 Depth=3
	s_or_b64 exec, exec, s[72:73]
	v_cmp_class_f32_e64 s[66:67], v14, s1
	s_and_saveexec_b64 s[22:23], s[66:67]
.LBB39_76:                              ;   in Loop: Header=BB39_14 Depth=3
	v_cmp_lt_f32_e32 vcc, v22, v14
	v_cndmask_b32_e32 v22, v22, v14, vcc
.LBB39_77:                              ;   in Loop: Header=BB39_14 Depth=3
	s_or_b64 exec, exec, s[22:23]
.LBB39_78:                              ;   in Loop: Header=BB39_14 Depth=3
	s_or_b64 exec, exec, s[70:71]
.LBB39_79:                              ;   in Loop: Header=BB39_14 Depth=3
	s_or_b64 exec, exec, s[94:95]
.LBB39_80:                              ;   in Loop: Header=BB39_14 Depth=3
	s_or_b64 exec, exec, s[92:93]
	s_or_b64 exec, exec, s[90:91]
	s_and_b64 s[22:23], s[26:27], s[24:25]
	s_and_saveexec_b64 s[24:25], s[22:23]
	s_cbranch_execz .LBB39_13
.LBB39_81:                              ;   in Loop: Header=BB39_14 Depth=3
	v_cmp_ge_i32_e32 vcc, v12, v36
	s_and_saveexec_b64 s[22:23], vcc
	s_xor_b64 s[22:23], exec, s[22:23]
	s_cbranch_execnz .LBB39_88
; %bb.82:                               ;   in Loop: Header=BB39_14 Depth=3
	s_andn2_saveexec_b64 s[22:23], s[22:23]
	s_cbranch_execnz .LBB39_102
.LBB39_83:                              ;   in Loop: Header=BB39_14 Depth=3
	s_or_b64 exec, exec, s[22:23]
	v_cmp_eq_u32_e32 vcc, v3, v7
	s_and_saveexec_b64 s[22:23], vcc
	s_cbranch_execz .LBB39_85
.LBB39_84:                              ;   in Loop: Header=BB39_14 Depth=3
	v_lshlrev_b64 v[7:8], 3, v[7:8]
	v_mov_b32_e32 v1, s61
	v_add_co_u32_e32 v7, vcc, s60, v7
	v_addc_co_u32_e32 v8, vcc, v1, v8, vcc
	global_load_dwordx2 v[7:8], v[7:8], off
	s_waitcnt vmcnt(0)
	v_add_f32_e32 v34, v34, v7
	v_add_f32_e32 v35, v35, v8
.LBB39_85:                              ;   in Loop: Header=BB39_14 Depth=3
	s_or_b64 exec, exec, s[22:23]
	v_sub_f32_e32 v1, v9, v34
	v_sub_f32_e32 v8, v10, v35
	v_cmp_gt_f32_e32 vcc, 0, v1
	v_cndmask_b32_e64 v1, v1, -v1, vcc
	v_cmp_gt_f32_e32 vcc, 0, v8
	v_cndmask_b32_e64 v5, v8, -v8, vcc
	v_cmp_ngt_f32_e32 vcc, v1, v5
                                        ; implicit-def: $vgpr7
	s_and_saveexec_b64 s[22:23], vcc
	s_xor_b64 s[70:71], exec, s[22:23]
	s_cbranch_execnz .LBB39_93
; %bb.86:                               ;   in Loop: Header=BB39_14 Depth=3
	s_andn2_saveexec_b64 s[70:71], s[70:71]
	s_cbranch_execnz .LBB39_96
.LBB39_87:                              ;   in Loop: Header=BB39_14 Depth=3
	s_or_b64 exec, exec, s[70:71]
	v_cmp_class_f32_e64 s[66:67], v7, s1
	s_and_saveexec_b64 s[22:23], s[66:67]
	s_cbranch_execz .LBB39_12
	s_branch .LBB39_97
.LBB39_88:                              ;   in Loop: Header=BB39_14 Depth=3
	v_cmp_lt_i32_e32 vcc, v1, v29
	s_and_saveexec_b64 s[70:71], vcc
	s_cbranch_execz .LBB39_101
; %bb.89:                               ;   in Loop: Header=BB39_14 Depth=3
	s_mov_b64 s[90:91], 0
                                        ; implicit-def: $sgpr74_sgpr75
                                        ; implicit-def: $sgpr80_sgpr81
                                        ; implicit-def: $sgpr72_sgpr73
	s_branch .LBB39_91
.LBB39_90:                              ;   in Loop: Header=BB39_91 Depth=4
	s_or_b64 exec, exec, s[66:67]
	s_and_b64 s[66:67], exec, s[80:81]
	s_or_b64 s[90:91], s[66:67], s[90:91]
	s_andn2_b64 s[66:67], s[74:75], exec
	s_and_b64 s[74:75], s[72:73], exec
	s_or_b64 s[74:75], s[66:67], s[74:75]
	s_andn2_b64 exec, exec, s[90:91]
	s_cbranch_execz .LBB39_98
.LBB39_91:                              ;   Parent Loop BB39_5 Depth=1
                                        ;     Parent Loop BB39_9 Depth=2
                                        ;       Parent Loop BB39_14 Depth=3
                                        ; =>      This Inner Loop Header: Depth=4
	v_add_u32_e32 v11, v6, v1
	v_ashrrev_i32_e32 v12, 31, v11
	v_lshlrev_b64 v[13:14], 2, v[11:12]
	v_mov_b32_e32 v5, s49
	v_add_co_u32_e32 v13, vcc, s48, v13
	v_addc_co_u32_e32 v14, vcc, v5, v14, vcc
	global_load_dword v5, v[13:14], off
	s_or_b64 s[72:73], s[72:73], exec
	s_or_b64 s[80:81], s[80:81], exec
	s_waitcnt vmcnt(0)
	v_subrev_u32_e32 v5, s29, v5
	v_cmp_ne_u32_e32 vcc, v5, v7
	s_and_saveexec_b64 s[66:67], vcc
	s_cbranch_execz .LBB39_90
; %bb.92:                               ;   in Loop: Header=BB39_91 Depth=4
	v_add_u32_e32 v1, 1, v1
	v_cmp_ge_i32_e32 vcc, v1, v29
	s_andn2_b64 s[80:81], s[80:81], exec
	s_and_b64 s[92:93], vcc, exec
	s_andn2_b64 s[72:73], s[72:73], exec
	s_or_b64 s[80:81], s[80:81], s[92:93]
	s_branch .LBB39_90
.LBB39_93:                              ;   in Loop: Header=BB39_14 Depth=3
	v_mov_b32_e32 v7, 0
	v_cmp_neq_f32_e32 vcc, 0, v8
	s_and_saveexec_b64 s[72:73], vcc
	s_cbranch_execz .LBB39_95
; %bb.94:                               ;   in Loop: Header=BB39_14 Depth=3
	v_div_scale_f32 v7, s[22:23], v5, v5, v1
	v_div_scale_f32 v8, vcc, v1, v5, v1
	v_rcp_f32_e32 v9, v7
	v_fma_f32 v10, -v7, v9, 1.0
	v_fmac_f32_e32 v9, v10, v9
	v_mul_f32_e32 v10, v8, v9
	v_fma_f32 v11, -v7, v10, v8
	v_fmac_f32_e32 v10, v11, v9
	v_fma_f32 v7, -v7, v10, v8
	v_div_fmas_f32 v7, v7, v9, v10
	v_div_fixup_f32 v1, v7, v5, v1
	v_fma_f32 v1, v1, v1, 1.0
	v_mul_f32_e32 v7, 0x4f800000, v1
	v_cmp_gt_f32_e32 vcc, s0, v1
	v_cndmask_b32_e32 v1, v1, v7, vcc
	v_sqrt_f32_e32 v7, v1
	v_add_u32_e32 v8, -1, v7
	v_add_u32_e32 v9, 1, v7
	v_fma_f32 v10, -v8, v7, v1
	v_fma_f32 v11, -v9, v7, v1
	v_cmp_ge_f32_e64 s[22:23], 0, v10
	v_cndmask_b32_e64 v7, v7, v8, s[22:23]
	v_cmp_lt_f32_e64 s[22:23], 0, v11
	v_cndmask_b32_e64 v7, v7, v9, s[22:23]
	v_mul_f32_e32 v8, 0x37800000, v7
	v_cndmask_b32_e32 v7, v7, v8, vcc
	v_cmp_class_f32_e32 vcc, v1, v27
	v_cndmask_b32_e32 v1, v7, v1, vcc
	v_mul_f32_e32 v7, v5, v1
.LBB39_95:                              ;   in Loop: Header=BB39_14 Depth=3
	s_or_b64 exec, exec, s[72:73]
                                        ; implicit-def: $vgpr1
                                        ; implicit-def: $vgpr5
	s_andn2_saveexec_b64 s[70:71], s[70:71]
	s_cbranch_execz .LBB39_87
.LBB39_96:                              ;   in Loop: Header=BB39_14 Depth=3
	v_div_scale_f32 v7, s[22:23], v1, v1, v5
	v_div_scale_f32 v8, vcc, v5, v1, v5
	v_rcp_f32_e32 v9, v7
	v_fma_f32 v10, -v7, v9, 1.0
	v_fmac_f32_e32 v9, v10, v9
	v_mul_f32_e32 v10, v8, v9
	v_fma_f32 v11, -v7, v10, v8
	v_fmac_f32_e32 v10, v11, v9
	v_fma_f32 v7, -v7, v10, v8
	v_div_fmas_f32 v7, v7, v9, v10
	v_div_fixup_f32 v5, v7, v1, v5
	v_fma_f32 v5, v5, v5, 1.0
	v_mul_f32_e32 v7, 0x4f800000, v5
	v_cmp_gt_f32_e32 vcc, s0, v5
	v_cndmask_b32_e32 v5, v5, v7, vcc
	v_sqrt_f32_e32 v7, v5
	v_add_u32_e32 v8, -1, v7
	v_add_u32_e32 v9, 1, v7
	v_fma_f32 v10, -v8, v7, v5
	v_fma_f32 v11, -v9, v7, v5
	v_cmp_ge_f32_e64 s[22:23], 0, v10
	v_cndmask_b32_e64 v7, v7, v8, s[22:23]
	v_cmp_lt_f32_e64 s[22:23], 0, v11
	v_cndmask_b32_e64 v7, v7, v9, s[22:23]
	v_mul_f32_e32 v8, 0x37800000, v7
	v_cndmask_b32_e32 v7, v7, v8, vcc
	v_cmp_class_f32_e32 vcc, v5, v27
	v_cndmask_b32_e32 v5, v7, v5, vcc
	v_mul_f32_e32 v7, v1, v5
	s_or_b64 exec, exec, s[70:71]
	v_cmp_class_f32_e64 s[66:67], v7, s1
	s_and_saveexec_b64 s[22:23], s[66:67]
	s_cbranch_execz .LBB39_12
.LBB39_97:                              ;   in Loop: Header=BB39_14 Depth=3
	v_cmp_lt_f32_e32 vcc, v18, v7
	v_cndmask_b32_e32 v18, v18, v7, vcc
	s_branch .LBB39_12
.LBB39_98:                              ;   in Loop: Header=BB39_14 Depth=3
	s_or_b64 exec, exec, s[90:91]
	s_and_saveexec_b64 s[66:67], s[74:75]
	s_xor_b64 s[72:73], exec, s[66:67]
	s_cbranch_execz .LBB39_100
; %bb.99:                               ;   in Loop: Header=BB39_14 Depth=3
	v_lshlrev_b64 v[11:12], 3, v[11:12]
	v_mov_b32_e32 v1, s51
	v_add_co_u32_e32 v11, vcc, s50, v11
	v_lshlrev_b64 v[13:14], 3, v[7:8]
	v_addc_co_u32_e32 v12, vcc, v1, v12, vcc
	v_mov_b32_e32 v1, s61
	v_add_co_u32_e32 v13, vcc, s60, v13
	v_addc_co_u32_e32 v14, vcc, v1, v14, vcc
	global_load_dwordx2 v[11:12], v[11:12], off
	s_nop 0
	global_load_dwordx2 v[13:14], v[13:14], off
	s_waitcnt vmcnt(0)
	v_mul_f32_e64 v1, v14, -v12
	v_mul_f32_e32 v5, v14, v11
	v_fmac_f32_e32 v1, v11, v13
	v_fmac_f32_e32 v5, v12, v13
	v_add_f32_e32 v34, v34, v1
	v_add_f32_e32 v35, v35, v5
.LBB39_100:                             ;   in Loop: Header=BB39_14 Depth=3
	s_or_b64 exec, exec, s[72:73]
.LBB39_101:                             ;   in Loop: Header=BB39_14 Depth=3
	s_or_b64 exec, exec, s[70:71]
                                        ; implicit-def: $vgpr12
                                        ; implicit-def: $vgpr11
                                        ; implicit-def: $vgpr36
	s_andn2_saveexec_b64 s[22:23], s[22:23]
	s_cbranch_execz .LBB39_83
.LBB39_102:                             ;   in Loop: Header=BB39_14 Depth=3
	s_mov_b64 s[74:75], 0
                                        ; implicit-def: $sgpr70_sgpr71
                                        ; implicit-def: $sgpr80_sgpr81
                                        ; implicit-def: $sgpr72_sgpr73
	s_branch .LBB39_104
.LBB39_103:                             ;   in Loop: Header=BB39_104 Depth=4
	s_or_b64 exec, exec, s[66:67]
	s_and_b64 s[66:67], exec, s[80:81]
	s_or_b64 s[74:75], s[66:67], s[74:75]
	s_andn2_b64 s[66:67], s[70:71], exec
	s_and_b64 s[70:71], s[72:73], exec
	s_or_b64 s[70:71], s[66:67], s[70:71]
	s_andn2_b64 exec, exec, s[74:75]
	s_cbranch_execz .LBB39_106
.LBB39_104:                             ;   Parent Loop BB39_5 Depth=1
                                        ;     Parent Loop BB39_9 Depth=2
                                        ;       Parent Loop BB39_14 Depth=3
                                        ; =>      This Inner Loop Header: Depth=4
	v_add_u32_e32 v13, v11, v12
	v_ashrrev_i32_e32 v14, 31, v13
	v_lshlrev_b64 v[15:16], 2, v[13:14]
	v_mov_b32_e32 v1, s41
	v_add_co_u32_e32 v15, vcc, s40, v15
	v_addc_co_u32_e32 v16, vcc, v1, v16, vcc
	global_load_dword v1, v[15:16], off
	s_or_b64 s[72:73], s[72:73], exec
	s_or_b64 s[80:81], s[80:81], exec
	s_waitcnt vmcnt(0)
	v_subrev_u32_e32 v1, s30, v1
	v_cmp_ne_u32_e32 vcc, v1, v3
	s_and_saveexec_b64 s[66:67], vcc
	s_cbranch_execz .LBB39_103
; %bb.105:                              ;   in Loop: Header=BB39_104 Depth=4
	v_add_u32_e32 v12, 1, v12
	v_cmp_ge_i32_e32 vcc, v12, v36
	s_andn2_b64 s[80:81], s[80:81], exec
	s_and_b64 s[90:91], vcc, exec
	s_andn2_b64 s[72:73], s[72:73], exec
	s_or_b64 s[80:81], s[80:81], s[90:91]
	s_branch .LBB39_103
.LBB39_106:                             ;   in Loop: Header=BB39_14 Depth=3
	s_or_b64 exec, exec, s[74:75]
	s_and_saveexec_b64 s[66:67], s[70:71]
	s_xor_b64 s[70:71], exec, s[66:67]
	s_cbranch_execz .LBB39_108
; %bb.107:                              ;   in Loop: Header=BB39_14 Depth=3
	v_lshlrev_b64 v[11:12], 3, v[13:14]
	v_mov_b32_e32 v1, s43
	v_add_co_u32_e32 v11, vcc, s42, v11
	v_addc_co_u32_e32 v12, vcc, v1, v12, vcc
	global_load_dwordx2 v[11:12], v[11:12], off
	s_waitcnt vmcnt(0)
	v_add_f32_e32 v34, v34, v11
	v_add_f32_e32 v35, v35, v12
.LBB39_108:                             ;   in Loop: Header=BB39_14 Depth=3
	s_or_b64 exec, exec, s[70:71]
	s_or_b64 exec, exec, s[22:23]
	v_cmp_eq_u32_e32 vcc, v3, v7
	s_and_saveexec_b64 s[22:23], vcc
	s_cbranch_execnz .LBB39_84
	s_branch .LBB39_85
.LBB39_109:                             ;   in Loop: Header=BB39_14 Depth=3
	v_mov_b32_e32 v14, 0
	v_cmp_neq_f32_e32 vcc, 0, v15
	s_and_saveexec_b64 s[74:75], vcc
	s_cbranch_execz .LBB39_111
; %bb.110:                              ;   in Loop: Header=BB39_14 Depth=3
	v_div_scale_f32 v14, s[22:23], v13, v13, v5
	v_div_scale_f32 v15, vcc, v5, v13, v5
	v_rcp_f32_e32 v16, v14
	v_fma_f32 v37, -v14, v16, 1.0
	v_fmac_f32_e32 v16, v37, v16
	v_mul_f32_e32 v37, v15, v16
	v_fma_f32 v38, -v14, v37, v15
	v_fmac_f32_e32 v37, v38, v16
	v_fma_f32 v14, -v14, v37, v15
	v_div_fmas_f32 v14, v14, v16, v37
	v_div_fixup_f32 v5, v14, v13, v5
	v_fma_f32 v5, v5, v5, 1.0
	v_mul_f32_e32 v14, 0x4f800000, v5
	v_cmp_gt_f32_e32 vcc, s0, v5
	v_cndmask_b32_e32 v5, v5, v14, vcc
	v_sqrt_f32_e32 v14, v5
	v_add_u32_e32 v15, -1, v14
	v_add_u32_e32 v16, 1, v14
	v_fma_f32 v37, -v15, v14, v5
	v_fma_f32 v38, -v16, v14, v5
	v_cmp_ge_f32_e64 s[22:23], 0, v37
	v_cndmask_b32_e64 v14, v14, v15, s[22:23]
	v_cmp_lt_f32_e64 s[22:23], 0, v38
	v_cndmask_b32_e64 v14, v14, v16, s[22:23]
	v_mul_f32_e32 v15, 0x37800000, v14
	v_cndmask_b32_e32 v14, v14, v15, vcc
	v_cmp_class_f32_e32 vcc, v5, v27
	v_cndmask_b32_e32 v5, v14, v5, vcc
	v_mul_f32_e32 v14, v13, v5
.LBB39_111:                             ;   in Loop: Header=BB39_14 Depth=3
	s_or_b64 exec, exec, s[74:75]
                                        ; implicit-def: $vgpr5
                                        ; implicit-def: $vgpr13
	s_andn2_saveexec_b64 s[72:73], s[72:73]
	s_cbranch_execz .LBB39_45
.LBB39_112:                             ;   in Loop: Header=BB39_14 Depth=3
	v_div_scale_f32 v14, s[22:23], v5, v5, v13
	v_div_scale_f32 v15, vcc, v13, v5, v13
	v_rcp_f32_e32 v16, v14
	v_fma_f32 v37, -v14, v16, 1.0
	v_fmac_f32_e32 v16, v37, v16
	v_mul_f32_e32 v37, v15, v16
	v_fma_f32 v38, -v14, v37, v15
	v_fmac_f32_e32 v37, v38, v16
	v_fma_f32 v14, -v14, v37, v15
	v_div_fmas_f32 v14, v14, v16, v37
	v_div_fixup_f32 v13, v14, v5, v13
	v_fma_f32 v13, v13, v13, 1.0
	v_mul_f32_e32 v14, 0x4f800000, v13
	v_cmp_gt_f32_e32 vcc, s0, v13
	v_cndmask_b32_e32 v13, v13, v14, vcc
	v_sqrt_f32_e32 v14, v13
	v_add_u32_e32 v15, -1, v14
	v_add_u32_e32 v16, 1, v14
	v_fma_f32 v37, -v15, v14, v13
	v_fma_f32 v38, -v16, v14, v13
	v_cmp_ge_f32_e64 s[22:23], 0, v37
	v_cndmask_b32_e64 v14, v14, v15, s[22:23]
	v_cmp_lt_f32_e64 s[22:23], 0, v38
	v_cndmask_b32_e64 v14, v14, v16, s[22:23]
	v_mul_f32_e32 v15, 0x37800000, v14
	v_cndmask_b32_e32 v14, v14, v15, vcc
	v_cmp_class_f32_e32 vcc, v13, v27
	v_cndmask_b32_e32 v13, v14, v13, vcc
	v_mul_f32_e32 v14, v5, v13
	s_or_b64 exec, exec, s[72:73]
	v_cmp_class_f32_e64 s[66:67], v14, s1
	s_and_saveexec_b64 s[22:23], s[66:67]
	s_cbranch_execnz .LBB39_46
	s_branch .LBB39_47
.LBB39_113:                             ;   in Loop: Header=BB39_14 Depth=3
	v_mov_b32_e32 v14, 0
	v_cmp_neq_f32_e32 vcc, 0, v15
	s_and_saveexec_b64 s[74:75], vcc
	s_cbranch_execz .LBB39_115
; %bb.114:                              ;   in Loop: Header=BB39_14 Depth=3
	v_div_scale_f32 v14, s[22:23], v13, v13, v5
	v_div_scale_f32 v15, vcc, v5, v13, v5
	v_rcp_f32_e32 v16, v14
	v_fma_f32 v37, -v14, v16, 1.0
	v_fmac_f32_e32 v16, v37, v16
	v_mul_f32_e32 v37, v15, v16
	v_fma_f32 v38, -v14, v37, v15
	v_fmac_f32_e32 v37, v38, v16
	v_fma_f32 v14, -v14, v37, v15
	v_div_fmas_f32 v14, v14, v16, v37
	v_div_fixup_f32 v5, v14, v13, v5
	v_fma_f32 v5, v5, v5, 1.0
	v_mul_f32_e32 v14, 0x4f800000, v5
	v_cmp_gt_f32_e32 vcc, s0, v5
	v_cndmask_b32_e32 v5, v5, v14, vcc
	v_sqrt_f32_e32 v14, v5
	v_add_u32_e32 v15, -1, v14
	v_add_u32_e32 v16, 1, v14
	v_fma_f32 v37, -v15, v14, v5
	v_fma_f32 v38, -v16, v14, v5
	v_cmp_ge_f32_e64 s[22:23], 0, v37
	v_cndmask_b32_e64 v14, v14, v15, s[22:23]
	v_cmp_lt_f32_e64 s[22:23], 0, v38
	v_cndmask_b32_e64 v14, v14, v16, s[22:23]
	v_mul_f32_e32 v15, 0x37800000, v14
	v_cndmask_b32_e32 v14, v14, v15, vcc
	v_cmp_class_f32_e32 vcc, v5, v27
	v_cndmask_b32_e32 v5, v14, v5, vcc
	v_mul_f32_e32 v14, v13, v5
.LBB39_115:                             ;   in Loop: Header=BB39_14 Depth=3
	s_or_b64 exec, exec, s[74:75]
                                        ; implicit-def: $vgpr5
                                        ; implicit-def: $vgpr13
	s_andn2_saveexec_b64 s[72:73], s[72:73]
	s_cbranch_execz .LBB39_75
.LBB39_116:                             ;   in Loop: Header=BB39_14 Depth=3
	v_div_scale_f32 v14, s[22:23], v5, v5, v13
	v_div_scale_f32 v15, vcc, v13, v5, v13
	v_rcp_f32_e32 v16, v14
	v_fma_f32 v37, -v14, v16, 1.0
	v_fmac_f32_e32 v16, v37, v16
	v_mul_f32_e32 v37, v15, v16
	v_fma_f32 v38, -v14, v37, v15
	v_fmac_f32_e32 v37, v38, v16
	v_fma_f32 v14, -v14, v37, v15
	v_div_fmas_f32 v14, v14, v16, v37
	v_div_fixup_f32 v13, v14, v5, v13
	v_fma_f32 v13, v13, v13, 1.0
	v_mul_f32_e32 v14, 0x4f800000, v13
	v_cmp_gt_f32_e32 vcc, s0, v13
	v_cndmask_b32_e32 v13, v13, v14, vcc
	v_sqrt_f32_e32 v14, v13
	v_add_u32_e32 v15, -1, v14
	v_add_u32_e32 v16, 1, v14
	v_fma_f32 v37, -v15, v14, v13
	v_fma_f32 v38, -v16, v14, v13
	v_cmp_ge_f32_e64 s[22:23], 0, v37
	v_cndmask_b32_e64 v14, v14, v15, s[22:23]
	v_cmp_lt_f32_e64 s[22:23], 0, v38
	v_cndmask_b32_e64 v14, v14, v16, s[22:23]
	v_mul_f32_e32 v15, 0x37800000, v14
	v_cndmask_b32_e32 v14, v14, v15, vcc
	v_cmp_class_f32_e32 vcc, v13, v27
	v_cndmask_b32_e32 v13, v14, v13, vcc
	v_mul_f32_e32 v14, v5, v13
	s_or_b64 exec, exec, s[72:73]
	v_cmp_class_f32_e64 s[66:67], v14, s1
	s_and_saveexec_b64 s[22:23], s[66:67]
	s_cbranch_execnz .LBB39_76
	s_branch .LBB39_77
.LBB39_117:                             ;   in Loop: Header=BB39_14 Depth=3
	v_mov_b32_e32 v14, 0
	v_cmp_neq_f32_e32 vcc, 0, v15
	s_and_saveexec_b64 s[80:81], vcc
	s_cbranch_execz .LBB39_119
; %bb.118:                              ;   in Loop: Header=BB39_14 Depth=3
	v_div_scale_f32 v14, s[22:23], v13, v13, v5
	v_div_scale_f32 v15, vcc, v5, v13, v5
	v_rcp_f32_e32 v16, v14
	v_fma_f32 v37, -v14, v16, 1.0
	v_fmac_f32_e32 v16, v37, v16
	v_mul_f32_e32 v37, v15, v16
	v_fma_f32 v38, -v14, v37, v15
	v_fmac_f32_e32 v37, v38, v16
	v_fma_f32 v14, -v14, v37, v15
	v_div_fmas_f32 v14, v14, v16, v37
	v_div_fixup_f32 v5, v14, v13, v5
	v_fma_f32 v5, v5, v5, 1.0
	v_mul_f32_e32 v14, 0x4f800000, v5
	v_cmp_gt_f32_e32 vcc, s0, v5
	v_cndmask_b32_e32 v5, v5, v14, vcc
	v_sqrt_f32_e32 v14, v5
	v_add_u32_e32 v15, -1, v14
	v_add_u32_e32 v16, 1, v14
	v_fma_f32 v37, -v15, v14, v5
	v_fma_f32 v38, -v16, v14, v5
	v_cmp_ge_f32_e64 s[22:23], 0, v37
	v_cndmask_b32_e64 v14, v14, v15, s[22:23]
	v_cmp_lt_f32_e64 s[22:23], 0, v38
	v_cndmask_b32_e64 v14, v14, v16, s[22:23]
	v_mul_f32_e32 v15, 0x37800000, v14
	v_cndmask_b32_e32 v14, v14, v15, vcc
	v_cmp_class_f32_e32 vcc, v5, v27
	v_cndmask_b32_e32 v5, v14, v5, vcc
	v_mul_f32_e32 v14, v13, v5
.LBB39_119:                             ;   in Loop: Header=BB39_14 Depth=3
	s_or_b64 exec, exec, s[80:81]
                                        ; implicit-def: $vgpr5
                                        ; implicit-def: $vgpr13
	s_andn2_saveexec_b64 s[72:73], s[72:73]
	s_cbranch_execz .LBB39_59
.LBB39_120:                             ;   in Loop: Header=BB39_14 Depth=3
	v_div_scale_f32 v14, s[22:23], v5, v5, v13
	v_div_scale_f32 v15, vcc, v13, v5, v13
	v_rcp_f32_e32 v16, v14
	v_fma_f32 v37, -v14, v16, 1.0
	v_fmac_f32_e32 v16, v37, v16
	v_mul_f32_e32 v37, v15, v16
	v_fma_f32 v38, -v14, v37, v15
	v_fmac_f32_e32 v37, v38, v16
	v_fma_f32 v14, -v14, v37, v15
	v_div_fmas_f32 v14, v14, v16, v37
	v_div_fixup_f32 v13, v14, v5, v13
	v_fma_f32 v13, v13, v13, 1.0
	v_mul_f32_e32 v14, 0x4f800000, v13
	v_cmp_gt_f32_e32 vcc, s0, v13
	v_cndmask_b32_e32 v13, v13, v14, vcc
	v_sqrt_f32_e32 v14, v13
	v_add_u32_e32 v15, -1, v14
	v_add_u32_e32 v16, 1, v14
	v_fma_f32 v37, -v15, v14, v13
	v_fma_f32 v38, -v16, v14, v13
	v_cmp_ge_f32_e64 s[22:23], 0, v37
	v_cndmask_b32_e64 v14, v14, v15, s[22:23]
	v_cmp_lt_f32_e64 s[22:23], 0, v38
	v_cndmask_b32_e64 v14, v14, v16, s[22:23]
	v_mul_f32_e32 v15, 0x37800000, v14
	v_cndmask_b32_e32 v14, v14, v15, vcc
	v_cmp_class_f32_e32 vcc, v13, v27
	v_cndmask_b32_e32 v13, v14, v13, vcc
	v_mul_f32_e32 v14, v5, v13
	s_or_b64 exec, exec, s[72:73]
	v_cmp_class_f32_e64 s[66:67], v14, s1
	s_and_saveexec_b64 s[22:23], s[66:67]
	s_cbranch_execnz .LBB39_60
	s_branch .LBB39_61
.LBB39_121:                             ;   in Loop: Header=BB39_5 Depth=1
	s_and_b64 vcc, exec, s[34:35]
	s_cbranch_vccz .LBB39_137
; %bb.122:                              ;   in Loop: Header=BB39_5 Depth=1
	v_mov_b32_dpp v1, v22 row_shr:1 row_mask:0xf bank_mask:0xf
	v_cmp_lt_f32_e32 vcc, v22, v1
	v_cndmask_b32_e32 v1, v22, v1, vcc
	s_nop 1
	v_mov_b32_dpp v3, v1 row_shr:2 row_mask:0xf bank_mask:0xf
	v_cmp_lt_f32_e32 vcc, v1, v3
	v_cndmask_b32_e32 v1, v1, v3, vcc
	s_nop 1
	;; [unrolled: 4-line block ×3, first 2 shown]
	v_mov_b32_dpp v3, v1 row_shr:8 row_mask:0xf bank_mask:0xc
	s_and_saveexec_b64 s[20:21], s[2:3]
; %bb.123:                              ;   in Loop: Header=BB39_5 Depth=1
	v_cmp_lt_f32_e32 vcc, v1, v3
	v_cndmask_b32_e32 v1, v1, v3, vcc
	ds_write_b32 v24, v1
; %bb.124:                              ;   in Loop: Header=BB39_5 Depth=1
	s_or_b64 exec, exec, s[20:21]
	s_waitcnt vmcnt(0) lgkmcnt(0)
	s_barrier
	s_and_saveexec_b64 s[20:21], s[6:7]
	s_cbranch_execz .LBB39_126
; %bb.125:                              ;   in Loop: Header=BB39_5 Depth=1
	ds_read2_b32 v[3:4], v17 offset1:32
	s_waitcnt lgkmcnt(0)
	v_cmp_lt_f32_e32 vcc, v3, v4
	v_cndmask_b32_e32 v1, v3, v4, vcc
	ds_write_b32 v17, v1
.LBB39_126:                             ;   in Loop: Header=BB39_5 Depth=1
	s_or_b64 exec, exec, s[20:21]
	s_waitcnt lgkmcnt(0)
	s_barrier
	s_and_saveexec_b64 s[20:21], s[8:9]
	s_cbranch_execz .LBB39_128
; %bb.127:                              ;   in Loop: Header=BB39_5 Depth=1
	ds_read2_b32 v[3:4], v17 offset1:16
	s_waitcnt lgkmcnt(0)
	v_cmp_lt_f32_e32 vcc, v3, v4
	v_cndmask_b32_e32 v1, v3, v4, vcc
	ds_write_b32 v17, v1
.LBB39_128:                             ;   in Loop: Header=BB39_5 Depth=1
	s_or_b64 exec, exec, s[20:21]
	s_waitcnt lgkmcnt(0)
	;; [unrolled: 12-line block ×5, first 2 shown]
	s_barrier
	s_and_saveexec_b64 s[20:21], s[16:17]
	s_cbranch_execz .LBB39_136
; %bb.135:                              ;   in Loop: Header=BB39_5 Depth=1
	ds_read_b64 v[3:4], v2
	s_waitcnt lgkmcnt(0)
	v_cmp_lt_f32_e32 vcc, v3, v4
	v_cndmask_b32_e32 v1, v3, v4, vcc
	ds_write_b32 v2, v1
.LBB39_136:                             ;   in Loop: Header=BB39_5 Depth=1
	s_or_b64 exec, exec, s[20:21]
	v_readlane_b32 s4, v43, 4
	v_readlane_b32 s5, v43, 5
	s_waitcnt lgkmcnt(0)
	s_barrier
	ds_read_b32 v1, v2
	s_load_dword s20, s[4:5], 0x0
	s_waitcnt lgkmcnt(0)
	v_div_scale_f32 v3, s[4:5], s20, s20, v1
	v_div_scale_f32 v4, vcc, v1, s20, v1
	v_rcp_f32_e32 v5, v3
	v_fma_f32 v6, -v3, v5, 1.0
	v_fmac_f32_e32 v5, v6, v5
	v_mul_f32_e32 v6, v4, v5
	v_fma_f32 v7, -v3, v6, v4
	v_fmac_f32_e32 v6, v7, v5
	v_fma_f32 v3, -v3, v6, v4
	v_div_fmas_f32 v3, v3, v5, v6
	v_div_fixup_f32 v22, v3, s20, v1
.LBB39_137:                             ;   in Loop: Header=BB39_5 Depth=1
	s_andn2_b64 vcc, exec, s[26:27]
	s_cbranch_vccnz .LBB39_153
; %bb.138:                              ;   in Loop: Header=BB39_5 Depth=1
	v_mov_b32_dpp v1, v18 row_shr:1 row_mask:0xf bank_mask:0xf
	v_cmp_lt_f32_e32 vcc, v18, v1
	v_cndmask_b32_e32 v1, v18, v1, vcc
	s_nop 1
	v_mov_b32_dpp v3, v1 row_shr:2 row_mask:0xf bank_mask:0xf
	v_cmp_lt_f32_e32 vcc, v1, v3
	v_cndmask_b32_e32 v1, v1, v3, vcc
	s_nop 1
	;; [unrolled: 4-line block ×3, first 2 shown]
	v_mov_b32_dpp v3, v1 row_shr:8 row_mask:0xf bank_mask:0xc
	s_and_saveexec_b64 s[20:21], s[2:3]
; %bb.139:                              ;   in Loop: Header=BB39_5 Depth=1
	v_cmp_lt_f32_e32 vcc, v1, v3
	v_cndmask_b32_e32 v1, v1, v3, vcc
	ds_write_b32 v24, v1
; %bb.140:                              ;   in Loop: Header=BB39_5 Depth=1
	s_or_b64 exec, exec, s[20:21]
	s_waitcnt vmcnt(0) lgkmcnt(0)
	s_barrier
	s_and_saveexec_b64 s[20:21], s[6:7]
	s_cbranch_execz .LBB39_142
; %bb.141:                              ;   in Loop: Header=BB39_5 Depth=1
	ds_read2_b32 v[3:4], v17 offset1:32
	s_waitcnt lgkmcnt(0)
	v_cmp_lt_f32_e32 vcc, v3, v4
	v_cndmask_b32_e32 v1, v3, v4, vcc
	ds_write_b32 v17, v1
.LBB39_142:                             ;   in Loop: Header=BB39_5 Depth=1
	s_or_b64 exec, exec, s[20:21]
	s_waitcnt lgkmcnt(0)
	s_barrier
	s_and_saveexec_b64 s[20:21], s[8:9]
	s_cbranch_execz .LBB39_144
; %bb.143:                              ;   in Loop: Header=BB39_5 Depth=1
	ds_read2_b32 v[3:4], v17 offset1:16
	s_waitcnt lgkmcnt(0)
	v_cmp_lt_f32_e32 vcc, v3, v4
	v_cndmask_b32_e32 v1, v3, v4, vcc
	ds_write_b32 v17, v1
.LBB39_144:                             ;   in Loop: Header=BB39_5 Depth=1
	s_or_b64 exec, exec, s[20:21]
	s_waitcnt lgkmcnt(0)
	;; [unrolled: 12-line block ×5, first 2 shown]
	s_barrier
	s_and_saveexec_b64 s[20:21], s[16:17]
	s_cbranch_execz .LBB39_152
; %bb.151:                              ;   in Loop: Header=BB39_5 Depth=1
	ds_read_b64 v[3:4], v2
	s_waitcnt lgkmcnt(0)
	v_cmp_lt_f32_e32 vcc, v3, v4
	v_cndmask_b32_e32 v1, v3, v4, vcc
	ds_write_b32 v2, v1
.LBB39_152:                             ;   in Loop: Header=BB39_5 Depth=1
	s_or_b64 exec, exec, s[20:21]
	v_readlane_b32 s4, v43, 4
	v_readlane_b32 s5, v43, 5
	s_waitcnt lgkmcnt(0)
	s_barrier
	ds_read_b32 v1, v2
	s_load_dword s20, s[4:5], 0x0
	s_waitcnt lgkmcnt(0)
	v_div_scale_f32 v3, s[4:5], s20, s20, v1
	v_div_scale_f32 v4, vcc, v1, s20, v1
	v_rcp_f32_e32 v5, v3
	v_fma_f32 v6, -v3, v5, 1.0
	v_fmac_f32_e32 v5, v6, v5
	v_mul_f32_e32 v6, v4, v5
	v_fma_f32 v7, -v3, v6, v4
	v_fmac_f32_e32 v6, v7, v5
	v_fma_f32 v3, -v3, v6, v4
	v_div_fmas_f32 v3, v3, v5, v6
	v_div_fixup_f32 v18, v3, s20, v1
.LBB39_153:                             ;   in Loop: Header=BB39_5 Depth=1
	s_mov_b64 s[20:21], exec
	v_readlane_b32 s4, v43, 8
	v_readlane_b32 s5, v43, 9
	s_and_b64 s[4:5], s[20:21], s[4:5]
	s_mov_b64 exec, s[4:5]
	s_cbranch_execz .LBB39_165
; %bb.154:                              ;   in Loop: Header=BB39_5 Depth=1
	s_mov_b64 s[22:23], 0
	v_mov_b32_e32 v3, v21
	s_branch .LBB39_156
.LBB39_155:                             ;   in Loop: Header=BB39_156 Depth=2
	s_or_b64 exec, exec, s[24:25]
	v_add_u32_e32 v3, 64, v3
	v_cmp_le_u32_e32 vcc, s31, v3
	s_or_b64 s[22:23], vcc, s[22:23]
	s_andn2_b64 exec, exec, s[22:23]
	s_cbranch_execz .LBB39_165
.LBB39_156:                             ;   Parent Loop BB39_5 Depth=1
                                        ; =>  This Loop Header: Depth=2
                                        ;       Child Loop BB39_159 Depth 3
                                        ;       Child Loop BB39_162 Depth 3
	v_cmp_gt_i32_e32 vcc, s69, v3
	s_and_saveexec_b64 s[24:25], vcc
	s_cbranch_execz .LBB39_155
; %bb.157:                              ;   in Loop: Header=BB39_156 Depth=2
	v_ashrrev_i32_e32 v4, 31, v3
	v_lshlrev_b64 v[5:6], 2, v[3:4]
	v_mov_b32_e32 v1, s45
	v_add_co_u32_e32 v7, vcc, s44, v5
	v_addc_co_u32_e32 v8, vcc, v1, v6, vcc
	global_load_dword v1, v[7:8], off
	v_mov_b32_e32 v8, s47
	v_add_co_u32_e32 v7, vcc, s46, v5
	v_addc_co_u32_e32 v8, vcc, v8, v6, vcc
	global_load_dword v8, v[7:8], off
	s_waitcnt vmcnt(1)
	v_add_u32_e32 v7, v25, v1
	s_waitcnt vmcnt(0)
	v_subrev_u32_e32 v1, s29, v8
	v_cmp_lt_i32_e32 vcc, v7, v1
	s_and_saveexec_b64 s[70:71], vcc
	s_cbranch_execz .LBB39_160
; %bb.158:                              ;   in Loop: Header=BB39_156 Depth=2
	v_ashrrev_i32_e32 v8, 31, v7
	v_lshlrev_b64 v[10:11], 3, v[7:8]
	v_mov_b32_e32 v9, s77
	v_add_co_u32_e32 v8, vcc, s76, v10
	v_addc_co_u32_e32 v9, vcc, v9, v11, vcc
	v_mov_b32_e32 v12, s51
	v_add_co_u32_e32 v10, vcc, s50, v10
	v_addc_co_u32_e32 v11, vcc, v12, v11, vcc
	s_mov_b64 s[72:73], 0
.LBB39_159:                             ;   Parent Loop BB39_5 Depth=1
                                        ;     Parent Loop BB39_156 Depth=2
                                        ; =>    This Inner Loop Header: Depth=3
	global_load_dwordx2 v[12:13], v[8:9], off
	v_add_co_u32_e32 v8, vcc, 0x80, v8
	v_add_u32_e32 v7, 16, v7
	v_addc_co_u32_e32 v9, vcc, 0, v9, vcc
	v_cmp_ge_i32_e32 vcc, v7, v1
	s_or_b64 s[72:73], vcc, s[72:73]
	s_waitcnt vmcnt(0)
	global_store_dwordx2 v[10:11], v[12:13], off
	v_add_co_u32_e32 v10, vcc, 0x80, v10
	v_addc_co_u32_e32 v11, vcc, 0, v11, vcc
	s_andn2_b64 exec, exec, s[72:73]
	s_cbranch_execnz .LBB39_159
.LBB39_160:                             ;   in Loop: Header=BB39_156 Depth=2
	s_or_b64 exec, exec, s[70:71]
	v_mov_b32_e32 v1, s37
	v_add_co_u32_e32 v7, vcc, s36, v5
	v_addc_co_u32_e32 v8, vcc, v1, v6, vcc
	global_load_dword v1, v[7:8], off
	v_mov_b32_e32 v7, s39
	v_add_co_u32_e32 v5, vcc, s38, v5
	v_addc_co_u32_e32 v6, vcc, v7, v6, vcc
	global_load_dword v6, v[5:6], off
	s_waitcnt vmcnt(1)
	v_add_u32_e32 v5, v26, v1
	s_waitcnt vmcnt(0)
	v_subrev_u32_e32 v1, s30, v6
	v_cmp_lt_i32_e32 vcc, v5, v1
	s_and_saveexec_b64 s[70:71], vcc
	s_cbranch_execz .LBB39_163
; %bb.161:                              ;   in Loop: Header=BB39_156 Depth=2
	v_ashrrev_i32_e32 v6, 31, v5
	v_lshlrev_b64 v[8:9], 3, v[5:6]
	v_mov_b32_e32 v7, s79
	v_add_co_u32_e32 v6, vcc, s78, v8
	v_addc_co_u32_e32 v7, vcc, v7, v9, vcc
	v_mov_b32_e32 v10, s43
	v_add_co_u32_e32 v8, vcc, s42, v8
	v_addc_co_u32_e32 v9, vcc, v10, v9, vcc
	s_mov_b64 s[72:73], 0
.LBB39_162:                             ;   Parent Loop BB39_5 Depth=1
                                        ;     Parent Loop BB39_156 Depth=2
                                        ; =>    This Inner Loop Header: Depth=3
	global_load_dwordx2 v[10:11], v[6:7], off
	v_add_co_u32_e32 v6, vcc, 0x80, v6
	v_add_u32_e32 v5, 16, v5
	v_addc_co_u32_e32 v7, vcc, 0, v7, vcc
	v_cmp_ge_i32_e32 vcc, v5, v1
	s_or_b64 s[72:73], vcc, s[72:73]
	s_waitcnt vmcnt(0)
	global_store_dwordx2 v[8:9], v[10:11], off
	v_add_co_u32_e32 v8, vcc, 0x80, v8
	v_addc_co_u32_e32 v9, vcc, 0, v9, vcc
	s_andn2_b64 exec, exec, s[72:73]
	s_cbranch_execnz .LBB39_162
.LBB39_163:                             ;   in Loop: Header=BB39_156 Depth=2
	s_or_b64 exec, exec, s[70:71]
	s_and_b64 exec, exec, s[18:19]
	s_cbranch_execz .LBB39_155
; %bb.164:                              ;   in Loop: Header=BB39_156 Depth=2
	v_lshlrev_b64 v[4:5], 3, v[3:4]
	v_mov_b32_e32 v1, s63
	v_add_co_u32_e32 v6, vcc, s62, v4
	v_addc_co_u32_e32 v7, vcc, v1, v5, vcc
	global_load_dwordx2 v[6:7], v[6:7], off
	v_mov_b32_e32 v1, s61
	v_add_co_u32_e32 v4, vcc, s60, v4
	v_addc_co_u32_e32 v5, vcc, v1, v5, vcc
	s_waitcnt vmcnt(0)
	global_store_dwordx2 v[4:5], v[6:7], off
	s_branch .LBB39_155
.LBB39_165:                             ;   in Loop: Header=BB39_5 Depth=1
	s_or_b64 exec, exec, s[20:21]
	s_mov_b64 s[22:23], -1
	s_and_b64 vcc, exec, s[64:65]
	s_mov_b64 s[24:25], -1
	s_cbranch_vccz .LBB39_175
; %bb.166:                              ;   in Loop: Header=BB39_5 Depth=1
	v_readlane_b32 s4, v43, 10
	v_readlane_b32 s5, v43, 11
	s_mov_b64 s[20:21], -1
	s_and_b64 vcc, exec, s[4:5]
                                        ; implicit-def: $sgpr24_sgpr25
	s_cbranch_vccz .LBB39_172
; %bb.167:                              ;   in Loop: Header=BB39_5 Depth=1
	v_readlane_b32 s4, v43, 6
	v_readlane_b32 s5, v43, 7
	s_and_b64 vcc, exec, s[4:5]
                                        ; implicit-def: $sgpr24_sgpr25
	s_cbranch_vccz .LBB39_169
; %bb.168:                              ;   in Loop: Header=BB39_5 Depth=1
	v_cmp_ge_f32_e64 s[24:25], s68, v18
	s_mov_b64 s[20:21], 0
.LBB39_169:                             ;   in Loop: Header=BB39_5 Depth=1
	s_andn2_b64 vcc, exec, s[20:21]
	s_cbranch_vccnz .LBB39_171
; %bb.170:                              ;   in Loop: Header=BB39_5 Depth=1
	v_cmp_ge_f32_e32 vcc, s68, v22
	s_andn2_b64 s[4:5], s[24:25], exec
	s_and_b64 s[20:21], vcc, exec
	s_or_b64 s[24:25], s[4:5], s[20:21]
.LBB39_171:                             ;   in Loop: Header=BB39_5 Depth=1
	s_mov_b64 s[20:21], 0
.LBB39_172:                             ;   in Loop: Header=BB39_5 Depth=1
	s_andn2_b64 vcc, exec, s[20:21]
	s_cbranch_vccnz .LBB39_174
; %bb.173:                              ;   in Loop: Header=BB39_5 Depth=1
	v_cmp_ge_f32_e32 vcc, s68, v22
	v_cmp_ge_f32_e64 s[20:21], s68, v18
	s_and_b64 s[4:5], vcc, s[20:21]
	s_andn2_b64 s[20:21], s[24:25], exec
	s_and_b64 s[4:5], s[4:5], exec
	s_or_b64 s[24:25], s[20:21], s[4:5]
.LBB39_174:                             ;   in Loop: Header=BB39_5 Depth=1
	s_xor_b64 s[24:25], s[24:25], -1
.LBB39_175:                             ;   in Loop: Header=BB39_5 Depth=1
	v_mov_b32_e32 v1, s33
	s_and_saveexec_b64 s[20:21], s[24:25]
	s_cbranch_execz .LBB39_4
; %bb.176:                              ;   in Loop: Header=BB39_5 Depth=1
	v_readlane_b32 s4, v43, 0
	s_add_i32 s33, s33, 1
	v_readlane_b32 s5, v43, 1
	s_cmp_eq_u32 s33, s5
	s_mov_b32 s23, s5
	s_cselect_b64 s[4:5], -1, 0
	v_mov_b32_e32 v1, s23
	s_orn2_b64 s[22:23], s[4:5], exec
	s_branch .LBB39_4
.LBB39_177:
	s_or_b64 exec, exec, s[82:83]
	v_readlane_b32 s4, v43, 12
	v_readlane_b32 s5, v43, 13
	s_load_dwordx4 s[8:11], s[4:5], 0xb8
	v_readlane_b32 s2, v43, 2
	v_readlane_b32 s3, v43, 3
	s_or_b64 exec, exec, s[2:3]
	s_andn2_b64 vcc, exec, s[64:65]
	s_cbranch_vccnz .LBB39_2
.LBB39_178:
	v_mov_b32_dpp v2, v1 row_shr:1 row_mask:0xf bank_mask:0xf
	v_max_i32_e32 v1, v1, v2
	v_cmp_eq_u32_e32 vcc, 15, v20
	s_nop 0
	v_mov_b32_dpp v2, v1 row_shr:2 row_mask:0xf bank_mask:0xf
	v_max_i32_e32 v1, v1, v2
	s_nop 1
	v_mov_b32_dpp v2, v1 row_shr:4 row_mask:0xf bank_mask:0xe
	v_max_i32_e32 v1, v1, v2
	s_nop 1
	v_mov_b32_dpp v2, v1 row_shr:8 row_mask:0xf bank_mask:0xc
	s_and_saveexec_b64 s[0:1], vcc
; %bb.179:
	v_lshlrev_b32_e32 v3, 2, v19
	v_max_i32_e32 v1, v1, v2
	ds_write_b32 v3, v1 offset:256
; %bb.180:
	s_or_b64 exec, exec, s[0:1]
	v_cmp_gt_u32_e32 vcc, 32, v0
	s_waitcnt vmcnt(0) lgkmcnt(0)
	s_barrier
	s_and_saveexec_b64 s[0:1], vcc
	s_cbranch_execz .LBB39_182
; %bb.181:
	ds_read2_b32 v[1:2], v17 offset0:64 offset1:96
	s_waitcnt lgkmcnt(0)
	v_max_i32_e32 v1, v1, v2
	ds_write_b32 v17, v1 offset:256
.LBB39_182:
	s_or_b64 exec, exec, s[0:1]
	v_cmp_gt_u32_e32 vcc, 16, v0
	s_waitcnt lgkmcnt(0)
	s_barrier
	s_and_saveexec_b64 s[0:1], vcc
	s_cbranch_execz .LBB39_184
; %bb.183:
	ds_read2_b32 v[1:2], v17 offset0:64 offset1:80
	s_waitcnt lgkmcnt(0)
	v_max_i32_e32 v1, v1, v2
	ds_write_b32 v17, v1 offset:256
.LBB39_184:
	s_or_b64 exec, exec, s[0:1]
	v_cmp_gt_u32_e32 vcc, 8, v0
	s_waitcnt lgkmcnt(0)
	;; [unrolled: 12-line block ×4, first 2 shown]
	s_barrier
	s_and_saveexec_b64 s[0:1], vcc
	s_cbranch_execz .LBB39_190
; %bb.189:
	ds_read2_b32 v[1:2], v17 offset0:64 offset1:66
	s_waitcnt lgkmcnt(0)
	v_max_i32_e32 v1, v1, v2
	ds_write_b32 v17, v1 offset:256
.LBB39_190:
	s_or_b64 exec, exec, s[0:1]
	v_cmp_eq_u32_e32 vcc, 0, v0
	s_waitcnt lgkmcnt(0)
	s_barrier
	s_and_saveexec_b64 s[0:1], vcc
	s_cbranch_execz .LBB39_192
; %bb.191:
	v_mov_b32_e32 v3, 0
	ds_read_b64 v[1:2], v3 offset:256
	s_waitcnt lgkmcnt(0)
	v_max_i32_e32 v1, v1, v2
	ds_write_b32 v3, v1 offset:256
.LBB39_192:
	s_or_b64 exec, exec, s[0:1]
	s_waitcnt lgkmcnt(0)
	s_barrier
	s_and_saveexec_b64 s[0:1], vcc
	s_cbranch_execz .LBB39_195
; %bb.193:
	v_mbcnt_lo_u32_b32 v1, exec_lo, 0
	v_mbcnt_hi_u32_b32 v1, exec_hi, v1
	v_cmp_eq_u32_e32 vcc, 0, v1
	s_and_b64 exec, exec, vcc
	s_cbranch_execz .LBB39_195
; %bb.194:
	v_mov_b32_e32 v1, 0
	ds_read_b32 v2, v1 offset:256
	s_load_dwordx2 s[2:3], s[4:5], 0x8
	s_waitcnt lgkmcnt(0)
	v_add_u32_e32 v2, 1, v2
	global_atomic_smax v1, v2, s[2:3]
.LBB39_195:
	s_or_b64 exec, exec, s[0:1]
	v_cmp_eq_u32_e32 vcc, 0, v0
	s_and_b64 s[0:1], vcc, s[34:35]
	s_and_saveexec_b64 s[2:3], s[0:1]
	s_cbranch_execz .LBB39_202
.LBB39_196:
	s_mov_b64 s[0:1], exec
	v_mov_b32_e32 v0, 0x7fc00000
.LBB39_197:                             ; =>This Inner Loop Header: Depth=1
	s_ff1_i32_b64 s4, s[0:1]
	v_readlane_b32 s6, v22, s4
	s_lshl_b64 s[4:5], 1, s4
	v_max_f32_e32 v0, v0, v0
	v_max_f32_e64 v1, s6, s6
	s_andn2_b64 s[0:1], s[0:1], s[4:5]
	s_cmp_lg_u64 s[0:1], 0
	v_max_f32_e32 v0, v0, v1
	s_cbranch_scc1 .LBB39_197
; %bb.198:
	v_mbcnt_lo_u32_b32 v1, exec_lo, 0
	v_mbcnt_hi_u32_b32 v1, exec_hi, v1
	v_cmp_eq_u32_e64 s[0:1], 0, v1
	s_and_saveexec_b64 s[4:5], s[0:1]
	s_xor_b64 s[4:5], exec, s[4:5]
	s_cbranch_execz .LBB39_202
; %bb.199:
	v_mov_b32_e32 v2, 0
	s_waitcnt lgkmcnt(0)
	global_load_dword v1, v2, s[8:9]
	s_mov_b64 s[4:5], 0
	v_max_f32_e32 v3, v0, v0
.LBB39_200:                             ; =>This Inner Loop Header: Depth=1
	s_waitcnt vmcnt(0)
	v_max_f32_e32 v0, v1, v1
	v_max_f32_e32 v0, v0, v3
	global_atomic_cmpswap v0, v2, v[0:1], s[8:9] glc
	s_waitcnt vmcnt(0)
	v_cmp_eq_u32_e64 s[0:1], v0, v1
	s_or_b64 s[4:5], s[0:1], s[4:5]
	v_mov_b32_e32 v1, v0
	s_andn2_b64 exec, exec, s[4:5]
	s_cbranch_execnz .LBB39_200
; %bb.201:
	s_or_b64 exec, exec, s[4:5]
.LBB39_202:
	s_or_b64 exec, exec, s[2:3]
	s_and_b64 s[0:1], vcc, s[26:27]
	s_and_saveexec_b64 s[2:3], s[0:1]
	s_cbranch_execz .LBB39_208
; %bb.203:
	s_mov_b64 s[0:1], exec
	v_mov_b32_e32 v0, 0x7fc00000
.LBB39_204:                             ; =>This Inner Loop Header: Depth=1
	s_ff1_i32_b64 s2, s[0:1]
	v_readlane_b32 s4, v18, s2
	s_lshl_b64 s[2:3], 1, s2
	v_max_f32_e32 v0, v0, v0
	v_max_f32_e64 v1, s4, s4
	s_andn2_b64 s[0:1], s[0:1], s[2:3]
	s_cmp_lg_u64 s[0:1], 0
	v_max_f32_e32 v0, v0, v1
	s_cbranch_scc1 .LBB39_204
; %bb.205:
	v_mbcnt_lo_u32_b32 v1, exec_lo, 0
	v_mbcnt_hi_u32_b32 v1, exec_hi, v1
	v_cmp_eq_u32_e32 vcc, 0, v1
	s_and_saveexec_b64 s[0:1], vcc
	s_xor_b64 s[0:1], exec, s[0:1]
	s_cbranch_execz .LBB39_208
; %bb.206:
	v_mov_b32_e32 v2, 0
	s_waitcnt lgkmcnt(0)
	global_load_dword v1, v2, s[10:11]
	s_mov_b64 s[0:1], 0
	v_max_f32_e32 v3, v0, v0
.LBB39_207:                             ; =>This Inner Loop Header: Depth=1
	s_waitcnt vmcnt(0)
	v_max_f32_e32 v0, v1, v1
	v_max_f32_e32 v0, v0, v3
	global_atomic_cmpswap v0, v2, v[0:1], s[10:11] glc
	s_waitcnt vmcnt(0)
	v_cmp_eq_u32_e32 vcc, v0, v1
	s_or_b64 s[0:1], vcc, s[0:1]
	v_mov_b32_e32 v1, v0
	s_andn2_b64 exec, exec, s[0:1]
	s_cbranch_execnz .LBB39_207
.LBB39_208:
	s_endpgm
	.section	.rodata,"a",@progbits
	.p2align	6, 0x0
	.amdhsa_kernel _ZN9rocsparseL6kernelILi1024ELi16E21rocsparse_complex_numIfEiiEEvbbbT3_PS3_NS_15floating_traitsIT1_E6data_tES3_T2_PKS9_SB_PKS3_PKS6_21rocsparse_index_base_SB_SB_SD_PS6_SH_SG_SB_SB_SD_SH_SH_SG_SH_SH_PS8_SI_PKS8_
		.amdhsa_group_segment_fixed_size 512
		.amdhsa_private_segment_fixed_size 0
		.amdhsa_kernarg_size 208
		.amdhsa_user_sgpr_count 6
		.amdhsa_user_sgpr_private_segment_buffer 1
		.amdhsa_user_sgpr_dispatch_ptr 0
		.amdhsa_user_sgpr_queue_ptr 0
		.amdhsa_user_sgpr_kernarg_segment_ptr 1
		.amdhsa_user_sgpr_dispatch_id 0
		.amdhsa_user_sgpr_flat_scratch_init 0
		.amdhsa_user_sgpr_private_segment_size 0
		.amdhsa_uses_dynamic_stack 0
		.amdhsa_system_sgpr_private_segment_wavefront_offset 0
		.amdhsa_system_sgpr_workgroup_id_x 1
		.amdhsa_system_sgpr_workgroup_id_y 0
		.amdhsa_system_sgpr_workgroup_id_z 0
		.amdhsa_system_sgpr_workgroup_info 0
		.amdhsa_system_vgpr_workitem_id 0
		.amdhsa_next_free_vgpr 44
		.amdhsa_next_free_sgpr 96
		.amdhsa_reserve_vcc 1
		.amdhsa_reserve_flat_scratch 0
		.amdhsa_float_round_mode_32 0
		.amdhsa_float_round_mode_16_64 0
		.amdhsa_float_denorm_mode_32 3
		.amdhsa_float_denorm_mode_16_64 3
		.amdhsa_dx10_clamp 1
		.amdhsa_ieee_mode 1
		.amdhsa_fp16_overflow 0
		.amdhsa_exception_fp_ieee_invalid_op 0
		.amdhsa_exception_fp_denorm_src 0
		.amdhsa_exception_fp_ieee_div_zero 0
		.amdhsa_exception_fp_ieee_overflow 0
		.amdhsa_exception_fp_ieee_underflow 0
		.amdhsa_exception_fp_ieee_inexact 0
		.amdhsa_exception_int_div_zero 0
	.end_amdhsa_kernel
	.section	.text._ZN9rocsparseL6kernelILi1024ELi16E21rocsparse_complex_numIfEiiEEvbbbT3_PS3_NS_15floating_traitsIT1_E6data_tES3_T2_PKS9_SB_PKS3_PKS6_21rocsparse_index_base_SB_SB_SD_PS6_SH_SG_SB_SB_SD_SH_SH_SG_SH_SH_PS8_SI_PKS8_,"axG",@progbits,_ZN9rocsparseL6kernelILi1024ELi16E21rocsparse_complex_numIfEiiEEvbbbT3_PS3_NS_15floating_traitsIT1_E6data_tES3_T2_PKS9_SB_PKS3_PKS6_21rocsparse_index_base_SB_SB_SD_PS6_SH_SG_SB_SB_SD_SH_SH_SG_SH_SH_PS8_SI_PKS8_,comdat
.Lfunc_end39:
	.size	_ZN9rocsparseL6kernelILi1024ELi16E21rocsparse_complex_numIfEiiEEvbbbT3_PS3_NS_15floating_traitsIT1_E6data_tES3_T2_PKS9_SB_PKS3_PKS6_21rocsparse_index_base_SB_SB_SD_PS6_SH_SG_SB_SB_SD_SH_SH_SG_SH_SH_PS8_SI_PKS8_, .Lfunc_end39-_ZN9rocsparseL6kernelILi1024ELi16E21rocsparse_complex_numIfEiiEEvbbbT3_PS3_NS_15floating_traitsIT1_E6data_tES3_T2_PKS9_SB_PKS3_PKS6_21rocsparse_index_base_SB_SB_SD_PS6_SH_SG_SB_SB_SD_SH_SH_SG_SH_SH_PS8_SI_PKS8_
                                        ; -- End function
	.set _ZN9rocsparseL6kernelILi1024ELi16E21rocsparse_complex_numIfEiiEEvbbbT3_PS3_NS_15floating_traitsIT1_E6data_tES3_T2_PKS9_SB_PKS3_PKS6_21rocsparse_index_base_SB_SB_SD_PS6_SH_SG_SB_SB_SD_SH_SH_SG_SH_SH_PS8_SI_PKS8_.num_vgpr, 44
	.set _ZN9rocsparseL6kernelILi1024ELi16E21rocsparse_complex_numIfEiiEEvbbbT3_PS3_NS_15floating_traitsIT1_E6data_tES3_T2_PKS9_SB_PKS3_PKS6_21rocsparse_index_base_SB_SB_SD_PS6_SH_SG_SB_SB_SD_SH_SH_SG_SH_SH_PS8_SI_PKS8_.num_agpr, 0
	.set _ZN9rocsparseL6kernelILi1024ELi16E21rocsparse_complex_numIfEiiEEvbbbT3_PS3_NS_15floating_traitsIT1_E6data_tES3_T2_PKS9_SB_PKS3_PKS6_21rocsparse_index_base_SB_SB_SD_PS6_SH_SG_SB_SB_SD_SH_SH_SG_SH_SH_PS8_SI_PKS8_.numbered_sgpr, 96
	.set _ZN9rocsparseL6kernelILi1024ELi16E21rocsparse_complex_numIfEiiEEvbbbT3_PS3_NS_15floating_traitsIT1_E6data_tES3_T2_PKS9_SB_PKS3_PKS6_21rocsparse_index_base_SB_SB_SD_PS6_SH_SG_SB_SB_SD_SH_SH_SG_SH_SH_PS8_SI_PKS8_.num_named_barrier, 0
	.set _ZN9rocsparseL6kernelILi1024ELi16E21rocsparse_complex_numIfEiiEEvbbbT3_PS3_NS_15floating_traitsIT1_E6data_tES3_T2_PKS9_SB_PKS3_PKS6_21rocsparse_index_base_SB_SB_SD_PS6_SH_SG_SB_SB_SD_SH_SH_SG_SH_SH_PS8_SI_PKS8_.private_seg_size, 0
	.set _ZN9rocsparseL6kernelILi1024ELi16E21rocsparse_complex_numIfEiiEEvbbbT3_PS3_NS_15floating_traitsIT1_E6data_tES3_T2_PKS9_SB_PKS3_PKS6_21rocsparse_index_base_SB_SB_SD_PS6_SH_SG_SB_SB_SD_SH_SH_SG_SH_SH_PS8_SI_PKS8_.uses_vcc, 1
	.set _ZN9rocsparseL6kernelILi1024ELi16E21rocsparse_complex_numIfEiiEEvbbbT3_PS3_NS_15floating_traitsIT1_E6data_tES3_T2_PKS9_SB_PKS3_PKS6_21rocsparse_index_base_SB_SB_SD_PS6_SH_SG_SB_SB_SD_SH_SH_SG_SH_SH_PS8_SI_PKS8_.uses_flat_scratch, 0
	.set _ZN9rocsparseL6kernelILi1024ELi16E21rocsparse_complex_numIfEiiEEvbbbT3_PS3_NS_15floating_traitsIT1_E6data_tES3_T2_PKS9_SB_PKS3_PKS6_21rocsparse_index_base_SB_SB_SD_PS6_SH_SG_SB_SB_SD_SH_SH_SG_SH_SH_PS8_SI_PKS8_.has_dyn_sized_stack, 0
	.set _ZN9rocsparseL6kernelILi1024ELi16E21rocsparse_complex_numIfEiiEEvbbbT3_PS3_NS_15floating_traitsIT1_E6data_tES3_T2_PKS9_SB_PKS3_PKS6_21rocsparse_index_base_SB_SB_SD_PS6_SH_SG_SB_SB_SD_SH_SH_SG_SH_SH_PS8_SI_PKS8_.has_recursion, 0
	.set _ZN9rocsparseL6kernelILi1024ELi16E21rocsparse_complex_numIfEiiEEvbbbT3_PS3_NS_15floating_traitsIT1_E6data_tES3_T2_PKS9_SB_PKS3_PKS6_21rocsparse_index_base_SB_SB_SD_PS6_SH_SG_SB_SB_SD_SH_SH_SG_SH_SH_PS8_SI_PKS8_.has_indirect_call, 0
	.section	.AMDGPU.csdata,"",@progbits
; Kernel info:
; codeLenInByte = 8184
; TotalNumSgprs: 100
; NumVgprs: 44
; ScratchSize: 0
; MemoryBound: 0
; FloatMode: 240
; IeeeMode: 1
; LDSByteSize: 512 bytes/workgroup (compile time only)
; SGPRBlocks: 12
; VGPRBlocks: 10
; NumSGPRsForWavesPerEU: 100
; NumVGPRsForWavesPerEU: 44
; Occupancy: 5
; WaveLimiterHint : 1
; COMPUTE_PGM_RSRC2:SCRATCH_EN: 0
; COMPUTE_PGM_RSRC2:USER_SGPR: 6
; COMPUTE_PGM_RSRC2:TRAP_HANDLER: 0
; COMPUTE_PGM_RSRC2:TGID_X_EN: 1
; COMPUTE_PGM_RSRC2:TGID_Y_EN: 0
; COMPUTE_PGM_RSRC2:TGID_Z_EN: 0
; COMPUTE_PGM_RSRC2:TIDIG_COMP_CNT: 0
	.section	.text._ZN9rocsparseL6kernelILi1024ELi32E21rocsparse_complex_numIfEiiEEvbbbT3_PS3_NS_15floating_traitsIT1_E6data_tES3_T2_PKS9_SB_PKS3_PKS6_21rocsparse_index_base_SB_SB_SD_PS6_SH_SG_SB_SB_SD_SH_SH_SG_SH_SH_PS8_SI_PKS8_,"axG",@progbits,_ZN9rocsparseL6kernelILi1024ELi32E21rocsparse_complex_numIfEiiEEvbbbT3_PS3_NS_15floating_traitsIT1_E6data_tES3_T2_PKS9_SB_PKS3_PKS6_21rocsparse_index_base_SB_SB_SD_PS6_SH_SG_SB_SB_SD_SH_SH_SG_SH_SH_PS8_SI_PKS8_,comdat
	.globl	_ZN9rocsparseL6kernelILi1024ELi32E21rocsparse_complex_numIfEiiEEvbbbT3_PS3_NS_15floating_traitsIT1_E6data_tES3_T2_PKS9_SB_PKS3_PKS6_21rocsparse_index_base_SB_SB_SD_PS6_SH_SG_SB_SB_SD_SH_SH_SG_SH_SH_PS8_SI_PKS8_ ; -- Begin function _ZN9rocsparseL6kernelILi1024ELi32E21rocsparse_complex_numIfEiiEEvbbbT3_PS3_NS_15floating_traitsIT1_E6data_tES3_T2_PKS9_SB_PKS3_PKS6_21rocsparse_index_base_SB_SB_SD_PS6_SH_SG_SB_SB_SD_SH_SH_SG_SH_SH_PS8_SI_PKS8_
	.p2align	8
	.type	_ZN9rocsparseL6kernelILi1024ELi32E21rocsparse_complex_numIfEiiEEvbbbT3_PS3_NS_15floating_traitsIT1_E6data_tES3_T2_PKS9_SB_PKS3_PKS6_21rocsparse_index_base_SB_SB_SD_PS6_SH_SG_SB_SB_SD_SH_SH_SG_SH_SH_PS8_SI_PKS8_,@function
_ZN9rocsparseL6kernelILi1024ELi32E21rocsparse_complex_numIfEiiEEvbbbT3_PS3_NS_15floating_traitsIT1_E6data_tES3_T2_PKS9_SB_PKS3_PKS6_21rocsparse_index_base_SB_SB_SD_PS6_SH_SG_SB_SB_SD_SH_SH_SG_SH_SH_PS8_SI_PKS8_: ; @_ZN9rocsparseL6kernelILi1024ELi32E21rocsparse_complex_numIfEiiEEvbbbT3_PS3_NS_15floating_traitsIT1_E6data_tES3_T2_PKS9_SB_PKS3_PKS6_21rocsparse_index_base_SB_SB_SD_PS6_SH_SG_SB_SB_SD_SH_SH_SG_SH_SH_PS8_SI_PKS8_
; %bb.0:
	s_load_dword s0, s[4:5], 0x0
	s_load_dwordx2 s[2:3], s[4:5], 0x0
	s_load_dwordx2 s[66:67], s[4:5], 0x10
	s_load_dwordx4 s[8:11], s[4:5], 0xb8
	v_lshrrev_b32_e32 v19, 5, v0
	s_waitcnt lgkmcnt(0)
	s_bitcmp1_b32 s0, 0
	s_cselect_b64 s[62:63], -1, 0
	s_bitcmp1_b32 s0, 8
	s_cselect_b64 s[60:61], -1, 0
	s_bitcmp1_b32 s2, 16
	s_cselect_b64 s[34:35], -1, 0
	s_lshl_b32 s53, s6, 10
	s_mov_b32 s1, s3
                                        ; implicit-def: $vgpr43 : SGPR spill to VGPR lane
	v_or_b32_e32 v21, s53, v19
	v_writelane_b32 v43, s0, 0
	s_cmp_gt_i32 s3, 0
	v_cmp_gt_i32_e32 vcc, s67, v21
	v_writelane_b32 v43, s1, 1
	s_cselect_b64 s[0:1], -1, 0
	v_and_b32_e32 v20, 31, v0
	v_lshlrev_b32_e32 v17, 2, v0
	s_mov_b32 s33, 0
	v_mov_b32_e32 v1, 0
	s_and_b64 s[0:1], s[0:1], vcc
	v_mov_b32_e32 v22, 0
	v_mov_b32_e32 v18, 0
	ds_write_b32 v17, v1
	s_waitcnt lgkmcnt(0)
	s_barrier
	s_and_saveexec_b64 s[2:3], s[0:1]
	s_cbranch_execnz .LBB40_3
; %bb.1:
	s_or_b64 exec, exec, s[2:3]
	s_andn2_b64 vcc, exec, s[62:63]
	s_cbranch_vccz .LBB40_174
.LBB40_2:
	v_cmp_eq_u32_e32 vcc, 0, v0
	s_and_b64 s[0:1], vcc, s[60:61]
	s_and_saveexec_b64 s[2:3], s[0:1]
	s_cbranch_execnz .LBB40_190
	s_branch .LBB40_196
.LBB40_3:
	s_load_dwordx2 s[0:1], s[4:5], 0xc8
	v_writelane_b32 v43, s2, 2
	v_writelane_b32 v43, s3, 3
	s_load_dwordx4 s[56:59], s[4:5], 0xa8
	s_load_dwordx8 s[24:31], s[4:5], 0x78
	s_load_dwordx8 s[36:43], s[4:5], 0x48
	s_load_dword s64, s[4:5], 0x40
	s_load_dwordx2 s[74:75], s[4:5], 0x68
	s_load_dword s65, s[4:5], 0x70
	s_load_dwordx2 s[76:77], s[4:5], 0x98
	s_load_dword s52, s[4:5], 0xa0
	s_waitcnt lgkmcnt(0)
	v_writelane_b32 v43, s0, 4
	v_writelane_b32 v43, s1, 5
	s_xor_b64 s[0:1], s[60:61], -1
	v_writelane_b32 v43, s0, 6
	v_writelane_b32 v43, s1, 7
	s_and_b64 s[0:1], s[60:61], s[34:35]
	s_xor_b64 s[0:1], s[0:1], -1
	v_writelane_b32 v43, s0, 8
	s_mov_b64 s[18:19], s[4:5]
	v_writelane_b32 v43, s1, 9
	v_writelane_b32 v43, s18, 10
	s_load_dwordx8 s[44:51], s[18:19], 0x20
	s_addk_i32 s53, 0x400
	v_subrev_u32_e32 v23, s64, v20
	v_cmp_gt_u32_e64 s[4:5], s53, v21
	v_cmp_eq_u32_e64 s[2:3], 31, v20
	v_lshlrev_b32_e32 v24, 2, v19
	v_cmp_gt_u32_e64 s[6:7], 16, v0
	v_cmp_gt_u32_e64 s[8:9], 8, v0
	;; [unrolled: 1-line block ×4, first 2 shown]
	v_cmp_eq_u32_e64 s[14:15], 0, v0
	v_subrev_u32_e32 v25, s65, v20
	v_subrev_u32_e32 v26, s52, v20
	v_cmp_eq_u32_e64 s[16:17], 0, v20
	v_mov_b32_e32 v2, 0
	s_mov_b64 s[80:81], 0
	s_mov_b32 s54, 0xf800000
	v_mov_b32_e32 v27, 0x260
	s_movk_i32 s55, 0x1f8
	v_mov_b32_e32 v18, 0
	v_mov_b32_e32 v22, 0
	v_writelane_b32 v43, s19, 11
	s_branch .LBB40_5
.LBB40_4:                               ;   in Loop: Header=BB40_5 Depth=1
	s_or_b64 exec, exec, s[18:19]
	s_and_b64 s[0:1], exec, s[20:21]
	s_or_b64 s[80:81], s[0:1], s[80:81]
	s_andn2_b64 exec, exec, s[80:81]
	s_cbranch_execz .LBB40_173
.LBB40_5:                               ; =>This Loop Header: Depth=1
                                        ;     Child Loop BB40_9 Depth 2
                                        ;       Child Loop BB40_14 Depth 3
                                        ;         Child Loop BB40_18 Depth 4
                                        ;         Child Loop BB40_53 Depth 4
	;; [unrolled: 1-line block ×5, first 2 shown]
                                        ;     Child Loop BB40_152 Depth 2
                                        ;       Child Loop BB40_155 Depth 3
                                        ;       Child Loop BB40_158 Depth 3
	v_cndmask_b32_e64 v22, v22, 0, s[60:61]
	v_cndmask_b32_e64 v18, v18, 0, s[34:35]
	s_mov_b32 s0, 0
	s_branch .LBB40_9
.LBB40_6:                               ;   in Loop: Header=BB40_9 Depth=2
	s_or_b64 exec, exec, s[86:87]
.LBB40_7:                               ;   in Loop: Header=BB40_9 Depth=2
	s_or_b64 exec, exec, s[84:85]
.LBB40_8:                               ;   in Loop: Header=BB40_9 Depth=2
	s_or_b64 exec, exec, s[82:83]
	s_add_i32 s0, s0, 1
	s_cmp_eq_u32 s0, 32
	s_cbranch_scc1 .LBB40_121
.LBB40_9:                               ;   Parent Loop BB40_5 Depth=1
                                        ; =>  This Loop Header: Depth=2
                                        ;       Child Loop BB40_14 Depth 3
                                        ;         Child Loop BB40_18 Depth 4
                                        ;         Child Loop BB40_53 Depth 4
	;; [unrolled: 1-line block ×5, first 2 shown]
	v_lshl_add_u32 v3, s0, 5, v21
	v_cmp_gt_i32_e32 vcc, s67, v3
	s_and_saveexec_b64 s[82:83], vcc
	s_cbranch_execz .LBB40_8
; %bb.10:                               ;   in Loop: Header=BB40_9 Depth=2
	v_ashrrev_i32_e32 v4, 31, v3
	v_lshlrev_b64 v[5:6], 2, v[3:4]
	s_waitcnt lgkmcnt(0)
	v_mov_b32_e32 v1, s45
	v_add_co_u32_e32 v7, vcc, s44, v5
	v_addc_co_u32_e32 v8, vcc, v1, v6, vcc
	global_load_dword v1, v[7:8], off
	v_mov_b32_e32 v4, s47
	v_add_co_u32_e32 v7, vcc, s46, v5
	v_addc_co_u32_e32 v8, vcc, v4, v6, vcc
	global_load_dword v7, v[7:8], off
	s_waitcnt vmcnt(1)
	v_add_u32_e32 v4, v23, v1
	s_waitcnt vmcnt(0)
	v_subrev_u32_e32 v28, s64, v7
	v_cmp_lt_i32_e32 vcc, v4, v28
	s_and_saveexec_b64 s[84:85], vcc
	s_cbranch_execz .LBB40_7
; %bb.11:                               ;   in Loop: Header=BB40_9 Depth=2
	v_mov_b32_e32 v1, s39
	v_add_co_u32_e32 v7, vcc, s38, v5
	v_addc_co_u32_e32 v8, vcc, v1, v6, vcc
	v_mov_b32_e32 v1, s37
	v_add_co_u32_e32 v5, vcc, s36, v5
	v_addc_co_u32_e32 v6, vcc, v1, v6, vcc
	global_load_dword v1, v[5:6], off
	s_nop 0
	global_load_dword v5, v[7:8], off
	v_mov_b32_e32 v12, s41
	v_mov_b32_e32 v13, s43
	s_mov_b64 s[86:87], 0
	s_waitcnt vmcnt(1)
	v_subrev_u32_e32 v6, s65, v1
	v_ashrrev_i32_e32 v7, 31, v6
	v_lshlrev_b64 v[8:9], 2, v[6:7]
	v_lshlrev_b64 v[10:11], 3, v[6:7]
	v_add_co_u32_e32 v30, vcc, s40, v8
	v_addc_co_u32_e32 v31, vcc, v12, v9, vcc
	s_waitcnt vmcnt(0)
	v_sub_u32_e32 v29, v5, v1
	v_add_co_u32_e32 v32, vcc, s42, v10
	v_cmp_lt_i32_e64 s[18:19], 0, v29
	v_addc_co_u32_e32 v33, vcc, v13, v11, vcc
	s_branch .LBB40_14
.LBB40_12:                              ;   in Loop: Header=BB40_14 Depth=3
	s_or_b64 exec, exec, s[20:21]
.LBB40_13:                              ;   in Loop: Header=BB40_14 Depth=3
	s_or_b64 exec, exec, s[22:23]
	v_add_u32_e32 v4, 32, v4
	v_cmp_ge_i32_e32 vcc, v4, v28
	s_or_b64 s[86:87], vcc, s[86:87]
	s_andn2_b64 exec, exec, s[86:87]
	s_cbranch_execz .LBB40_6
.LBB40_14:                              ;   Parent Loop BB40_5 Depth=1
                                        ;     Parent Loop BB40_9 Depth=2
                                        ; =>    This Loop Header: Depth=3
                                        ;         Child Loop BB40_18 Depth 4
                                        ;         Child Loop BB40_53 Depth 4
                                        ;         Child Loop BB40_69 Depth 4
                                        ;         Child Loop BB40_91 Depth 4
                                        ;         Child Loop BB40_104 Depth 4
	v_ashrrev_i32_e32 v5, 31, v4
	v_lshlrev_b64 v[7:8], 2, v[4:5]
	v_mov_b32_e32 v1, s49
	v_add_co_u32_e32 v7, vcc, s48, v7
	v_addc_co_u32_e32 v8, vcc, v1, v8, vcc
	global_load_dword v1, v[7:8], off
	v_mov_b32_e32 v12, s25
	v_mov_b32_e32 v13, s27
	;; [unrolled: 1-line block ×4, first 2 shown]
	s_waitcnt vmcnt(0)
	v_subrev_u32_e32 v7, s64, v1
	v_ashrrev_i32_e32 v8, 31, v7
	v_lshlrev_b64 v[9:10], 2, v[7:8]
	v_mov_b32_e32 v1, 0
	v_add_co_u32_e32 v11, vcc, s24, v9
	v_addc_co_u32_e32 v12, vcc, v12, v10, vcc
	v_add_co_u32_e32 v9, vcc, s26, v9
	v_addc_co_u32_e32 v10, vcc, v13, v10, vcc
	global_load_dword v12, v[11:12], off
	s_nop 0
	global_load_dword v9, v[9:10], off
	s_waitcnt vmcnt(1)
	v_subrev_u32_e32 v11, s52, v12
	s_waitcnt vmcnt(0)
	v_sub_u32_e32 v36, v9, v12
	v_mov_b32_e32 v12, v1
	s_and_saveexec_b64 s[20:21], s[18:19]
	s_cbranch_execz .LBB40_22
; %bb.15:                               ;   in Loop: Header=BB40_14 Depth=3
	v_ashrrev_i32_e32 v12, 31, v11
	v_lshlrev_b64 v[9:10], 2, v[11:12]
	v_mov_b32_e32 v1, s29
	v_add_co_u32_e32 v9, vcc, s28, v9
	v_lshlrev_b64 v[12:13], 3, v[11:12]
	v_addc_co_u32_e32 v10, vcc, v1, v10, vcc
	v_mov_b32_e32 v1, s31
	v_add_co_u32_e32 v14, vcc, s30, v12
	v_mov_b32_e32 v12, 0
	v_addc_co_u32_e32 v15, vcc, v1, v13, vcc
	v_mov_b32_e32 v34, 0
	s_mov_b64 s[22:23], 0
	v_mov_b32_e32 v1, v12
	v_mov_b32_e32 v35, 0
                                        ; implicit-def: $sgpr68_sgpr69
	s_branch .LBB40_18
.LBB40_16:                              ;   in Loop: Header=BB40_18 Depth=4
	s_or_b64 exec, exec, s[70:71]
	v_cmp_le_i32_e32 vcc, v16, v37
	v_addc_co_u32_e32 v1, vcc, 0, v1, vcc
	v_cmp_ge_i32_e32 vcc, v16, v37
	v_addc_co_u32_e32 v12, vcc, 0, v12, vcc
	v_cmp_ge_i32_e32 vcc, v1, v29
	s_andn2_b64 s[68:69], s[68:69], exec
	s_and_b64 s[70:71], vcc, exec
	s_or_b64 s[68:69], s[68:69], s[70:71]
.LBB40_17:                              ;   in Loop: Header=BB40_18 Depth=4
	s_or_b64 exec, exec, s[88:89]
	s_and_b64 s[70:71], exec, s[68:69]
	s_or_b64 s[22:23], s[70:71], s[22:23]
	s_andn2_b64 exec, exec, s[22:23]
	s_cbranch_execz .LBB40_21
.LBB40_18:                              ;   Parent Loop BB40_5 Depth=1
                                        ;     Parent Loop BB40_9 Depth=2
                                        ;       Parent Loop BB40_14 Depth=3
                                        ; =>      This Inner Loop Header: Depth=4
	v_cmp_lt_i32_e32 vcc, v12, v36
	s_or_b64 s[68:69], s[68:69], exec
	s_and_saveexec_b64 s[88:89], vcc
	s_cbranch_execz .LBB40_17
; %bb.19:                               ;   in Loop: Header=BB40_18 Depth=4
	v_lshlrev_b64 v[37:38], 2, v[1:2]
	v_mov_b32_e32 v13, v2
	v_add_co_u32_e32 v37, vcc, v30, v37
	v_addc_co_u32_e32 v38, vcc, v31, v38, vcc
	global_load_dword v16, v[37:38], off
	v_lshlrev_b64 v[37:38], 2, v[12:13]
	v_add_co_u32_e32 v37, vcc, v9, v37
	v_addc_co_u32_e32 v38, vcc, v10, v38, vcc
	global_load_dword v37, v[37:38], off
	s_waitcnt vmcnt(1)
	v_subrev_u32_e32 v16, s65, v16
	s_waitcnt vmcnt(0)
	v_subrev_u32_e32 v37, s52, v37
	v_cmp_eq_u32_e32 vcc, v16, v37
	s_and_saveexec_b64 s[70:71], vcc
	s_cbranch_execz .LBB40_16
; %bb.20:                               ;   in Loop: Header=BB40_18 Depth=4
	v_lshlrev_b64 v[38:39], 3, v[1:2]
	v_lshlrev_b64 v[40:41], 3, v[12:13]
	v_add_co_u32_e32 v38, vcc, v32, v38
	v_addc_co_u32_e32 v39, vcc, v33, v39, vcc
	v_add_co_u32_e32 v40, vcc, v14, v40
	v_addc_co_u32_e32 v41, vcc, v15, v41, vcc
	global_load_dwordx2 v[38:39], v[38:39], off
	s_nop 0
	global_load_dwordx2 v[40:41], v[40:41], off
	s_waitcnt vmcnt(0)
	v_fmac_f32_e32 v34, v38, v40
	v_fmac_f32_e32 v35, v39, v40
	v_fma_f32 v34, -v39, v41, v34
	v_fmac_f32_e32 v35, v38, v41
	s_branch .LBB40_16
.LBB40_21:                              ;   in Loop: Header=BB40_14 Depth=3
	s_or_b64 exec, exec, s[22:23]
.LBB40_22:                              ;   in Loop: Header=BB40_14 Depth=3
	s_or_b64 exec, exec, s[20:21]
	v_lshlrev_b64 v[9:10], 3, v[4:5]
	v_mov_b32_e32 v5, s51
	v_add_co_u32_e32 v9, vcc, s50, v9
	v_addc_co_u32_e32 v10, vcc, v5, v10, vcc
	global_load_dwordx2 v[9:10], v[9:10], off
	v_cmp_le_i32_e64 s[20:21], v3, v7
	v_cmp_gt_i32_e32 vcc, v3, v7
	s_waitcnt vmcnt(0)
	v_sub_f32_e32 v13, v9, v34
	v_sub_f32_e32 v14, v10, v35
	s_and_saveexec_b64 s[88:89], vcc
	s_cbranch_execz .LBB40_32
; %bb.23:                               ;   in Loop: Header=BB40_14 Depth=3
	v_lshlrev_b64 v[15:16], 3, v[7:8]
	v_mov_b32_e32 v5, s57
	v_add_co_u32_e32 v15, vcc, s56, v15
	v_addc_co_u32_e32 v16, vcc, v5, v16, vcc
	global_load_dwordx2 v[15:16], v[15:16], off
                                        ; implicit-def: $vgpr38
	s_waitcnt vmcnt(0)
	v_cmp_gt_f32_e32 vcc, 0, v15
	v_cndmask_b32_e64 v5, v15, -v15, vcc
	v_cmp_gt_f32_e32 vcc, 0, v16
	v_cndmask_b32_e64 v37, v16, -v16, vcc
	v_cmp_ngt_f32_e32 vcc, v5, v37
	s_and_saveexec_b64 s[22:23], vcc
	s_xor_b64 s[68:69], exec, s[22:23]
	s_cbranch_execz .LBB40_27
; %bb.24:                               ;   in Loop: Header=BB40_14 Depth=3
	v_mov_b32_e32 v38, 0
	v_cmp_neq_f32_e32 vcc, 0, v16
	s_and_saveexec_b64 s[70:71], vcc
	s_cbranch_execz .LBB40_26
; %bb.25:                               ;   in Loop: Header=BB40_14 Depth=3
	v_div_scale_f32 v38, s[22:23], v37, v37, v5
	v_div_scale_f32 v39, vcc, v5, v37, v5
	v_rcp_f32_e32 v40, v38
	v_fma_f32 v41, -v38, v40, 1.0
	v_fmac_f32_e32 v40, v41, v40
	v_mul_f32_e32 v41, v39, v40
	v_fma_f32 v42, -v38, v41, v39
	v_fmac_f32_e32 v41, v42, v40
	v_fma_f32 v38, -v38, v41, v39
	v_div_fmas_f32 v38, v38, v40, v41
	v_div_fixup_f32 v5, v38, v37, v5
	v_fma_f32 v5, v5, v5, 1.0
	v_mul_f32_e32 v38, 0x4f800000, v5
	v_cmp_gt_f32_e32 vcc, s54, v5
	v_cndmask_b32_e32 v5, v5, v38, vcc
	v_sqrt_f32_e32 v38, v5
	v_add_u32_e32 v39, -1, v38
	v_add_u32_e32 v40, 1, v38
	v_fma_f32 v41, -v39, v38, v5
	v_fma_f32 v42, -v40, v38, v5
	v_cmp_ge_f32_e64 s[22:23], 0, v41
	v_cndmask_b32_e64 v38, v38, v39, s[22:23]
	v_cmp_lt_f32_e64 s[22:23], 0, v42
	v_cndmask_b32_e64 v38, v38, v40, s[22:23]
	v_mul_f32_e32 v39, 0x37800000, v38
	v_cndmask_b32_e32 v38, v38, v39, vcc
	v_cmp_class_f32_e32 vcc, v5, v27
	v_cndmask_b32_e32 v5, v38, v5, vcc
	v_mul_f32_e32 v38, v37, v5
.LBB40_26:                              ;   in Loop: Header=BB40_14 Depth=3
	s_or_b64 exec, exec, s[70:71]
                                        ; implicit-def: $vgpr5
                                        ; implicit-def: $vgpr37
.LBB40_27:                              ;   in Loop: Header=BB40_14 Depth=3
	s_andn2_saveexec_b64 s[68:69], s[68:69]
	s_cbranch_execz .LBB40_29
; %bb.28:                               ;   in Loop: Header=BB40_14 Depth=3
	v_div_scale_f32 v38, s[22:23], v5, v5, v37
	v_div_scale_f32 v39, vcc, v37, v5, v37
	v_rcp_f32_e32 v40, v38
	v_fma_f32 v41, -v38, v40, 1.0
	v_fmac_f32_e32 v40, v41, v40
	v_mul_f32_e32 v41, v39, v40
	v_fma_f32 v42, -v38, v41, v39
	v_fmac_f32_e32 v41, v42, v40
	v_fma_f32 v38, -v38, v41, v39
	v_div_fmas_f32 v38, v38, v40, v41
	v_div_fixup_f32 v37, v38, v5, v37
	v_fma_f32 v37, v37, v37, 1.0
	v_mul_f32_e32 v38, 0x4f800000, v37
	v_cmp_gt_f32_e32 vcc, s54, v37
	v_cndmask_b32_e32 v37, v37, v38, vcc
	v_sqrt_f32_e32 v38, v37
	v_add_u32_e32 v39, -1, v38
	v_add_u32_e32 v40, 1, v38
	v_fma_f32 v41, -v39, v38, v37
	v_fma_f32 v42, -v40, v38, v37
	v_cmp_ge_f32_e64 s[22:23], 0, v41
	v_cndmask_b32_e64 v38, v38, v39, s[22:23]
	v_cmp_lt_f32_e64 s[22:23], 0, v42
	v_cndmask_b32_e64 v38, v38, v40, s[22:23]
	v_mul_f32_e32 v39, 0x37800000, v38
	v_cndmask_b32_e32 v38, v38, v39, vcc
	v_cmp_class_f32_e32 vcc, v37, v27
	v_cndmask_b32_e32 v37, v38, v37, vcc
	v_mul_f32_e32 v38, v5, v37
.LBB40_29:                              ;   in Loop: Header=BB40_14 Depth=3
	s_or_b64 exec, exec, s[68:69]
	v_mov_b32_e32 v5, 0
	v_cmp_lt_f32_e32 vcc, 0, v38
	v_mov_b32_e32 v37, 0
	s_and_saveexec_b64 s[22:23], vcc
	s_cbranch_execz .LBB40_31
; %bb.30:                               ;   in Loop: Header=BB40_14 Depth=3
	v_mul_f32_e32 v5, v16, v16
	v_fmac_f32_e32 v5, v15, v15
	v_div_scale_f32 v37, s[68:69], v5, v5, 1.0
	v_div_scale_f32 v38, vcc, 1.0, v5, 1.0
	v_rcp_f32_e32 v39, v37
	v_fma_f32 v40, -v37, v39, 1.0
	v_fmac_f32_e32 v39, v40, v39
	v_mul_f32_e32 v40, v38, v39
	v_fma_f32 v41, -v37, v40, v38
	v_fmac_f32_e32 v40, v41, v39
	v_fma_f32 v37, -v37, v40, v38
	v_div_fmas_f32 v37, v37, v39, v40
	v_mul_f32_e32 v38, v14, v16
	v_mul_f32_e64 v16, v16, -v13
	v_fmac_f32_e32 v38, v13, v15
	v_fmac_f32_e32 v16, v14, v15
	v_div_fixup_f32 v5, v37, v5, 1.0
	v_mul_f32_e32 v37, v38, v5
	v_mul_f32_e32 v5, v16, v5
.LBB40_31:                              ;   in Loop: Header=BB40_14 Depth=3
	s_or_b64 exec, exec, s[22:23]
	v_mov_b32_e32 v14, v5
	v_mov_b32_e32 v13, v37
.LBB40_32:                              ;   in Loop: Header=BB40_14 Depth=3
	s_or_b64 exec, exec, s[88:89]
	v_cmp_gt_f32_e32 vcc, 0, v13
	v_cndmask_b32_e64 v5, v13, -v13, vcc
	v_cmp_gt_f32_e32 vcc, 0, v14
	v_cndmask_b32_e64 v15, v14, -v14, vcc
	v_cmp_ngt_f32_e32 vcc, v5, v15
                                        ; implicit-def: $vgpr16
	s_and_saveexec_b64 s[22:23], vcc
	s_xor_b64 s[68:69], exec, s[22:23]
	s_cbranch_execnz .LBB40_36
; %bb.33:                               ;   in Loop: Header=BB40_14 Depth=3
	s_andn2_saveexec_b64 s[68:69], s[68:69]
	s_cbranch_execnz .LBB40_39
.LBB40_34:                              ;   in Loop: Header=BB40_14 Depth=3
	s_or_b64 exec, exec, s[68:69]
	v_cmp_class_f32_e64 s[22:23], v16, s55
	s_and_saveexec_b64 s[88:89], s[22:23]
	s_cbranch_execnz .LBB40_40
.LBB40_35:                              ;   in Loop: Header=BB40_14 Depth=3
	s_or_b64 exec, exec, s[88:89]
	s_and_b64 s[20:21], s[34:35], s[22:23]
	s_and_saveexec_b64 s[22:23], s[20:21]
	s_cbranch_execz .LBB40_13
	s_branch .LBB40_81
.LBB40_36:                              ;   in Loop: Header=BB40_14 Depth=3
	v_mov_b32_e32 v16, 0
	v_cmp_neq_f32_e32 vcc, 0, v14
	s_and_saveexec_b64 s[70:71], vcc
	s_cbranch_execz .LBB40_38
; %bb.37:                               ;   in Loop: Header=BB40_14 Depth=3
	v_div_scale_f32 v16, s[22:23], v15, v15, v5
	v_div_scale_f32 v37, vcc, v5, v15, v5
	v_rcp_f32_e32 v38, v16
	v_fma_f32 v39, -v16, v38, 1.0
	v_fmac_f32_e32 v38, v39, v38
	v_mul_f32_e32 v39, v37, v38
	v_fma_f32 v40, -v16, v39, v37
	v_fmac_f32_e32 v39, v40, v38
	v_fma_f32 v16, -v16, v39, v37
	v_div_fmas_f32 v16, v16, v38, v39
	v_div_fixup_f32 v5, v16, v15, v5
	v_fma_f32 v5, v5, v5, 1.0
	v_mul_f32_e32 v16, 0x4f800000, v5
	v_cmp_gt_f32_e32 vcc, s54, v5
	v_cndmask_b32_e32 v5, v5, v16, vcc
	v_sqrt_f32_e32 v16, v5
	v_add_u32_e32 v37, -1, v16
	v_add_u32_e32 v38, 1, v16
	v_fma_f32 v39, -v37, v16, v5
	v_fma_f32 v40, -v38, v16, v5
	v_cmp_ge_f32_e64 s[22:23], 0, v39
	v_cndmask_b32_e64 v16, v16, v37, s[22:23]
	v_cmp_lt_f32_e64 s[22:23], 0, v40
	v_cndmask_b32_e64 v16, v16, v38, s[22:23]
	v_mul_f32_e32 v37, 0x37800000, v16
	v_cndmask_b32_e32 v16, v16, v37, vcc
	v_cmp_class_f32_e32 vcc, v5, v27
	v_cndmask_b32_e32 v5, v16, v5, vcc
	v_mul_f32_e32 v16, v15, v5
.LBB40_38:                              ;   in Loop: Header=BB40_14 Depth=3
	s_or_b64 exec, exec, s[70:71]
                                        ; implicit-def: $vgpr5
                                        ; implicit-def: $vgpr15
	s_andn2_saveexec_b64 s[68:69], s[68:69]
	s_cbranch_execz .LBB40_34
.LBB40_39:                              ;   in Loop: Header=BB40_14 Depth=3
	v_div_scale_f32 v16, s[22:23], v5, v5, v15
	v_div_scale_f32 v37, vcc, v15, v5, v15
	v_rcp_f32_e32 v38, v16
	v_fma_f32 v39, -v16, v38, 1.0
	v_fmac_f32_e32 v38, v39, v38
	v_mul_f32_e32 v39, v37, v38
	v_fma_f32 v40, -v16, v39, v37
	v_fmac_f32_e32 v39, v40, v38
	v_fma_f32 v16, -v16, v39, v37
	v_div_fmas_f32 v16, v16, v38, v39
	v_div_fixup_f32 v15, v16, v5, v15
	v_fma_f32 v15, v15, v15, 1.0
	v_mul_f32_e32 v16, 0x4f800000, v15
	v_cmp_gt_f32_e32 vcc, s54, v15
	v_cndmask_b32_e32 v15, v15, v16, vcc
	v_sqrt_f32_e32 v16, v15
	v_add_u32_e32 v37, -1, v16
	v_add_u32_e32 v38, 1, v16
	v_fma_f32 v39, -v37, v16, v15
	v_fma_f32 v40, -v38, v16, v15
	v_cmp_ge_f32_e64 s[22:23], 0, v39
	v_cndmask_b32_e64 v16, v16, v37, s[22:23]
	v_cmp_lt_f32_e64 s[22:23], 0, v40
	v_cndmask_b32_e64 v16, v16, v38, s[22:23]
	v_mul_f32_e32 v37, 0x37800000, v16
	v_cndmask_b32_e32 v16, v16, v37, vcc
	v_cmp_class_f32_e32 vcc, v15, v27
	v_cndmask_b32_e32 v15, v16, v15, vcc
	v_mul_f32_e32 v16, v5, v15
	s_or_b64 exec, exec, s[68:69]
	v_cmp_class_f32_e64 s[22:23], v16, s55
	s_and_saveexec_b64 s[88:89], s[22:23]
	s_cbranch_execz .LBB40_35
.LBB40_40:                              ;   in Loop: Header=BB40_14 Depth=3
	s_and_saveexec_b64 s[68:69], s[20:21]
	s_xor_b64 s[90:91], exec, s[68:69]
	s_cbranch_execz .LBB40_65
; %bb.41:                               ;   in Loop: Header=BB40_14 Depth=3
	v_cmp_ge_i32_e32 vcc, v3, v7
	s_and_saveexec_b64 s[20:21], vcc
	s_xor_b64 s[92:93], exec, s[20:21]
	s_cbranch_execz .LBB40_49
; %bb.42:                               ;   in Loop: Header=BB40_14 Depth=3
	v_lshlrev_b64 v[15:16], 3, v[7:8]
	v_mov_b32_e32 v5, s59
	v_add_co_u32_e32 v37, vcc, s58, v15
	v_addc_co_u32_e32 v38, vcc, v5, v16, vcc
	s_andn2_b64 vcc, exec, s[60:61]
	global_store_dwordx2 v[37:38], v[13:14], off
	s_cbranch_vccnz .LBB40_48
; %bb.43:                               ;   in Loop: Header=BB40_14 Depth=3
	v_mov_b32_e32 v5, s57
	v_add_co_u32_e32 v15, vcc, s56, v15
	v_addc_co_u32_e32 v16, vcc, v5, v16, vcc
	global_load_dwordx2 v[15:16], v[15:16], off
	s_waitcnt vmcnt(0)
	v_sub_f32_e32 v5, v15, v13
	v_sub_f32_e32 v15, v16, v14
	v_cmp_gt_f32_e32 vcc, 0, v5
	v_cndmask_b32_e64 v5, v5, -v5, vcc
	v_cmp_gt_f32_e32 vcc, 0, v15
	v_cndmask_b32_e64 v13, v15, -v15, vcc
	v_cmp_ngt_f32_e32 vcc, v5, v13
                                        ; implicit-def: $vgpr14
	s_and_saveexec_b64 s[20:21], vcc
	s_xor_b64 s[68:69], exec, s[20:21]
	s_cbranch_execnz .LBB40_109
; %bb.44:                               ;   in Loop: Header=BB40_14 Depth=3
	s_andn2_saveexec_b64 s[68:69], s[68:69]
	s_cbranch_execnz .LBB40_112
.LBB40_45:                              ;   in Loop: Header=BB40_14 Depth=3
	s_or_b64 exec, exec, s[68:69]
	v_cmp_class_f32_e64 s[68:69], v14, s55
	s_and_saveexec_b64 s[20:21], s[68:69]
.LBB40_46:                              ;   in Loop: Header=BB40_14 Depth=3
	v_cmp_lt_f32_e32 vcc, v22, v14
	v_cndmask_b32_e32 v22, v22, v14, vcc
.LBB40_47:                              ;   in Loop: Header=BB40_14 Depth=3
	s_or_b64 exec, exec, s[20:21]
.LBB40_48:                              ;   in Loop: Header=BB40_14 Depth=3
                                        ; implicit-def: $vgpr13
.LBB40_49:                              ;   in Loop: Header=BB40_14 Depth=3
	s_andn2_saveexec_b64 s[92:93], s[92:93]
	s_cbranch_execz .LBB40_64
; %bb.50:                               ;   in Loop: Header=BB40_14 Depth=3
	v_cmp_lt_i32_e32 vcc, v12, v36
	s_and_saveexec_b64 s[94:95], vcc
	s_cbranch_execz .LBB40_63
; %bb.51:                               ;   in Loop: Header=BB40_14 Depth=3
	s_mov_b64 s[20:21], 0
	v_mov_b32_e32 v5, v12
                                        ; implicit-def: $sgpr68_sgpr69
                                        ; implicit-def: $sgpr70_sgpr71
                                        ; implicit-def: $sgpr72_sgpr73
	s_branch .LBB40_53
.LBB40_52:                              ;   in Loop: Header=BB40_53 Depth=4
	s_or_b64 exec, exec, s[78:79]
	s_and_b64 s[78:79], exec, s[70:71]
	s_or_b64 s[20:21], s[78:79], s[20:21]
	s_andn2_b64 s[68:69], s[68:69], exec
	s_and_b64 s[78:79], s[72:73], exec
	s_or_b64 s[68:69], s[68:69], s[78:79]
	s_andn2_b64 exec, exec, s[20:21]
	s_cbranch_execz .LBB40_55
.LBB40_53:                              ;   Parent Loop BB40_5 Depth=1
                                        ;     Parent Loop BB40_9 Depth=2
                                        ;       Parent Loop BB40_14 Depth=3
                                        ; =>      This Inner Loop Header: Depth=4
	v_add_u32_e32 v15, v11, v5
	v_ashrrev_i32_e32 v16, 31, v15
	v_lshlrev_b64 v[37:38], 2, v[15:16]
	v_mov_b32_e32 v39, s29
	v_add_co_u32_e32 v37, vcc, s28, v37
	v_addc_co_u32_e32 v38, vcc, v39, v38, vcc
	global_load_dword v37, v[37:38], off
	s_or_b64 s[72:73], s[72:73], exec
	s_or_b64 s[70:71], s[70:71], exec
	s_waitcnt vmcnt(0)
	v_subrev_u32_e32 v37, s52, v37
	v_cmp_ne_u32_e32 vcc, v37, v3
	s_and_saveexec_b64 s[78:79], vcc
	s_cbranch_execz .LBB40_52
; %bb.54:                               ;   in Loop: Header=BB40_53 Depth=4
	v_add_u32_e32 v5, 1, v5
	v_cmp_ge_i32_e32 vcc, v5, v36
	s_andn2_b64 s[70:71], s[70:71], exec
	s_and_b64 vcc, vcc, exec
	s_andn2_b64 s[72:73], s[72:73], exec
	s_or_b64 s[70:71], s[70:71], vcc
	s_branch .LBB40_52
.LBB40_55:                              ;   in Loop: Header=BB40_14 Depth=3
	s_or_b64 exec, exec, s[20:21]
	s_and_saveexec_b64 s[20:21], s[68:69]
	s_xor_b64 s[68:69], exec, s[20:21]
	s_cbranch_execz .LBB40_62
; %bb.56:                               ;   in Loop: Header=BB40_14 Depth=3
	v_lshlrev_b64 v[15:16], 3, v[15:16]
	v_mov_b32_e32 v5, s77
	v_add_co_u32_e32 v37, vcc, s76, v15
	v_addc_co_u32_e32 v38, vcc, v5, v16, vcc
	s_andn2_b64 vcc, exec, s[60:61]
	global_store_dwordx2 v[37:38], v[13:14], off
	s_cbranch_vccnz .LBB40_62
; %bb.57:                               ;   in Loop: Header=BB40_14 Depth=3
	v_mov_b32_e32 v5, s31
	v_add_co_u32_e32 v15, vcc, s30, v15
	v_addc_co_u32_e32 v16, vcc, v5, v16, vcc
	global_load_dwordx2 v[15:16], v[15:16], off
	s_waitcnt vmcnt(0)
	v_sub_f32_e32 v5, v15, v13
	v_sub_f32_e32 v15, v16, v14
	v_cmp_gt_f32_e32 vcc, 0, v5
	v_cndmask_b32_e64 v5, v5, -v5, vcc
	v_cmp_gt_f32_e32 vcc, 0, v15
	v_cndmask_b32_e64 v13, v15, -v15, vcc
	v_cmp_ngt_f32_e32 vcc, v5, v13
                                        ; implicit-def: $vgpr14
	s_and_saveexec_b64 s[20:21], vcc
	s_xor_b64 s[70:71], exec, s[20:21]
	s_cbranch_execnz .LBB40_117
; %bb.58:                               ;   in Loop: Header=BB40_14 Depth=3
	s_andn2_saveexec_b64 s[70:71], s[70:71]
	s_cbranch_execnz .LBB40_120
.LBB40_59:                              ;   in Loop: Header=BB40_14 Depth=3
	s_or_b64 exec, exec, s[70:71]
	v_cmp_class_f32_e64 s[70:71], v14, s55
	s_and_saveexec_b64 s[20:21], s[70:71]
.LBB40_60:                              ;   in Loop: Header=BB40_14 Depth=3
	v_cmp_lt_f32_e32 vcc, v22, v14
	v_cndmask_b32_e32 v22, v22, v14, vcc
.LBB40_61:                              ;   in Loop: Header=BB40_14 Depth=3
	s_or_b64 exec, exec, s[20:21]
.LBB40_62:                              ;   in Loop: Header=BB40_14 Depth=3
	s_or_b64 exec, exec, s[68:69]
.LBB40_63:                              ;   in Loop: Header=BB40_14 Depth=3
	s_or_b64 exec, exec, s[94:95]
.LBB40_64:                              ;   in Loop: Header=BB40_14 Depth=3
	s_or_b64 exec, exec, s[92:93]
                                        ; implicit-def: $vgpr13
.LBB40_65:                              ;   in Loop: Header=BB40_14 Depth=3
	s_andn2_saveexec_b64 s[90:91], s[90:91]
	s_cbranch_execz .LBB40_80
; %bb.66:                               ;   in Loop: Header=BB40_14 Depth=3
	v_cmp_lt_i32_e32 vcc, v1, v29
	s_and_saveexec_b64 s[92:93], vcc
	s_cbranch_execz .LBB40_79
; %bb.67:                               ;   in Loop: Header=BB40_14 Depth=3
	s_mov_b64 s[20:21], 0
	v_mov_b32_e32 v5, v1
                                        ; implicit-def: $sgpr68_sgpr69
                                        ; implicit-def: $sgpr70_sgpr71
                                        ; implicit-def: $sgpr72_sgpr73
	s_branch .LBB40_69
.LBB40_68:                              ;   in Loop: Header=BB40_69 Depth=4
	s_or_b64 exec, exec, s[94:95]
	s_and_b64 s[78:79], exec, s[70:71]
	s_or_b64 s[20:21], s[78:79], s[20:21]
	s_andn2_b64 s[68:69], s[68:69], exec
	s_and_b64 s[78:79], s[72:73], exec
	s_or_b64 s[68:69], s[68:69], s[78:79]
	s_andn2_b64 exec, exec, s[20:21]
	s_cbranch_execz .LBB40_71
.LBB40_69:                              ;   Parent Loop BB40_5 Depth=1
                                        ;     Parent Loop BB40_9 Depth=2
                                        ;       Parent Loop BB40_14 Depth=3
                                        ; =>      This Inner Loop Header: Depth=4
	v_add_u32_e32 v15, v6, v5
	v_ashrrev_i32_e32 v16, 31, v15
	v_lshlrev_b64 v[37:38], 2, v[15:16]
	v_mov_b32_e32 v39, s41
	v_add_co_u32_e32 v37, vcc, s40, v37
	v_addc_co_u32_e32 v38, vcc, v39, v38, vcc
	global_load_dword v37, v[37:38], off
	s_or_b64 s[72:73], s[72:73], exec
	s_or_b64 s[70:71], s[70:71], exec
	s_waitcnt vmcnt(0)
	v_subrev_u32_e32 v37, s65, v37
	v_cmp_ne_u32_e32 vcc, v37, v7
	s_and_saveexec_b64 s[94:95], vcc
	s_cbranch_execz .LBB40_68
; %bb.70:                               ;   in Loop: Header=BB40_69 Depth=4
	v_add_u32_e32 v5, 1, v5
	v_cmp_ge_i32_e32 vcc, v5, v29
	s_andn2_b64 s[70:71], s[70:71], exec
	s_and_b64 s[78:79], vcc, exec
	s_andn2_b64 s[72:73], s[72:73], exec
	s_or_b64 s[70:71], s[70:71], s[78:79]
	s_branch .LBB40_68
.LBB40_71:                              ;   in Loop: Header=BB40_14 Depth=3
	s_or_b64 exec, exec, s[20:21]
	s_and_saveexec_b64 s[20:21], s[68:69]
	s_xor_b64 s[68:69], exec, s[20:21]
	s_cbranch_execz .LBB40_78
; %bb.72:                               ;   in Loop: Header=BB40_14 Depth=3
	v_lshlrev_b64 v[15:16], 3, v[15:16]
	v_mov_b32_e32 v5, s75
	v_add_co_u32_e32 v37, vcc, s74, v15
	v_addc_co_u32_e32 v38, vcc, v5, v16, vcc
	s_andn2_b64 vcc, exec, s[60:61]
	global_store_dwordx2 v[37:38], v[13:14], off
	s_cbranch_vccnz .LBB40_78
; %bb.73:                               ;   in Loop: Header=BB40_14 Depth=3
	v_mov_b32_e32 v5, s43
	v_add_co_u32_e32 v15, vcc, s42, v15
	v_addc_co_u32_e32 v16, vcc, v5, v16, vcc
	global_load_dwordx2 v[15:16], v[15:16], off
	s_waitcnt vmcnt(0)
	v_sub_f32_e32 v5, v15, v13
	v_sub_f32_e32 v15, v16, v14
	v_cmp_gt_f32_e32 vcc, 0, v5
	v_cndmask_b32_e64 v5, v5, -v5, vcc
	v_cmp_gt_f32_e32 vcc, 0, v15
	v_cndmask_b32_e64 v13, v15, -v15, vcc
	v_cmp_ngt_f32_e32 vcc, v5, v13
                                        ; implicit-def: $vgpr14
	s_and_saveexec_b64 s[20:21], vcc
	s_xor_b64 s[70:71], exec, s[20:21]
	s_cbranch_execnz .LBB40_113
; %bb.74:                               ;   in Loop: Header=BB40_14 Depth=3
	s_andn2_saveexec_b64 s[70:71], s[70:71]
	s_cbranch_execnz .LBB40_116
.LBB40_75:                              ;   in Loop: Header=BB40_14 Depth=3
	s_or_b64 exec, exec, s[70:71]
	v_cmp_class_f32_e64 s[70:71], v14, s55
	s_and_saveexec_b64 s[20:21], s[70:71]
.LBB40_76:                              ;   in Loop: Header=BB40_14 Depth=3
	v_cmp_lt_f32_e32 vcc, v22, v14
	v_cndmask_b32_e32 v22, v22, v14, vcc
.LBB40_77:                              ;   in Loop: Header=BB40_14 Depth=3
	s_or_b64 exec, exec, s[20:21]
.LBB40_78:                              ;   in Loop: Header=BB40_14 Depth=3
	s_or_b64 exec, exec, s[68:69]
.LBB40_79:                              ;   in Loop: Header=BB40_14 Depth=3
	s_or_b64 exec, exec, s[92:93]
.LBB40_80:                              ;   in Loop: Header=BB40_14 Depth=3
	s_or_b64 exec, exec, s[90:91]
	s_or_b64 exec, exec, s[88:89]
	s_and_b64 s[20:21], s[34:35], s[22:23]
	s_and_saveexec_b64 s[22:23], s[20:21]
	s_cbranch_execz .LBB40_13
.LBB40_81:                              ;   in Loop: Header=BB40_14 Depth=3
	v_cmp_ge_i32_e32 vcc, v12, v36
	s_and_saveexec_b64 s[20:21], vcc
	s_xor_b64 s[20:21], exec, s[20:21]
	s_cbranch_execnz .LBB40_88
; %bb.82:                               ;   in Loop: Header=BB40_14 Depth=3
	s_andn2_saveexec_b64 s[20:21], s[20:21]
	s_cbranch_execnz .LBB40_102
.LBB40_83:                              ;   in Loop: Header=BB40_14 Depth=3
	s_or_b64 exec, exec, s[20:21]
	v_cmp_eq_u32_e32 vcc, v3, v7
	s_and_saveexec_b64 s[20:21], vcc
	s_cbranch_execz .LBB40_85
.LBB40_84:                              ;   in Loop: Header=BB40_14 Depth=3
	v_lshlrev_b64 v[7:8], 3, v[7:8]
	v_mov_b32_e32 v1, s57
	v_add_co_u32_e32 v7, vcc, s56, v7
	v_addc_co_u32_e32 v8, vcc, v1, v8, vcc
	global_load_dwordx2 v[7:8], v[7:8], off
	s_waitcnt vmcnt(0)
	v_add_f32_e32 v34, v34, v7
	v_add_f32_e32 v35, v35, v8
.LBB40_85:                              ;   in Loop: Header=BB40_14 Depth=3
	s_or_b64 exec, exec, s[20:21]
	v_sub_f32_e32 v1, v9, v34
	v_sub_f32_e32 v8, v10, v35
	v_cmp_gt_f32_e32 vcc, 0, v1
	v_cndmask_b32_e64 v1, v1, -v1, vcc
	v_cmp_gt_f32_e32 vcc, 0, v8
	v_cndmask_b32_e64 v5, v8, -v8, vcc
	v_cmp_ngt_f32_e32 vcc, v1, v5
                                        ; implicit-def: $vgpr7
	s_and_saveexec_b64 s[20:21], vcc
	s_xor_b64 s[68:69], exec, s[20:21]
	s_cbranch_execnz .LBB40_93
; %bb.86:                               ;   in Loop: Header=BB40_14 Depth=3
	s_andn2_saveexec_b64 s[68:69], s[68:69]
	s_cbranch_execnz .LBB40_96
.LBB40_87:                              ;   in Loop: Header=BB40_14 Depth=3
	s_or_b64 exec, exec, s[68:69]
	v_cmp_class_f32_e64 s[68:69], v7, s55
	s_and_saveexec_b64 s[20:21], s[68:69]
	s_cbranch_execz .LBB40_12
	s_branch .LBB40_97
.LBB40_88:                              ;   in Loop: Header=BB40_14 Depth=3
	v_cmp_lt_i32_e32 vcc, v1, v29
	s_and_saveexec_b64 s[68:69], vcc
	s_cbranch_execz .LBB40_101
; %bb.89:                               ;   in Loop: Header=BB40_14 Depth=3
	s_mov_b64 s[90:91], 0
                                        ; implicit-def: $sgpr88_sgpr89
                                        ; implicit-def: $sgpr70_sgpr71
                                        ; implicit-def: $sgpr72_sgpr73
	s_branch .LBB40_91
.LBB40_90:                              ;   in Loop: Header=BB40_91 Depth=4
	s_or_b64 exec, exec, s[78:79]
	s_and_b64 s[78:79], exec, s[70:71]
	s_or_b64 s[90:91], s[78:79], s[90:91]
	s_andn2_b64 s[78:79], s[88:89], exec
	s_and_b64 s[88:89], s[72:73], exec
	s_or_b64 s[88:89], s[78:79], s[88:89]
	s_andn2_b64 exec, exec, s[90:91]
	s_cbranch_execz .LBB40_98
.LBB40_91:                              ;   Parent Loop BB40_5 Depth=1
                                        ;     Parent Loop BB40_9 Depth=2
                                        ;       Parent Loop BB40_14 Depth=3
                                        ; =>      This Inner Loop Header: Depth=4
	v_add_u32_e32 v11, v6, v1
	v_ashrrev_i32_e32 v12, 31, v11
	v_lshlrev_b64 v[13:14], 2, v[11:12]
	v_mov_b32_e32 v5, s41
	v_add_co_u32_e32 v13, vcc, s40, v13
	v_addc_co_u32_e32 v14, vcc, v5, v14, vcc
	global_load_dword v5, v[13:14], off
	s_or_b64 s[72:73], s[72:73], exec
	s_or_b64 s[70:71], s[70:71], exec
	s_waitcnt vmcnt(0)
	v_subrev_u32_e32 v5, s65, v5
	v_cmp_ne_u32_e32 vcc, v5, v7
	s_and_saveexec_b64 s[78:79], vcc
	s_cbranch_execz .LBB40_90
; %bb.92:                               ;   in Loop: Header=BB40_91 Depth=4
	v_add_u32_e32 v1, 1, v1
	v_cmp_ge_i32_e32 vcc, v1, v29
	s_andn2_b64 s[70:71], s[70:71], exec
	s_and_b64 s[92:93], vcc, exec
	s_andn2_b64 s[72:73], s[72:73], exec
	s_or_b64 s[70:71], s[70:71], s[92:93]
	s_branch .LBB40_90
.LBB40_93:                              ;   in Loop: Header=BB40_14 Depth=3
	v_mov_b32_e32 v7, 0
	v_cmp_neq_f32_e32 vcc, 0, v8
	s_and_saveexec_b64 s[70:71], vcc
	s_cbranch_execz .LBB40_95
; %bb.94:                               ;   in Loop: Header=BB40_14 Depth=3
	v_div_scale_f32 v7, s[20:21], v5, v5, v1
	v_div_scale_f32 v8, vcc, v1, v5, v1
	v_rcp_f32_e32 v9, v7
	v_fma_f32 v10, -v7, v9, 1.0
	v_fmac_f32_e32 v9, v10, v9
	v_mul_f32_e32 v10, v8, v9
	v_fma_f32 v11, -v7, v10, v8
	v_fmac_f32_e32 v10, v11, v9
	v_fma_f32 v7, -v7, v10, v8
	v_div_fmas_f32 v7, v7, v9, v10
	v_div_fixup_f32 v1, v7, v5, v1
	v_fma_f32 v1, v1, v1, 1.0
	v_mul_f32_e32 v7, 0x4f800000, v1
	v_cmp_gt_f32_e32 vcc, s54, v1
	v_cndmask_b32_e32 v1, v1, v7, vcc
	v_sqrt_f32_e32 v7, v1
	v_add_u32_e32 v8, -1, v7
	v_add_u32_e32 v9, 1, v7
	v_fma_f32 v10, -v8, v7, v1
	v_fma_f32 v11, -v9, v7, v1
	v_cmp_ge_f32_e64 s[20:21], 0, v10
	v_cndmask_b32_e64 v7, v7, v8, s[20:21]
	v_cmp_lt_f32_e64 s[20:21], 0, v11
	v_cndmask_b32_e64 v7, v7, v9, s[20:21]
	v_mul_f32_e32 v8, 0x37800000, v7
	v_cndmask_b32_e32 v7, v7, v8, vcc
	v_cmp_class_f32_e32 vcc, v1, v27
	v_cndmask_b32_e32 v1, v7, v1, vcc
	v_mul_f32_e32 v7, v5, v1
.LBB40_95:                              ;   in Loop: Header=BB40_14 Depth=3
	s_or_b64 exec, exec, s[70:71]
                                        ; implicit-def: $vgpr1
                                        ; implicit-def: $vgpr5
	s_andn2_saveexec_b64 s[68:69], s[68:69]
	s_cbranch_execz .LBB40_87
.LBB40_96:                              ;   in Loop: Header=BB40_14 Depth=3
	v_div_scale_f32 v7, s[20:21], v1, v1, v5
	v_div_scale_f32 v8, vcc, v5, v1, v5
	v_rcp_f32_e32 v9, v7
	v_fma_f32 v10, -v7, v9, 1.0
	v_fmac_f32_e32 v9, v10, v9
	v_mul_f32_e32 v10, v8, v9
	v_fma_f32 v11, -v7, v10, v8
	v_fmac_f32_e32 v10, v11, v9
	v_fma_f32 v7, -v7, v10, v8
	v_div_fmas_f32 v7, v7, v9, v10
	v_div_fixup_f32 v5, v7, v1, v5
	v_fma_f32 v5, v5, v5, 1.0
	v_mul_f32_e32 v7, 0x4f800000, v5
	v_cmp_gt_f32_e32 vcc, s54, v5
	v_cndmask_b32_e32 v5, v5, v7, vcc
	v_sqrt_f32_e32 v7, v5
	v_add_u32_e32 v8, -1, v7
	v_add_u32_e32 v9, 1, v7
	v_fma_f32 v10, -v8, v7, v5
	v_fma_f32 v11, -v9, v7, v5
	v_cmp_ge_f32_e64 s[20:21], 0, v10
	v_cndmask_b32_e64 v7, v7, v8, s[20:21]
	v_cmp_lt_f32_e64 s[20:21], 0, v11
	v_cndmask_b32_e64 v7, v7, v9, s[20:21]
	v_mul_f32_e32 v8, 0x37800000, v7
	v_cndmask_b32_e32 v7, v7, v8, vcc
	v_cmp_class_f32_e32 vcc, v5, v27
	v_cndmask_b32_e32 v5, v7, v5, vcc
	v_mul_f32_e32 v7, v1, v5
	s_or_b64 exec, exec, s[68:69]
	v_cmp_class_f32_e64 s[68:69], v7, s55
	s_and_saveexec_b64 s[20:21], s[68:69]
	s_cbranch_execz .LBB40_12
.LBB40_97:                              ;   in Loop: Header=BB40_14 Depth=3
	v_cmp_lt_f32_e32 vcc, v18, v7
	v_cndmask_b32_e32 v18, v18, v7, vcc
	s_branch .LBB40_12
.LBB40_98:                              ;   in Loop: Header=BB40_14 Depth=3
	s_or_b64 exec, exec, s[90:91]
	s_and_saveexec_b64 s[70:71], s[88:89]
	s_xor_b64 s[70:71], exec, s[70:71]
	s_cbranch_execz .LBB40_100
; %bb.99:                               ;   in Loop: Header=BB40_14 Depth=3
	v_lshlrev_b64 v[11:12], 3, v[11:12]
	v_mov_b32_e32 v1, s43
	v_add_co_u32_e32 v11, vcc, s42, v11
	v_lshlrev_b64 v[13:14], 3, v[7:8]
	v_addc_co_u32_e32 v12, vcc, v1, v12, vcc
	v_mov_b32_e32 v1, s57
	v_add_co_u32_e32 v13, vcc, s56, v13
	v_addc_co_u32_e32 v14, vcc, v1, v14, vcc
	global_load_dwordx2 v[11:12], v[11:12], off
	s_nop 0
	global_load_dwordx2 v[13:14], v[13:14], off
	s_waitcnt vmcnt(0)
	v_mul_f32_e64 v1, v14, -v12
	v_mul_f32_e32 v5, v14, v11
	v_fmac_f32_e32 v1, v11, v13
	v_fmac_f32_e32 v5, v12, v13
	v_add_f32_e32 v34, v34, v1
	v_add_f32_e32 v35, v35, v5
.LBB40_100:                             ;   in Loop: Header=BB40_14 Depth=3
	s_or_b64 exec, exec, s[70:71]
.LBB40_101:                             ;   in Loop: Header=BB40_14 Depth=3
	s_or_b64 exec, exec, s[68:69]
                                        ; implicit-def: $vgpr12
                                        ; implicit-def: $vgpr11
                                        ; implicit-def: $vgpr36
	s_andn2_saveexec_b64 s[20:21], s[20:21]
	s_cbranch_execz .LBB40_83
.LBB40_102:                             ;   in Loop: Header=BB40_14 Depth=3
	s_mov_b64 s[88:89], 0
                                        ; implicit-def: $sgpr68_sgpr69
                                        ; implicit-def: $sgpr70_sgpr71
                                        ; implicit-def: $sgpr72_sgpr73
	s_branch .LBB40_104
.LBB40_103:                             ;   in Loop: Header=BB40_104 Depth=4
	s_or_b64 exec, exec, s[78:79]
	s_and_b64 s[78:79], exec, s[70:71]
	s_or_b64 s[88:89], s[78:79], s[88:89]
	s_andn2_b64 s[68:69], s[68:69], exec
	s_and_b64 s[78:79], s[72:73], exec
	s_or_b64 s[68:69], s[68:69], s[78:79]
	s_andn2_b64 exec, exec, s[88:89]
	s_cbranch_execz .LBB40_106
.LBB40_104:                             ;   Parent Loop BB40_5 Depth=1
                                        ;     Parent Loop BB40_9 Depth=2
                                        ;       Parent Loop BB40_14 Depth=3
                                        ; =>      This Inner Loop Header: Depth=4
	v_add_u32_e32 v13, v11, v12
	v_ashrrev_i32_e32 v14, 31, v13
	v_lshlrev_b64 v[15:16], 2, v[13:14]
	v_mov_b32_e32 v1, s29
	v_add_co_u32_e32 v15, vcc, s28, v15
	v_addc_co_u32_e32 v16, vcc, v1, v16, vcc
	global_load_dword v1, v[15:16], off
	s_or_b64 s[72:73], s[72:73], exec
	s_or_b64 s[70:71], s[70:71], exec
	s_waitcnt vmcnt(0)
	v_subrev_u32_e32 v1, s52, v1
	v_cmp_ne_u32_e32 vcc, v1, v3
	s_and_saveexec_b64 s[78:79], vcc
	s_cbranch_execz .LBB40_103
; %bb.105:                              ;   in Loop: Header=BB40_104 Depth=4
	v_add_u32_e32 v12, 1, v12
	v_cmp_ge_i32_e32 vcc, v12, v36
	s_andn2_b64 s[70:71], s[70:71], exec
	s_and_b64 s[90:91], vcc, exec
	s_andn2_b64 s[72:73], s[72:73], exec
	s_or_b64 s[70:71], s[70:71], s[90:91]
	s_branch .LBB40_103
.LBB40_106:                             ;   in Loop: Header=BB40_14 Depth=3
	s_or_b64 exec, exec, s[88:89]
	s_and_saveexec_b64 s[70:71], s[68:69]
	s_xor_b64 s[68:69], exec, s[70:71]
	s_cbranch_execz .LBB40_108
; %bb.107:                              ;   in Loop: Header=BB40_14 Depth=3
	v_lshlrev_b64 v[11:12], 3, v[13:14]
	v_mov_b32_e32 v1, s31
	v_add_co_u32_e32 v11, vcc, s30, v11
	v_addc_co_u32_e32 v12, vcc, v1, v12, vcc
	global_load_dwordx2 v[11:12], v[11:12], off
	s_waitcnt vmcnt(0)
	v_add_f32_e32 v34, v34, v11
	v_add_f32_e32 v35, v35, v12
.LBB40_108:                             ;   in Loop: Header=BB40_14 Depth=3
	s_or_b64 exec, exec, s[68:69]
	s_or_b64 exec, exec, s[20:21]
	v_cmp_eq_u32_e32 vcc, v3, v7
	s_and_saveexec_b64 s[20:21], vcc
	s_cbranch_execnz .LBB40_84
	s_branch .LBB40_85
.LBB40_109:                             ;   in Loop: Header=BB40_14 Depth=3
	v_mov_b32_e32 v14, 0
	v_cmp_neq_f32_e32 vcc, 0, v15
	s_and_saveexec_b64 s[70:71], vcc
	s_cbranch_execz .LBB40_111
; %bb.110:                              ;   in Loop: Header=BB40_14 Depth=3
	v_div_scale_f32 v14, s[20:21], v13, v13, v5
	v_div_scale_f32 v15, vcc, v5, v13, v5
	v_rcp_f32_e32 v16, v14
	v_fma_f32 v37, -v14, v16, 1.0
	v_fmac_f32_e32 v16, v37, v16
	v_mul_f32_e32 v37, v15, v16
	v_fma_f32 v38, -v14, v37, v15
	v_fmac_f32_e32 v37, v38, v16
	v_fma_f32 v14, -v14, v37, v15
	v_div_fmas_f32 v14, v14, v16, v37
	v_div_fixup_f32 v5, v14, v13, v5
	v_fma_f32 v5, v5, v5, 1.0
	v_mul_f32_e32 v14, 0x4f800000, v5
	v_cmp_gt_f32_e32 vcc, s54, v5
	v_cndmask_b32_e32 v5, v5, v14, vcc
	v_sqrt_f32_e32 v14, v5
	v_add_u32_e32 v15, -1, v14
	v_add_u32_e32 v16, 1, v14
	v_fma_f32 v37, -v15, v14, v5
	v_fma_f32 v38, -v16, v14, v5
	v_cmp_ge_f32_e64 s[20:21], 0, v37
	v_cndmask_b32_e64 v14, v14, v15, s[20:21]
	v_cmp_lt_f32_e64 s[20:21], 0, v38
	v_cndmask_b32_e64 v14, v14, v16, s[20:21]
	v_mul_f32_e32 v15, 0x37800000, v14
	v_cndmask_b32_e32 v14, v14, v15, vcc
	v_cmp_class_f32_e32 vcc, v5, v27
	v_cndmask_b32_e32 v5, v14, v5, vcc
	v_mul_f32_e32 v14, v13, v5
.LBB40_111:                             ;   in Loop: Header=BB40_14 Depth=3
	s_or_b64 exec, exec, s[70:71]
                                        ; implicit-def: $vgpr5
                                        ; implicit-def: $vgpr13
	s_andn2_saveexec_b64 s[68:69], s[68:69]
	s_cbranch_execz .LBB40_45
.LBB40_112:                             ;   in Loop: Header=BB40_14 Depth=3
	v_div_scale_f32 v14, s[20:21], v5, v5, v13
	v_div_scale_f32 v15, vcc, v13, v5, v13
	v_rcp_f32_e32 v16, v14
	v_fma_f32 v37, -v14, v16, 1.0
	v_fmac_f32_e32 v16, v37, v16
	v_mul_f32_e32 v37, v15, v16
	v_fma_f32 v38, -v14, v37, v15
	v_fmac_f32_e32 v37, v38, v16
	v_fma_f32 v14, -v14, v37, v15
	v_div_fmas_f32 v14, v14, v16, v37
	v_div_fixup_f32 v13, v14, v5, v13
	v_fma_f32 v13, v13, v13, 1.0
	v_mul_f32_e32 v14, 0x4f800000, v13
	v_cmp_gt_f32_e32 vcc, s54, v13
	v_cndmask_b32_e32 v13, v13, v14, vcc
	v_sqrt_f32_e32 v14, v13
	v_add_u32_e32 v15, -1, v14
	v_add_u32_e32 v16, 1, v14
	v_fma_f32 v37, -v15, v14, v13
	v_fma_f32 v38, -v16, v14, v13
	v_cmp_ge_f32_e64 s[20:21], 0, v37
	v_cndmask_b32_e64 v14, v14, v15, s[20:21]
	v_cmp_lt_f32_e64 s[20:21], 0, v38
	v_cndmask_b32_e64 v14, v14, v16, s[20:21]
	v_mul_f32_e32 v15, 0x37800000, v14
	v_cndmask_b32_e32 v14, v14, v15, vcc
	v_cmp_class_f32_e32 vcc, v13, v27
	v_cndmask_b32_e32 v13, v14, v13, vcc
	v_mul_f32_e32 v14, v5, v13
	s_or_b64 exec, exec, s[68:69]
	v_cmp_class_f32_e64 s[68:69], v14, s55
	s_and_saveexec_b64 s[20:21], s[68:69]
	s_cbranch_execnz .LBB40_46
	s_branch .LBB40_47
.LBB40_113:                             ;   in Loop: Header=BB40_14 Depth=3
	v_mov_b32_e32 v14, 0
	v_cmp_neq_f32_e32 vcc, 0, v15
	s_and_saveexec_b64 s[72:73], vcc
	s_cbranch_execz .LBB40_115
; %bb.114:                              ;   in Loop: Header=BB40_14 Depth=3
	v_div_scale_f32 v14, s[20:21], v13, v13, v5
	v_div_scale_f32 v15, vcc, v5, v13, v5
	v_rcp_f32_e32 v16, v14
	v_fma_f32 v37, -v14, v16, 1.0
	v_fmac_f32_e32 v16, v37, v16
	v_mul_f32_e32 v37, v15, v16
	v_fma_f32 v38, -v14, v37, v15
	v_fmac_f32_e32 v37, v38, v16
	v_fma_f32 v14, -v14, v37, v15
	v_div_fmas_f32 v14, v14, v16, v37
	v_div_fixup_f32 v5, v14, v13, v5
	v_fma_f32 v5, v5, v5, 1.0
	v_mul_f32_e32 v14, 0x4f800000, v5
	v_cmp_gt_f32_e32 vcc, s54, v5
	v_cndmask_b32_e32 v5, v5, v14, vcc
	v_sqrt_f32_e32 v14, v5
	v_add_u32_e32 v15, -1, v14
	v_add_u32_e32 v16, 1, v14
	v_fma_f32 v37, -v15, v14, v5
	v_fma_f32 v38, -v16, v14, v5
	v_cmp_ge_f32_e64 s[20:21], 0, v37
	v_cndmask_b32_e64 v14, v14, v15, s[20:21]
	v_cmp_lt_f32_e64 s[20:21], 0, v38
	v_cndmask_b32_e64 v14, v14, v16, s[20:21]
	v_mul_f32_e32 v15, 0x37800000, v14
	v_cndmask_b32_e32 v14, v14, v15, vcc
	v_cmp_class_f32_e32 vcc, v5, v27
	v_cndmask_b32_e32 v5, v14, v5, vcc
	v_mul_f32_e32 v14, v13, v5
.LBB40_115:                             ;   in Loop: Header=BB40_14 Depth=3
	s_or_b64 exec, exec, s[72:73]
                                        ; implicit-def: $vgpr5
                                        ; implicit-def: $vgpr13
	s_andn2_saveexec_b64 s[70:71], s[70:71]
	s_cbranch_execz .LBB40_75
.LBB40_116:                             ;   in Loop: Header=BB40_14 Depth=3
	v_div_scale_f32 v14, s[20:21], v5, v5, v13
	v_div_scale_f32 v15, vcc, v13, v5, v13
	v_rcp_f32_e32 v16, v14
	v_fma_f32 v37, -v14, v16, 1.0
	v_fmac_f32_e32 v16, v37, v16
	v_mul_f32_e32 v37, v15, v16
	v_fma_f32 v38, -v14, v37, v15
	v_fmac_f32_e32 v37, v38, v16
	v_fma_f32 v14, -v14, v37, v15
	v_div_fmas_f32 v14, v14, v16, v37
	v_div_fixup_f32 v13, v14, v5, v13
	v_fma_f32 v13, v13, v13, 1.0
	v_mul_f32_e32 v14, 0x4f800000, v13
	v_cmp_gt_f32_e32 vcc, s54, v13
	v_cndmask_b32_e32 v13, v13, v14, vcc
	v_sqrt_f32_e32 v14, v13
	v_add_u32_e32 v15, -1, v14
	v_add_u32_e32 v16, 1, v14
	v_fma_f32 v37, -v15, v14, v13
	v_fma_f32 v38, -v16, v14, v13
	v_cmp_ge_f32_e64 s[20:21], 0, v37
	v_cndmask_b32_e64 v14, v14, v15, s[20:21]
	v_cmp_lt_f32_e64 s[20:21], 0, v38
	v_cndmask_b32_e64 v14, v14, v16, s[20:21]
	v_mul_f32_e32 v15, 0x37800000, v14
	v_cndmask_b32_e32 v14, v14, v15, vcc
	v_cmp_class_f32_e32 vcc, v13, v27
	v_cndmask_b32_e32 v13, v14, v13, vcc
	v_mul_f32_e32 v14, v5, v13
	s_or_b64 exec, exec, s[70:71]
	v_cmp_class_f32_e64 s[70:71], v14, s55
	s_and_saveexec_b64 s[20:21], s[70:71]
	s_cbranch_execnz .LBB40_76
	s_branch .LBB40_77
.LBB40_117:                             ;   in Loop: Header=BB40_14 Depth=3
	v_mov_b32_e32 v14, 0
	v_cmp_neq_f32_e32 vcc, 0, v15
	s_and_saveexec_b64 s[72:73], vcc
	s_cbranch_execz .LBB40_119
; %bb.118:                              ;   in Loop: Header=BB40_14 Depth=3
	v_div_scale_f32 v14, s[20:21], v13, v13, v5
	v_div_scale_f32 v15, vcc, v5, v13, v5
	v_rcp_f32_e32 v16, v14
	v_fma_f32 v37, -v14, v16, 1.0
	v_fmac_f32_e32 v16, v37, v16
	v_mul_f32_e32 v37, v15, v16
	v_fma_f32 v38, -v14, v37, v15
	v_fmac_f32_e32 v37, v38, v16
	v_fma_f32 v14, -v14, v37, v15
	v_div_fmas_f32 v14, v14, v16, v37
	v_div_fixup_f32 v5, v14, v13, v5
	v_fma_f32 v5, v5, v5, 1.0
	v_mul_f32_e32 v14, 0x4f800000, v5
	v_cmp_gt_f32_e32 vcc, s54, v5
	v_cndmask_b32_e32 v5, v5, v14, vcc
	v_sqrt_f32_e32 v14, v5
	v_add_u32_e32 v15, -1, v14
	v_add_u32_e32 v16, 1, v14
	v_fma_f32 v37, -v15, v14, v5
	v_fma_f32 v38, -v16, v14, v5
	v_cmp_ge_f32_e64 s[20:21], 0, v37
	v_cndmask_b32_e64 v14, v14, v15, s[20:21]
	v_cmp_lt_f32_e64 s[20:21], 0, v38
	v_cndmask_b32_e64 v14, v14, v16, s[20:21]
	v_mul_f32_e32 v15, 0x37800000, v14
	v_cndmask_b32_e32 v14, v14, v15, vcc
	v_cmp_class_f32_e32 vcc, v5, v27
	v_cndmask_b32_e32 v5, v14, v5, vcc
	v_mul_f32_e32 v14, v13, v5
.LBB40_119:                             ;   in Loop: Header=BB40_14 Depth=3
	s_or_b64 exec, exec, s[72:73]
                                        ; implicit-def: $vgpr5
                                        ; implicit-def: $vgpr13
	s_andn2_saveexec_b64 s[70:71], s[70:71]
	s_cbranch_execz .LBB40_59
.LBB40_120:                             ;   in Loop: Header=BB40_14 Depth=3
	v_div_scale_f32 v14, s[20:21], v5, v5, v13
	v_div_scale_f32 v15, vcc, v13, v5, v13
	v_rcp_f32_e32 v16, v14
	v_fma_f32 v37, -v14, v16, 1.0
	v_fmac_f32_e32 v16, v37, v16
	v_mul_f32_e32 v37, v15, v16
	v_fma_f32 v38, -v14, v37, v15
	v_fmac_f32_e32 v37, v38, v16
	v_fma_f32 v14, -v14, v37, v15
	v_div_fmas_f32 v14, v14, v16, v37
	v_div_fixup_f32 v13, v14, v5, v13
	v_fma_f32 v13, v13, v13, 1.0
	v_mul_f32_e32 v14, 0x4f800000, v13
	v_cmp_gt_f32_e32 vcc, s54, v13
	v_cndmask_b32_e32 v13, v13, v14, vcc
	v_sqrt_f32_e32 v14, v13
	v_add_u32_e32 v15, -1, v14
	v_add_u32_e32 v16, 1, v14
	v_fma_f32 v37, -v15, v14, v13
	v_fma_f32 v38, -v16, v14, v13
	v_cmp_ge_f32_e64 s[20:21], 0, v37
	v_cndmask_b32_e64 v14, v14, v15, s[20:21]
	v_cmp_lt_f32_e64 s[20:21], 0, v38
	v_cndmask_b32_e64 v14, v14, v16, s[20:21]
	v_mul_f32_e32 v15, 0x37800000, v14
	v_cndmask_b32_e32 v14, v14, v15, vcc
	v_cmp_class_f32_e32 vcc, v13, v27
	v_cndmask_b32_e32 v13, v14, v13, vcc
	v_mul_f32_e32 v14, v5, v13
	s_or_b64 exec, exec, s[70:71]
	v_cmp_class_f32_e64 s[70:71], v14, s55
	s_and_saveexec_b64 s[20:21], s[70:71]
	s_cbranch_execnz .LBB40_60
	s_branch .LBB40_61
.LBB40_121:                             ;   in Loop: Header=BB40_5 Depth=1
	s_and_b64 vcc, exec, s[60:61]
	s_cbranch_vccnz .LBB40_124
; %bb.122:                              ;   in Loop: Header=BB40_5 Depth=1
	s_andn2_b64 vcc, exec, s[34:35]
	s_cbranch_vccz .LBB40_137
.LBB40_123:                             ;   in Loop: Header=BB40_5 Depth=1
	s_and_saveexec_b64 s[18:19], s[4:5]
	s_cbranch_execnz .LBB40_150
	s_branch .LBB40_161
.LBB40_124:                             ;   in Loop: Header=BB40_5 Depth=1
	v_mov_b32_dpp v1, v22 row_shr:1 row_mask:0xf bank_mask:0xf
	v_cmp_lt_f32_e32 vcc, v22, v1
	v_cndmask_b32_e32 v1, v22, v1, vcc
	s_nop 1
	v_mov_b32_dpp v3, v1 row_shr:2 row_mask:0xf bank_mask:0xf
	v_cmp_lt_f32_e32 vcc, v1, v3
	v_cndmask_b32_e32 v1, v1, v3, vcc
	s_nop 1
	;; [unrolled: 4-line block ×4, first 2 shown]
	v_mov_b32_dpp v3, v1 row_bcast:15 row_mask:0xa bank_mask:0xf
	s_and_saveexec_b64 s[18:19], s[2:3]
; %bb.125:                              ;   in Loop: Header=BB40_5 Depth=1
	v_cmp_lt_f32_e32 vcc, v1, v3
	v_cndmask_b32_e32 v1, v1, v3, vcc
	ds_write_b32 v24, v1
; %bb.126:                              ;   in Loop: Header=BB40_5 Depth=1
	s_or_b64 exec, exec, s[18:19]
	s_waitcnt vmcnt(0) lgkmcnt(0)
	s_barrier
	s_and_saveexec_b64 s[18:19], s[6:7]
	s_cbranch_execz .LBB40_128
; %bb.127:                              ;   in Loop: Header=BB40_5 Depth=1
	ds_read2_b32 v[3:4], v17 offset1:16
	s_waitcnt lgkmcnt(0)
	v_cmp_lt_f32_e32 vcc, v3, v4
	v_cndmask_b32_e32 v1, v3, v4, vcc
	ds_write_b32 v17, v1
.LBB40_128:                             ;   in Loop: Header=BB40_5 Depth=1
	s_or_b64 exec, exec, s[18:19]
	s_waitcnt lgkmcnt(0)
	s_barrier
	s_and_saveexec_b64 s[18:19], s[8:9]
	s_cbranch_execz .LBB40_130
; %bb.129:                              ;   in Loop: Header=BB40_5 Depth=1
	ds_read2_b32 v[3:4], v17 offset1:8
	s_waitcnt lgkmcnt(0)
	v_cmp_lt_f32_e32 vcc, v3, v4
	v_cndmask_b32_e32 v1, v3, v4, vcc
	ds_write_b32 v17, v1
.LBB40_130:                             ;   in Loop: Header=BB40_5 Depth=1
	s_or_b64 exec, exec, s[18:19]
	s_waitcnt lgkmcnt(0)
	;; [unrolled: 12-line block ×4, first 2 shown]
	s_barrier
	s_and_saveexec_b64 s[18:19], s[14:15]
	s_cbranch_execz .LBB40_136
; %bb.135:                              ;   in Loop: Header=BB40_5 Depth=1
	ds_read_b64 v[3:4], v2
	s_waitcnt lgkmcnt(0)
	v_cmp_lt_f32_e32 vcc, v3, v4
	v_cndmask_b32_e32 v1, v3, v4, vcc
	ds_write_b32 v2, v1
.LBB40_136:                             ;   in Loop: Header=BB40_5 Depth=1
	s_or_b64 exec, exec, s[18:19]
	v_readlane_b32 s0, v43, 4
	v_readlane_b32 s1, v43, 5
	s_waitcnt lgkmcnt(0)
	s_barrier
	ds_read_b32 v1, v2
	s_load_dword s18, s[0:1], 0x0
	s_waitcnt lgkmcnt(0)
	v_div_scale_f32 v3, s[0:1], s18, s18, v1
	v_div_scale_f32 v4, vcc, v1, s18, v1
	v_rcp_f32_e32 v5, v3
	v_fma_f32 v6, -v3, v5, 1.0
	v_fmac_f32_e32 v5, v6, v5
	v_mul_f32_e32 v6, v4, v5
	v_fma_f32 v7, -v3, v6, v4
	v_fmac_f32_e32 v6, v7, v5
	v_fma_f32 v3, -v3, v6, v4
	v_div_fmas_f32 v3, v3, v5, v6
	v_div_fixup_f32 v22, v3, s18, v1
	s_andn2_b64 vcc, exec, s[34:35]
	s_cbranch_vccnz .LBB40_123
.LBB40_137:                             ;   in Loop: Header=BB40_5 Depth=1
	v_mov_b32_dpp v1, v18 row_shr:1 row_mask:0xf bank_mask:0xf
	v_cmp_lt_f32_e32 vcc, v18, v1
	v_cndmask_b32_e32 v1, v18, v1, vcc
	s_nop 1
	v_mov_b32_dpp v3, v1 row_shr:2 row_mask:0xf bank_mask:0xf
	v_cmp_lt_f32_e32 vcc, v1, v3
	v_cndmask_b32_e32 v1, v1, v3, vcc
	s_nop 1
	v_mov_b32_dpp v3, v1 row_shr:4 row_mask:0xf bank_mask:0xe
	v_cmp_lt_f32_e32 vcc, v1, v3
	v_cndmask_b32_e32 v1, v1, v3, vcc
	s_nop 1
	v_mov_b32_dpp v3, v1 row_shr:8 row_mask:0xf bank_mask:0xc
	v_cmp_lt_f32_e32 vcc, v1, v3
	v_cndmask_b32_e32 v1, v1, v3, vcc
	s_nop 1
	v_mov_b32_dpp v3, v1 row_bcast:15 row_mask:0xa bank_mask:0xf
	s_and_saveexec_b64 s[18:19], s[2:3]
; %bb.138:                              ;   in Loop: Header=BB40_5 Depth=1
	v_cmp_lt_f32_e32 vcc, v1, v3
	v_cndmask_b32_e32 v1, v1, v3, vcc
	ds_write_b32 v24, v1
; %bb.139:                              ;   in Loop: Header=BB40_5 Depth=1
	s_or_b64 exec, exec, s[18:19]
	s_waitcnt vmcnt(0) lgkmcnt(0)
	s_barrier
	s_and_saveexec_b64 s[18:19], s[6:7]
	s_cbranch_execz .LBB40_141
; %bb.140:                              ;   in Loop: Header=BB40_5 Depth=1
	ds_read2_b32 v[3:4], v17 offset1:16
	s_waitcnt lgkmcnt(0)
	v_cmp_lt_f32_e32 vcc, v3, v4
	v_cndmask_b32_e32 v1, v3, v4, vcc
	ds_write_b32 v17, v1
.LBB40_141:                             ;   in Loop: Header=BB40_5 Depth=1
	s_or_b64 exec, exec, s[18:19]
	s_waitcnt lgkmcnt(0)
	s_barrier
	s_and_saveexec_b64 s[18:19], s[8:9]
	s_cbranch_execz .LBB40_143
; %bb.142:                              ;   in Loop: Header=BB40_5 Depth=1
	ds_read2_b32 v[3:4], v17 offset1:8
	s_waitcnt lgkmcnt(0)
	v_cmp_lt_f32_e32 vcc, v3, v4
	v_cndmask_b32_e32 v1, v3, v4, vcc
	ds_write_b32 v17, v1
.LBB40_143:                             ;   in Loop: Header=BB40_5 Depth=1
	s_or_b64 exec, exec, s[18:19]
	s_waitcnt lgkmcnt(0)
	;; [unrolled: 12-line block ×4, first 2 shown]
	s_barrier
	s_and_saveexec_b64 s[18:19], s[14:15]
	s_cbranch_execz .LBB40_149
; %bb.148:                              ;   in Loop: Header=BB40_5 Depth=1
	ds_read_b64 v[3:4], v2
	s_waitcnt lgkmcnt(0)
	v_cmp_lt_f32_e32 vcc, v3, v4
	v_cndmask_b32_e32 v1, v3, v4, vcc
	ds_write_b32 v2, v1
.LBB40_149:                             ;   in Loop: Header=BB40_5 Depth=1
	s_or_b64 exec, exec, s[18:19]
	v_readlane_b32 s0, v43, 4
	v_readlane_b32 s1, v43, 5
	s_waitcnt lgkmcnt(0)
	s_barrier
	ds_read_b32 v1, v2
	s_load_dword s18, s[0:1], 0x0
	s_waitcnt lgkmcnt(0)
	v_div_scale_f32 v3, s[0:1], s18, s18, v1
	v_div_scale_f32 v4, vcc, v1, s18, v1
	v_rcp_f32_e32 v5, v3
	v_fma_f32 v6, -v3, v5, 1.0
	v_fmac_f32_e32 v5, v6, v5
	v_mul_f32_e32 v6, v4, v5
	v_fma_f32 v7, -v3, v6, v4
	v_fmac_f32_e32 v6, v7, v5
	v_fma_f32 v3, -v3, v6, v4
	v_div_fmas_f32 v3, v3, v5, v6
	v_div_fixup_f32 v18, v3, s18, v1
	s_and_saveexec_b64 s[18:19], s[4:5]
	s_cbranch_execz .LBB40_161
.LBB40_150:                             ;   in Loop: Header=BB40_5 Depth=1
	s_mov_b64 s[20:21], 0
	v_mov_b32_e32 v3, v21
	s_branch .LBB40_152
.LBB40_151:                             ;   in Loop: Header=BB40_152 Depth=2
	s_or_b64 exec, exec, s[22:23]
	v_add_u32_e32 v3, 32, v3
	v_cmp_le_u32_e32 vcc, s53, v3
	s_or_b64 s[20:21], vcc, s[20:21]
	s_andn2_b64 exec, exec, s[20:21]
	s_cbranch_execz .LBB40_161
.LBB40_152:                             ;   Parent Loop BB40_5 Depth=1
                                        ; =>  This Loop Header: Depth=2
                                        ;       Child Loop BB40_155 Depth 3
                                        ;       Child Loop BB40_158 Depth 3
	v_cmp_gt_i32_e32 vcc, s67, v3
	s_and_saveexec_b64 s[22:23], vcc
	s_cbranch_execz .LBB40_151
; %bb.153:                              ;   in Loop: Header=BB40_152 Depth=2
	v_ashrrev_i32_e32 v4, 31, v3
	v_lshlrev_b64 v[5:6], 2, v[3:4]
	v_mov_b32_e32 v1, s37
	v_add_co_u32_e32 v7, vcc, s36, v5
	v_addc_co_u32_e32 v8, vcc, v1, v6, vcc
	global_load_dword v1, v[7:8], off
	v_mov_b32_e32 v8, s39
	v_add_co_u32_e32 v7, vcc, s38, v5
	v_addc_co_u32_e32 v8, vcc, v8, v6, vcc
	global_load_dword v8, v[7:8], off
	s_waitcnt vmcnt(1)
	v_add_u32_e32 v7, v25, v1
	s_waitcnt vmcnt(0)
	v_subrev_u32_e32 v1, s65, v8
	v_cmp_lt_i32_e32 vcc, v7, v1
	s_and_saveexec_b64 s[68:69], vcc
	s_cbranch_execz .LBB40_156
; %bb.154:                              ;   in Loop: Header=BB40_152 Depth=2
	v_ashrrev_i32_e32 v8, 31, v7
	v_lshlrev_b64 v[10:11], 3, v[7:8]
	v_mov_b32_e32 v9, s75
	v_add_co_u32_e32 v8, vcc, s74, v10
	v_addc_co_u32_e32 v9, vcc, v9, v11, vcc
	v_mov_b32_e32 v12, s43
	v_add_co_u32_e32 v10, vcc, s42, v10
	v_addc_co_u32_e32 v11, vcc, v12, v11, vcc
	s_mov_b64 s[70:71], 0
.LBB40_155:                             ;   Parent Loop BB40_5 Depth=1
                                        ;     Parent Loop BB40_152 Depth=2
                                        ; =>    This Inner Loop Header: Depth=3
	global_load_dwordx2 v[12:13], v[8:9], off
	v_add_co_u32_e32 v8, vcc, 0x100, v8
	v_add_u32_e32 v7, 32, v7
	v_addc_co_u32_e32 v9, vcc, 0, v9, vcc
	v_cmp_ge_i32_e32 vcc, v7, v1
	s_or_b64 s[70:71], vcc, s[70:71]
	s_waitcnt vmcnt(0)
	global_store_dwordx2 v[10:11], v[12:13], off
	v_add_co_u32_e32 v10, vcc, 0x100, v10
	v_addc_co_u32_e32 v11, vcc, 0, v11, vcc
	s_andn2_b64 exec, exec, s[70:71]
	s_cbranch_execnz .LBB40_155
.LBB40_156:                             ;   in Loop: Header=BB40_152 Depth=2
	s_or_b64 exec, exec, s[68:69]
	v_mov_b32_e32 v1, s25
	v_add_co_u32_e32 v7, vcc, s24, v5
	v_addc_co_u32_e32 v8, vcc, v1, v6, vcc
	global_load_dword v1, v[7:8], off
	v_mov_b32_e32 v7, s27
	v_add_co_u32_e32 v5, vcc, s26, v5
	v_addc_co_u32_e32 v6, vcc, v7, v6, vcc
	global_load_dword v6, v[5:6], off
	s_waitcnt vmcnt(1)
	v_add_u32_e32 v5, v26, v1
	s_waitcnt vmcnt(0)
	v_subrev_u32_e32 v1, s52, v6
	v_cmp_lt_i32_e32 vcc, v5, v1
	s_and_saveexec_b64 s[68:69], vcc
	s_cbranch_execz .LBB40_159
; %bb.157:                              ;   in Loop: Header=BB40_152 Depth=2
	v_ashrrev_i32_e32 v6, 31, v5
	v_lshlrev_b64 v[8:9], 3, v[5:6]
	v_mov_b32_e32 v7, s77
	v_add_co_u32_e32 v6, vcc, s76, v8
	v_addc_co_u32_e32 v7, vcc, v7, v9, vcc
	v_mov_b32_e32 v10, s31
	v_add_co_u32_e32 v8, vcc, s30, v8
	v_addc_co_u32_e32 v9, vcc, v10, v9, vcc
	s_mov_b64 s[70:71], 0
.LBB40_158:                             ;   Parent Loop BB40_5 Depth=1
                                        ;     Parent Loop BB40_152 Depth=2
                                        ; =>    This Inner Loop Header: Depth=3
	global_load_dwordx2 v[10:11], v[6:7], off
	v_add_co_u32_e32 v6, vcc, 0x100, v6
	v_add_u32_e32 v5, 32, v5
	v_addc_co_u32_e32 v7, vcc, 0, v7, vcc
	v_cmp_ge_i32_e32 vcc, v5, v1
	s_or_b64 s[70:71], vcc, s[70:71]
	s_waitcnt vmcnt(0)
	global_store_dwordx2 v[8:9], v[10:11], off
	v_add_co_u32_e32 v8, vcc, 0x100, v8
	v_addc_co_u32_e32 v9, vcc, 0, v9, vcc
	s_andn2_b64 exec, exec, s[70:71]
	s_cbranch_execnz .LBB40_158
.LBB40_159:                             ;   in Loop: Header=BB40_152 Depth=2
	s_or_b64 exec, exec, s[68:69]
	s_and_b64 exec, exec, s[16:17]
	s_cbranch_execz .LBB40_151
; %bb.160:                              ;   in Loop: Header=BB40_152 Depth=2
	v_lshlrev_b64 v[4:5], 3, v[3:4]
	v_mov_b32_e32 v1, s59
	v_add_co_u32_e32 v6, vcc, s58, v4
	v_addc_co_u32_e32 v7, vcc, v1, v5, vcc
	global_load_dwordx2 v[6:7], v[6:7], off
	v_mov_b32_e32 v1, s57
	v_add_co_u32_e32 v4, vcc, s56, v4
	v_addc_co_u32_e32 v5, vcc, v1, v5, vcc
	s_waitcnt vmcnt(0)
	global_store_dwordx2 v[4:5], v[6:7], off
	s_branch .LBB40_151
.LBB40_161:                             ;   in Loop: Header=BB40_5 Depth=1
	s_or_b64 exec, exec, s[18:19]
	s_mov_b64 s[20:21], -1
	s_and_b64 vcc, exec, s[62:63]
	s_mov_b64 s[22:23], -1
	s_cbranch_vccz .LBB40_171
; %bb.162:                              ;   in Loop: Header=BB40_5 Depth=1
	v_readlane_b32 s0, v43, 8
	v_readlane_b32 s1, v43, 9
	s_mov_b64 s[18:19], -1
	s_and_b64 vcc, exec, s[0:1]
                                        ; implicit-def: $sgpr22_sgpr23
	s_cbranch_vccz .LBB40_168
; %bb.163:                              ;   in Loop: Header=BB40_5 Depth=1
	v_readlane_b32 s0, v43, 6
	v_readlane_b32 s1, v43, 7
	s_and_b64 vcc, exec, s[0:1]
                                        ; implicit-def: $sgpr22_sgpr23
	s_cbranch_vccz .LBB40_165
; %bb.164:                              ;   in Loop: Header=BB40_5 Depth=1
	v_cmp_ge_f32_e64 s[22:23], s66, v18
	s_mov_b64 s[18:19], 0
.LBB40_165:                             ;   in Loop: Header=BB40_5 Depth=1
	s_andn2_b64 vcc, exec, s[18:19]
	s_cbranch_vccnz .LBB40_167
; %bb.166:                              ;   in Loop: Header=BB40_5 Depth=1
	v_cmp_ge_f32_e32 vcc, s66, v22
	s_andn2_b64 s[0:1], s[22:23], exec
	s_and_b64 s[18:19], vcc, exec
	s_or_b64 s[22:23], s[0:1], s[18:19]
.LBB40_167:                             ;   in Loop: Header=BB40_5 Depth=1
	s_mov_b64 s[18:19], 0
.LBB40_168:                             ;   in Loop: Header=BB40_5 Depth=1
	s_andn2_b64 vcc, exec, s[18:19]
	s_cbranch_vccnz .LBB40_170
; %bb.169:                              ;   in Loop: Header=BB40_5 Depth=1
	v_cmp_ge_f32_e32 vcc, s66, v22
	v_cmp_ge_f32_e64 s[18:19], s66, v18
	s_and_b64 s[0:1], vcc, s[18:19]
	s_andn2_b64 s[18:19], s[22:23], exec
	s_and_b64 s[0:1], s[0:1], exec
	s_or_b64 s[22:23], s[18:19], s[0:1]
.LBB40_170:                             ;   in Loop: Header=BB40_5 Depth=1
	s_xor_b64 s[22:23], s[22:23], -1
.LBB40_171:                             ;   in Loop: Header=BB40_5 Depth=1
	v_mov_b32_e32 v1, s33
	s_and_saveexec_b64 s[18:19], s[22:23]
	s_cbranch_execz .LBB40_4
; %bb.172:                              ;   in Loop: Header=BB40_5 Depth=1
	v_readlane_b32 s0, v43, 0
	s_add_i32 s33, s33, 1
	v_readlane_b32 s1, v43, 1
	s_cmp_eq_u32 s33, s1
	s_mov_b32 s21, s1
	s_cselect_b64 s[0:1], -1, 0
	v_mov_b32_e32 v1, s21
	s_orn2_b64 s[20:21], s[0:1], exec
	s_branch .LBB40_4
.LBB40_173:
	s_or_b64 exec, exec, s[80:81]
	v_readlane_b32 s4, v43, 10
	v_readlane_b32 s5, v43, 11
	s_load_dwordx4 s[8:11], s[4:5], 0xb8
	v_readlane_b32 s2, v43, 2
	v_readlane_b32 s3, v43, 3
	s_or_b64 exec, exec, s[2:3]
	s_andn2_b64 vcc, exec, s[62:63]
	s_cbranch_vccnz .LBB40_2
.LBB40_174:
	v_mov_b32_dpp v2, v1 row_shr:1 row_mask:0xf bank_mask:0xf
	v_max_i32_e32 v1, v1, v2
	v_cmp_eq_u32_e32 vcc, 31, v20
	s_nop 0
	v_mov_b32_dpp v2, v1 row_shr:2 row_mask:0xf bank_mask:0xf
	v_max_i32_e32 v1, v1, v2
	s_nop 1
	v_mov_b32_dpp v2, v1 row_shr:4 row_mask:0xf bank_mask:0xe
	v_max_i32_e32 v1, v1, v2
	;; [unrolled: 3-line block ×3, first 2 shown]
	s_nop 1
	v_mov_b32_dpp v2, v1 row_bcast:15 row_mask:0xa bank_mask:0xf
	s_and_saveexec_b64 s[0:1], vcc
; %bb.175:
	v_lshlrev_b32_e32 v3, 2, v19
	v_max_i32_e32 v1, v1, v2
	ds_write_b32 v3, v1 offset:128
; %bb.176:
	s_or_b64 exec, exec, s[0:1]
	v_cmp_gt_u32_e32 vcc, 16, v0
	s_waitcnt vmcnt(0) lgkmcnt(0)
	s_barrier
	s_and_saveexec_b64 s[0:1], vcc
	s_cbranch_execz .LBB40_178
; %bb.177:
	ds_read2_b32 v[1:2], v17 offset0:32 offset1:48
	s_waitcnt lgkmcnt(0)
	v_max_i32_e32 v1, v1, v2
	ds_write_b32 v17, v1 offset:128
.LBB40_178:
	s_or_b64 exec, exec, s[0:1]
	v_cmp_gt_u32_e32 vcc, 8, v0
	s_waitcnt lgkmcnt(0)
	s_barrier
	s_and_saveexec_b64 s[0:1], vcc
	s_cbranch_execz .LBB40_180
; %bb.179:
	ds_read2_b32 v[1:2], v17 offset0:32 offset1:40
	s_waitcnt lgkmcnt(0)
	v_max_i32_e32 v1, v1, v2
	ds_write_b32 v17, v1 offset:128
.LBB40_180:
	s_or_b64 exec, exec, s[0:1]
	v_cmp_gt_u32_e32 vcc, 4, v0
	s_waitcnt lgkmcnt(0)
	;; [unrolled: 12-line block ×3, first 2 shown]
	s_barrier
	s_and_saveexec_b64 s[0:1], vcc
	s_cbranch_execz .LBB40_184
; %bb.183:
	ds_read2_b32 v[1:2], v17 offset0:32 offset1:34
	s_waitcnt lgkmcnt(0)
	v_max_i32_e32 v1, v1, v2
	ds_write_b32 v17, v1 offset:128
.LBB40_184:
	s_or_b64 exec, exec, s[0:1]
	v_cmp_eq_u32_e32 vcc, 0, v0
	s_waitcnt lgkmcnt(0)
	s_barrier
	s_and_saveexec_b64 s[0:1], vcc
	s_cbranch_execz .LBB40_186
; %bb.185:
	v_mov_b32_e32 v3, 0
	ds_read_b64 v[1:2], v3 offset:128
	s_waitcnt lgkmcnt(0)
	v_max_i32_e32 v1, v1, v2
	ds_write_b32 v3, v1 offset:128
.LBB40_186:
	s_or_b64 exec, exec, s[0:1]
	s_waitcnt lgkmcnt(0)
	s_barrier
	s_and_saveexec_b64 s[0:1], vcc
	s_cbranch_execz .LBB40_189
; %bb.187:
	v_mbcnt_lo_u32_b32 v1, exec_lo, 0
	v_mbcnt_hi_u32_b32 v1, exec_hi, v1
	v_cmp_eq_u32_e32 vcc, 0, v1
	s_and_b64 exec, exec, vcc
	s_cbranch_execz .LBB40_189
; %bb.188:
	v_mov_b32_e32 v1, 0
	ds_read_b32 v2, v1 offset:128
	s_load_dwordx2 s[2:3], s[4:5], 0x8
	s_waitcnt lgkmcnt(0)
	v_add_u32_e32 v2, 1, v2
	global_atomic_smax v1, v2, s[2:3]
.LBB40_189:
	s_or_b64 exec, exec, s[0:1]
	v_cmp_eq_u32_e32 vcc, 0, v0
	s_and_b64 s[0:1], vcc, s[60:61]
	s_and_saveexec_b64 s[2:3], s[0:1]
	s_cbranch_execz .LBB40_196
.LBB40_190:
	s_mov_b64 s[0:1], exec
	v_mov_b32_e32 v0, 0x7fc00000
.LBB40_191:                             ; =>This Inner Loop Header: Depth=1
	s_ff1_i32_b64 s4, s[0:1]
	v_readlane_b32 s6, v22, s4
	s_lshl_b64 s[4:5], 1, s4
	v_max_f32_e32 v0, v0, v0
	v_max_f32_e64 v1, s6, s6
	s_andn2_b64 s[0:1], s[0:1], s[4:5]
	s_cmp_lg_u64 s[0:1], 0
	v_max_f32_e32 v0, v0, v1
	s_cbranch_scc1 .LBB40_191
; %bb.192:
	v_mbcnt_lo_u32_b32 v1, exec_lo, 0
	v_mbcnt_hi_u32_b32 v1, exec_hi, v1
	v_cmp_eq_u32_e64 s[0:1], 0, v1
	s_and_saveexec_b64 s[4:5], s[0:1]
	s_xor_b64 s[4:5], exec, s[4:5]
	s_cbranch_execz .LBB40_196
; %bb.193:
	v_mov_b32_e32 v2, 0
	s_waitcnt lgkmcnt(0)
	global_load_dword v1, v2, s[8:9]
	s_mov_b64 s[4:5], 0
	v_max_f32_e32 v3, v0, v0
.LBB40_194:                             ; =>This Inner Loop Header: Depth=1
	s_waitcnt vmcnt(0)
	v_max_f32_e32 v0, v1, v1
	v_max_f32_e32 v0, v0, v3
	global_atomic_cmpswap v0, v2, v[0:1], s[8:9] glc
	s_waitcnt vmcnt(0)
	v_cmp_eq_u32_e64 s[0:1], v0, v1
	s_or_b64 s[4:5], s[0:1], s[4:5]
	v_mov_b32_e32 v1, v0
	s_andn2_b64 exec, exec, s[4:5]
	s_cbranch_execnz .LBB40_194
; %bb.195:
	s_or_b64 exec, exec, s[4:5]
.LBB40_196:
	s_or_b64 exec, exec, s[2:3]
	s_and_b64 s[0:1], vcc, s[34:35]
	s_and_saveexec_b64 s[2:3], s[0:1]
	s_cbranch_execz .LBB40_202
; %bb.197:
	s_mov_b64 s[0:1], exec
	v_mov_b32_e32 v0, 0x7fc00000
.LBB40_198:                             ; =>This Inner Loop Header: Depth=1
	s_ff1_i32_b64 s2, s[0:1]
	v_readlane_b32 s4, v18, s2
	s_lshl_b64 s[2:3], 1, s2
	v_max_f32_e32 v0, v0, v0
	v_max_f32_e64 v1, s4, s4
	s_andn2_b64 s[0:1], s[0:1], s[2:3]
	s_cmp_lg_u64 s[0:1], 0
	v_max_f32_e32 v0, v0, v1
	s_cbranch_scc1 .LBB40_198
; %bb.199:
	v_mbcnt_lo_u32_b32 v1, exec_lo, 0
	v_mbcnt_hi_u32_b32 v1, exec_hi, v1
	v_cmp_eq_u32_e32 vcc, 0, v1
	s_and_saveexec_b64 s[0:1], vcc
	s_xor_b64 s[0:1], exec, s[0:1]
	s_cbranch_execz .LBB40_202
; %bb.200:
	v_mov_b32_e32 v2, 0
	s_waitcnt lgkmcnt(0)
	global_load_dword v1, v2, s[10:11]
	s_mov_b64 s[0:1], 0
	v_max_f32_e32 v3, v0, v0
.LBB40_201:                             ; =>This Inner Loop Header: Depth=1
	s_waitcnt vmcnt(0)
	v_max_f32_e32 v0, v1, v1
	v_max_f32_e32 v0, v0, v3
	global_atomic_cmpswap v0, v2, v[0:1], s[10:11] glc
	s_waitcnt vmcnt(0)
	v_cmp_eq_u32_e32 vcc, v0, v1
	s_or_b64 s[0:1], vcc, s[0:1]
	v_mov_b32_e32 v1, v0
	s_andn2_b64 exec, exec, s[0:1]
	s_cbranch_execnz .LBB40_201
.LBB40_202:
	s_endpgm
	.section	.rodata,"a",@progbits
	.p2align	6, 0x0
	.amdhsa_kernel _ZN9rocsparseL6kernelILi1024ELi32E21rocsparse_complex_numIfEiiEEvbbbT3_PS3_NS_15floating_traitsIT1_E6data_tES3_T2_PKS9_SB_PKS3_PKS6_21rocsparse_index_base_SB_SB_SD_PS6_SH_SG_SB_SB_SD_SH_SH_SG_SH_SH_PS8_SI_PKS8_
		.amdhsa_group_segment_fixed_size 256
		.amdhsa_private_segment_fixed_size 0
		.amdhsa_kernarg_size 208
		.amdhsa_user_sgpr_count 6
		.amdhsa_user_sgpr_private_segment_buffer 1
		.amdhsa_user_sgpr_dispatch_ptr 0
		.amdhsa_user_sgpr_queue_ptr 0
		.amdhsa_user_sgpr_kernarg_segment_ptr 1
		.amdhsa_user_sgpr_dispatch_id 0
		.amdhsa_user_sgpr_flat_scratch_init 0
		.amdhsa_user_sgpr_private_segment_size 0
		.amdhsa_uses_dynamic_stack 0
		.amdhsa_system_sgpr_private_segment_wavefront_offset 0
		.amdhsa_system_sgpr_workgroup_id_x 1
		.amdhsa_system_sgpr_workgroup_id_y 0
		.amdhsa_system_sgpr_workgroup_id_z 0
		.amdhsa_system_sgpr_workgroup_info 0
		.amdhsa_system_vgpr_workitem_id 0
		.amdhsa_next_free_vgpr 44
		.amdhsa_next_free_sgpr 96
		.amdhsa_reserve_vcc 1
		.amdhsa_reserve_flat_scratch 0
		.amdhsa_float_round_mode_32 0
		.amdhsa_float_round_mode_16_64 0
		.amdhsa_float_denorm_mode_32 3
		.amdhsa_float_denorm_mode_16_64 3
		.amdhsa_dx10_clamp 1
		.amdhsa_ieee_mode 1
		.amdhsa_fp16_overflow 0
		.amdhsa_exception_fp_ieee_invalid_op 0
		.amdhsa_exception_fp_denorm_src 0
		.amdhsa_exception_fp_ieee_div_zero 0
		.amdhsa_exception_fp_ieee_overflow 0
		.amdhsa_exception_fp_ieee_underflow 0
		.amdhsa_exception_fp_ieee_inexact 0
		.amdhsa_exception_int_div_zero 0
	.end_amdhsa_kernel
	.section	.text._ZN9rocsparseL6kernelILi1024ELi32E21rocsparse_complex_numIfEiiEEvbbbT3_PS3_NS_15floating_traitsIT1_E6data_tES3_T2_PKS9_SB_PKS3_PKS6_21rocsparse_index_base_SB_SB_SD_PS6_SH_SG_SB_SB_SD_SH_SH_SG_SH_SH_PS8_SI_PKS8_,"axG",@progbits,_ZN9rocsparseL6kernelILi1024ELi32E21rocsparse_complex_numIfEiiEEvbbbT3_PS3_NS_15floating_traitsIT1_E6data_tES3_T2_PKS9_SB_PKS3_PKS6_21rocsparse_index_base_SB_SB_SD_PS6_SH_SG_SB_SB_SD_SH_SH_SG_SH_SH_PS8_SI_PKS8_,comdat
.Lfunc_end40:
	.size	_ZN9rocsparseL6kernelILi1024ELi32E21rocsparse_complex_numIfEiiEEvbbbT3_PS3_NS_15floating_traitsIT1_E6data_tES3_T2_PKS9_SB_PKS3_PKS6_21rocsparse_index_base_SB_SB_SD_PS6_SH_SG_SB_SB_SD_SH_SH_SG_SH_SH_PS8_SI_PKS8_, .Lfunc_end40-_ZN9rocsparseL6kernelILi1024ELi32E21rocsparse_complex_numIfEiiEEvbbbT3_PS3_NS_15floating_traitsIT1_E6data_tES3_T2_PKS9_SB_PKS3_PKS6_21rocsparse_index_base_SB_SB_SD_PS6_SH_SG_SB_SB_SD_SH_SH_SG_SH_SH_PS8_SI_PKS8_
                                        ; -- End function
	.set _ZN9rocsparseL6kernelILi1024ELi32E21rocsparse_complex_numIfEiiEEvbbbT3_PS3_NS_15floating_traitsIT1_E6data_tES3_T2_PKS9_SB_PKS3_PKS6_21rocsparse_index_base_SB_SB_SD_PS6_SH_SG_SB_SB_SD_SH_SH_SG_SH_SH_PS8_SI_PKS8_.num_vgpr, 44
	.set _ZN9rocsparseL6kernelILi1024ELi32E21rocsparse_complex_numIfEiiEEvbbbT3_PS3_NS_15floating_traitsIT1_E6data_tES3_T2_PKS9_SB_PKS3_PKS6_21rocsparse_index_base_SB_SB_SD_PS6_SH_SG_SB_SB_SD_SH_SH_SG_SH_SH_PS8_SI_PKS8_.num_agpr, 0
	.set _ZN9rocsparseL6kernelILi1024ELi32E21rocsparse_complex_numIfEiiEEvbbbT3_PS3_NS_15floating_traitsIT1_E6data_tES3_T2_PKS9_SB_PKS3_PKS6_21rocsparse_index_base_SB_SB_SD_PS6_SH_SG_SB_SB_SD_SH_SH_SG_SH_SH_PS8_SI_PKS8_.numbered_sgpr, 96
	.set _ZN9rocsparseL6kernelILi1024ELi32E21rocsparse_complex_numIfEiiEEvbbbT3_PS3_NS_15floating_traitsIT1_E6data_tES3_T2_PKS9_SB_PKS3_PKS6_21rocsparse_index_base_SB_SB_SD_PS6_SH_SG_SB_SB_SD_SH_SH_SG_SH_SH_PS8_SI_PKS8_.num_named_barrier, 0
	.set _ZN9rocsparseL6kernelILi1024ELi32E21rocsparse_complex_numIfEiiEEvbbbT3_PS3_NS_15floating_traitsIT1_E6data_tES3_T2_PKS9_SB_PKS3_PKS6_21rocsparse_index_base_SB_SB_SD_PS6_SH_SG_SB_SB_SD_SH_SH_SG_SH_SH_PS8_SI_PKS8_.private_seg_size, 0
	.set _ZN9rocsparseL6kernelILi1024ELi32E21rocsparse_complex_numIfEiiEEvbbbT3_PS3_NS_15floating_traitsIT1_E6data_tES3_T2_PKS9_SB_PKS3_PKS6_21rocsparse_index_base_SB_SB_SD_PS6_SH_SG_SB_SB_SD_SH_SH_SG_SH_SH_PS8_SI_PKS8_.uses_vcc, 1
	.set _ZN9rocsparseL6kernelILi1024ELi32E21rocsparse_complex_numIfEiiEEvbbbT3_PS3_NS_15floating_traitsIT1_E6data_tES3_T2_PKS9_SB_PKS3_PKS6_21rocsparse_index_base_SB_SB_SD_PS6_SH_SG_SB_SB_SD_SH_SH_SG_SH_SH_PS8_SI_PKS8_.uses_flat_scratch, 0
	.set _ZN9rocsparseL6kernelILi1024ELi32E21rocsparse_complex_numIfEiiEEvbbbT3_PS3_NS_15floating_traitsIT1_E6data_tES3_T2_PKS9_SB_PKS3_PKS6_21rocsparse_index_base_SB_SB_SD_PS6_SH_SG_SB_SB_SD_SH_SH_SG_SH_SH_PS8_SI_PKS8_.has_dyn_sized_stack, 0
	.set _ZN9rocsparseL6kernelILi1024ELi32E21rocsparse_complex_numIfEiiEEvbbbT3_PS3_NS_15floating_traitsIT1_E6data_tES3_T2_PKS9_SB_PKS3_PKS6_21rocsparse_index_base_SB_SB_SD_PS6_SH_SG_SB_SB_SD_SH_SH_SG_SH_SH_PS8_SI_PKS8_.has_recursion, 0
	.set _ZN9rocsparseL6kernelILi1024ELi32E21rocsparse_complex_numIfEiiEEvbbbT3_PS3_NS_15floating_traitsIT1_E6data_tES3_T2_PKS9_SB_PKS3_PKS6_21rocsparse_index_base_SB_SB_SD_PS6_SH_SG_SB_SB_SD_SH_SH_SG_SH_SH_PS8_SI_PKS8_.has_indirect_call, 0
	.section	.AMDGPU.csdata,"",@progbits
; Kernel info:
; codeLenInByte = 8072
; TotalNumSgprs: 100
; NumVgprs: 44
; ScratchSize: 0
; MemoryBound: 0
; FloatMode: 240
; IeeeMode: 1
; LDSByteSize: 256 bytes/workgroup (compile time only)
; SGPRBlocks: 12
; VGPRBlocks: 10
; NumSGPRsForWavesPerEU: 100
; NumVGPRsForWavesPerEU: 44
; Occupancy: 5
; WaveLimiterHint : 1
; COMPUTE_PGM_RSRC2:SCRATCH_EN: 0
; COMPUTE_PGM_RSRC2:USER_SGPR: 6
; COMPUTE_PGM_RSRC2:TRAP_HANDLER: 0
; COMPUTE_PGM_RSRC2:TGID_X_EN: 1
; COMPUTE_PGM_RSRC2:TGID_Y_EN: 0
; COMPUTE_PGM_RSRC2:TGID_Z_EN: 0
; COMPUTE_PGM_RSRC2:TIDIG_COMP_CNT: 0
	.section	.text._ZN9rocsparseL6kernelILi1024ELi64E21rocsparse_complex_numIfEiiEEvbbbT3_PS3_NS_15floating_traitsIT1_E6data_tES3_T2_PKS9_SB_PKS3_PKS6_21rocsparse_index_base_SB_SB_SD_PS6_SH_SG_SB_SB_SD_SH_SH_SG_SH_SH_PS8_SI_PKS8_,"axG",@progbits,_ZN9rocsparseL6kernelILi1024ELi64E21rocsparse_complex_numIfEiiEEvbbbT3_PS3_NS_15floating_traitsIT1_E6data_tES3_T2_PKS9_SB_PKS3_PKS6_21rocsparse_index_base_SB_SB_SD_PS6_SH_SG_SB_SB_SD_SH_SH_SG_SH_SH_PS8_SI_PKS8_,comdat
	.globl	_ZN9rocsparseL6kernelILi1024ELi64E21rocsparse_complex_numIfEiiEEvbbbT3_PS3_NS_15floating_traitsIT1_E6data_tES3_T2_PKS9_SB_PKS3_PKS6_21rocsparse_index_base_SB_SB_SD_PS6_SH_SG_SB_SB_SD_SH_SH_SG_SH_SH_PS8_SI_PKS8_ ; -- Begin function _ZN9rocsparseL6kernelILi1024ELi64E21rocsparse_complex_numIfEiiEEvbbbT3_PS3_NS_15floating_traitsIT1_E6data_tES3_T2_PKS9_SB_PKS3_PKS6_21rocsparse_index_base_SB_SB_SD_PS6_SH_SG_SB_SB_SD_SH_SH_SG_SH_SH_PS8_SI_PKS8_
	.p2align	8
	.type	_ZN9rocsparseL6kernelILi1024ELi64E21rocsparse_complex_numIfEiiEEvbbbT3_PS3_NS_15floating_traitsIT1_E6data_tES3_T2_PKS9_SB_PKS3_PKS6_21rocsparse_index_base_SB_SB_SD_PS6_SH_SG_SB_SB_SD_SH_SH_SG_SH_SH_PS8_SI_PKS8_,@function
_ZN9rocsparseL6kernelILi1024ELi64E21rocsparse_complex_numIfEiiEEvbbbT3_PS3_NS_15floating_traitsIT1_E6data_tES3_T2_PKS9_SB_PKS3_PKS6_21rocsparse_index_base_SB_SB_SD_PS6_SH_SG_SB_SB_SD_SH_SH_SG_SH_SH_PS8_SI_PKS8_: ; @_ZN9rocsparseL6kernelILi1024ELi64E21rocsparse_complex_numIfEiiEEvbbbT3_PS3_NS_15floating_traitsIT1_E6data_tES3_T2_PKS9_SB_PKS3_PKS6_21rocsparse_index_base_SB_SB_SD_PS6_SH_SG_SB_SB_SD_SH_SH_SG_SH_SH_PS8_SI_PKS8_
; %bb.0:
	s_load_dword s0, s[4:5], 0x0
	s_load_dwordx2 s[2:3], s[4:5], 0x0
	s_load_dwordx2 s[64:65], s[4:5], 0x10
	s_load_dwordx4 s[8:11], s[4:5], 0xb8
	v_lshrrev_b32_e32 v19, 6, v0
	s_waitcnt lgkmcnt(0)
	s_bitcmp1_b32 s0, 0
	s_cselect_b64 s[60:61], -1, 0
	s_bitcmp1_b32 s0, 8
	s_cselect_b64 s[34:35], -1, 0
	;; [unrolled: 2-line block ×3, first 2 shown]
	s_lshl_b32 s63, s6, 10
	v_or_b32_e32 v21, s63, v19
	s_cmp_gt_i32 s3, 0
	v_cmp_gt_i32_e32 vcc, s65, v21
	s_cselect_b64 s[0:1], -1, 0
	v_and_b32_e32 v20, 63, v0
	v_lshlrev_b32_e32 v17, 2, v0
	s_mov_b32 s33, 0
	v_mov_b32_e32 v1, 0
	s_and_b64 s[0:1], s[0:1], vcc
	v_mov_b32_e32 v22, 0
	v_mov_b32_e32 v18, 0
	ds_write_b32 v17, v1
	s_waitcnt lgkmcnt(0)
	s_barrier
	s_and_saveexec_b64 s[2:3], s[0:1]
	s_cbranch_execnz .LBB41_3
; %bb.1:
	s_or_b64 exec, exec, s[2:3]
	s_andn2_b64 vcc, exec, s[60:61]
	s_cbranch_vccz .LBB41_170
.LBB41_2:
	v_cmp_eq_u32_e32 vcc, 0, v0
	s_and_b64 s[0:1], vcc, s[34:35]
	s_and_saveexec_b64 s[2:3], s[0:1]
	s_cbranch_execnz .LBB41_184
	s_branch .LBB41_190
.LBB41_3:
                                        ; implicit-def: $vgpr43 : SGPR spill to VGPR lane
	s_load_dwordx4 s[56:59], s[4:5], 0xa8
	s_load_dwordx8 s[24:31], s[4:5], 0x78
	s_load_dwordx8 s[36:43], s[4:5], 0x48
	s_load_dword s62, s[4:5], 0x40
	s_load_dwordx2 s[72:73], s[4:5], 0x68
	s_load_dword s76, s[4:5], 0x70
	s_load_dwordx2 s[74:75], s[4:5], 0x98
	s_load_dword s77, s[4:5], 0xa0
	v_writelane_b32 v43, s2, 0
	s_load_dwordx8 s[44:51], s[4:5], 0x20
	v_writelane_b32 v43, s3, 1
	s_xor_b64 s[0:1], s[34:35], -1
	v_writelane_b32 v43, s0, 2
	s_and_b64 s[16:17], s[34:35], s[22:23]
	v_writelane_b32 v43, s1, 3
	s_addk_i32 s63, 0x400
	s_xor_b64 s[16:17], s[16:17], -1
	s_waitcnt lgkmcnt(0)
	v_subrev_u32_e32 v23, s62, v20
	v_cmp_gt_u32_e64 s[0:1], s63, v21
	v_cmp_eq_u32_e64 s[2:3], 63, v20
	v_lshlrev_b32_e32 v24, 2, v19
	v_cmp_gt_u32_e64 s[6:7], 8, v0
	v_cmp_gt_u32_e64 s[8:9], 4, v0
	;; [unrolled: 1-line block ×3, first 2 shown]
	v_cmp_eq_u32_e64 s[12:13], 0, v0
	v_subrev_u32_e32 v25, s76, v20
	v_subrev_u32_e32 v26, s77, v20
	v_cmp_eq_u32_e64 s[14:15], 0, v20
	v_writelane_b32 v43, s16, 4
	v_mov_b32_e32 v2, 0
	s_mov_b64 s[78:79], 0
	s_mov_b32 s52, 0xf800000
	v_mov_b32_e32 v27, 0x260
	s_movk_i32 s53, 0x1f8
	v_mov_b32_e32 v18, 0
	v_mov_b32_e32 v22, 0
	v_writelane_b32 v43, s17, 5
	s_branch .LBB41_5
.LBB41_4:                               ;   in Loop: Header=BB41_5 Depth=1
	s_or_b64 exec, exec, s[16:17]
	s_and_b64 s[16:17], exec, s[18:19]
	s_or_b64 s[78:79], s[16:17], s[78:79]
	s_andn2_b64 exec, exec, s[78:79]
	s_cbranch_execz .LBB41_169
.LBB41_5:                               ; =>This Loop Header: Depth=1
                                        ;     Child Loop BB41_9 Depth 2
                                        ;       Child Loop BB41_14 Depth 3
                                        ;         Child Loop BB41_18 Depth 4
                                        ;         Child Loop BB41_53 Depth 4
                                        ;         Child Loop BB41_69 Depth 4
                                        ;         Child Loop BB41_91 Depth 4
                                        ;         Child Loop BB41_104 Depth 4
                                        ;     Child Loop BB41_148 Depth 2
                                        ;       Child Loop BB41_151 Depth 3
                                        ;       Child Loop BB41_154 Depth 3
	v_cndmask_b32_e64 v22, v22, 0, s[34:35]
	v_cndmask_b32_e64 v18, v18, 0, s[22:23]
	s_mov_b32 s54, 0
	s_branch .LBB41_9
.LBB41_6:                               ;   in Loop: Header=BB41_9 Depth=2
	s_or_b64 exec, exec, s[84:85]
.LBB41_7:                               ;   in Loop: Header=BB41_9 Depth=2
	s_or_b64 exec, exec, s[82:83]
.LBB41_8:                               ;   in Loop: Header=BB41_9 Depth=2
	s_or_b64 exec, exec, s[80:81]
	s_add_i32 s54, s54, 1
	s_cmp_eq_u32 s54, 64
	s_cbranch_scc1 .LBB41_121
.LBB41_9:                               ;   Parent Loop BB41_5 Depth=1
                                        ; =>  This Loop Header: Depth=2
                                        ;       Child Loop BB41_14 Depth 3
                                        ;         Child Loop BB41_18 Depth 4
                                        ;         Child Loop BB41_53 Depth 4
	;; [unrolled: 1-line block ×5, first 2 shown]
	v_lshl_add_u32 v3, s54, 4, v21
	v_cmp_gt_i32_e32 vcc, s65, v3
	s_and_saveexec_b64 s[80:81], vcc
	s_cbranch_execz .LBB41_8
; %bb.10:                               ;   in Loop: Header=BB41_9 Depth=2
	v_ashrrev_i32_e32 v4, 31, v3
	v_lshlrev_b64 v[5:6], 2, v[3:4]
	v_mov_b32_e32 v1, s45
	v_add_co_u32_e32 v7, vcc, s44, v5
	v_addc_co_u32_e32 v8, vcc, v1, v6, vcc
	global_load_dword v1, v[7:8], off
	v_mov_b32_e32 v4, s47
	v_add_co_u32_e32 v7, vcc, s46, v5
	v_addc_co_u32_e32 v8, vcc, v4, v6, vcc
	global_load_dword v7, v[7:8], off
	s_waitcnt vmcnt(1)
	v_add_u32_e32 v4, v23, v1
	s_waitcnt vmcnt(0)
	v_subrev_u32_e32 v28, s62, v7
	v_cmp_lt_i32_e32 vcc, v4, v28
	s_and_saveexec_b64 s[82:83], vcc
	s_cbranch_execz .LBB41_7
; %bb.11:                               ;   in Loop: Header=BB41_9 Depth=2
	v_mov_b32_e32 v1, s39
	v_add_co_u32_e32 v7, vcc, s38, v5
	v_addc_co_u32_e32 v8, vcc, v1, v6, vcc
	v_mov_b32_e32 v1, s37
	v_add_co_u32_e32 v5, vcc, s36, v5
	v_addc_co_u32_e32 v6, vcc, v1, v6, vcc
	global_load_dword v1, v[5:6], off
	s_nop 0
	global_load_dword v5, v[7:8], off
	v_mov_b32_e32 v12, s41
	v_mov_b32_e32 v13, s43
	s_mov_b64 s[84:85], 0
	s_waitcnt vmcnt(1)
	v_subrev_u32_e32 v6, s76, v1
	v_ashrrev_i32_e32 v7, 31, v6
	v_lshlrev_b64 v[8:9], 2, v[6:7]
	v_lshlrev_b64 v[10:11], 3, v[6:7]
	v_add_co_u32_e32 v30, vcc, s40, v8
	v_addc_co_u32_e32 v31, vcc, v12, v9, vcc
	s_waitcnt vmcnt(0)
	v_sub_u32_e32 v29, v5, v1
	v_add_co_u32_e32 v32, vcc, s42, v10
	v_cmp_lt_i32_e64 s[16:17], 0, v29
	v_addc_co_u32_e32 v33, vcc, v13, v11, vcc
	s_branch .LBB41_14
.LBB41_12:                              ;   in Loop: Header=BB41_14 Depth=3
	s_or_b64 exec, exec, s[18:19]
.LBB41_13:                              ;   in Loop: Header=BB41_14 Depth=3
	s_or_b64 exec, exec, s[20:21]
	v_add_u32_e32 v4, 64, v4
	v_cmp_ge_i32_e32 vcc, v4, v28
	s_or_b64 s[84:85], vcc, s[84:85]
	s_andn2_b64 exec, exec, s[84:85]
	s_cbranch_execz .LBB41_6
.LBB41_14:                              ;   Parent Loop BB41_5 Depth=1
                                        ;     Parent Loop BB41_9 Depth=2
                                        ; =>    This Loop Header: Depth=3
                                        ;         Child Loop BB41_18 Depth 4
                                        ;         Child Loop BB41_53 Depth 4
	;; [unrolled: 1-line block ×5, first 2 shown]
	v_ashrrev_i32_e32 v5, 31, v4
	v_lshlrev_b64 v[7:8], 2, v[4:5]
	v_mov_b32_e32 v1, s49
	v_add_co_u32_e32 v7, vcc, s48, v7
	v_addc_co_u32_e32 v8, vcc, v1, v8, vcc
	global_load_dword v1, v[7:8], off
	v_mov_b32_e32 v12, s25
	v_mov_b32_e32 v13, s27
	;; [unrolled: 1-line block ×4, first 2 shown]
	s_waitcnt vmcnt(0)
	v_subrev_u32_e32 v7, s62, v1
	v_ashrrev_i32_e32 v8, 31, v7
	v_lshlrev_b64 v[9:10], 2, v[7:8]
	v_mov_b32_e32 v1, 0
	v_add_co_u32_e32 v11, vcc, s24, v9
	v_addc_co_u32_e32 v12, vcc, v12, v10, vcc
	v_add_co_u32_e32 v9, vcc, s26, v9
	v_addc_co_u32_e32 v10, vcc, v13, v10, vcc
	global_load_dword v12, v[11:12], off
	s_nop 0
	global_load_dword v9, v[9:10], off
	s_waitcnt vmcnt(1)
	v_subrev_u32_e32 v11, s77, v12
	s_waitcnt vmcnt(0)
	v_sub_u32_e32 v36, v9, v12
	v_mov_b32_e32 v12, v1
	s_and_saveexec_b64 s[18:19], s[16:17]
	s_cbranch_execz .LBB41_22
; %bb.15:                               ;   in Loop: Header=BB41_14 Depth=3
	v_ashrrev_i32_e32 v12, 31, v11
	v_lshlrev_b64 v[9:10], 2, v[11:12]
	v_mov_b32_e32 v1, s29
	v_add_co_u32_e32 v9, vcc, s28, v9
	v_lshlrev_b64 v[12:13], 3, v[11:12]
	v_addc_co_u32_e32 v10, vcc, v1, v10, vcc
	v_mov_b32_e32 v1, s31
	v_add_co_u32_e32 v14, vcc, s30, v12
	v_mov_b32_e32 v12, 0
	v_addc_co_u32_e32 v15, vcc, v1, v13, vcc
	v_mov_b32_e32 v34, 0
	s_mov_b64 s[20:21], 0
	v_mov_b32_e32 v1, v12
	v_mov_b32_e32 v35, 0
                                        ; implicit-def: $sgpr86_sgpr87
	s_branch .LBB41_18
.LBB41_16:                              ;   in Loop: Header=BB41_18 Depth=4
	s_or_b64 exec, exec, s[66:67]
	v_cmp_le_i32_e32 vcc, v16, v37
	v_addc_co_u32_e32 v1, vcc, 0, v1, vcc
	v_cmp_ge_i32_e32 vcc, v16, v37
	v_addc_co_u32_e32 v12, vcc, 0, v12, vcc
	v_cmp_ge_i32_e32 vcc, v1, v29
	s_andn2_b64 s[66:67], s[86:87], exec
	s_and_b64 s[68:69], vcc, exec
	s_or_b64 s[86:87], s[66:67], s[68:69]
.LBB41_17:                              ;   in Loop: Header=BB41_18 Depth=4
	s_or_b64 exec, exec, s[88:89]
	s_and_b64 s[66:67], exec, s[86:87]
	s_or_b64 s[20:21], s[66:67], s[20:21]
	s_andn2_b64 exec, exec, s[20:21]
	s_cbranch_execz .LBB41_21
.LBB41_18:                              ;   Parent Loop BB41_5 Depth=1
                                        ;     Parent Loop BB41_9 Depth=2
                                        ;       Parent Loop BB41_14 Depth=3
                                        ; =>      This Inner Loop Header: Depth=4
	v_cmp_lt_i32_e32 vcc, v12, v36
	s_or_b64 s[86:87], s[86:87], exec
	s_and_saveexec_b64 s[88:89], vcc
	s_cbranch_execz .LBB41_17
; %bb.19:                               ;   in Loop: Header=BB41_18 Depth=4
	v_lshlrev_b64 v[37:38], 2, v[1:2]
	v_mov_b32_e32 v13, v2
	v_add_co_u32_e32 v37, vcc, v30, v37
	v_addc_co_u32_e32 v38, vcc, v31, v38, vcc
	global_load_dword v16, v[37:38], off
	v_lshlrev_b64 v[37:38], 2, v[12:13]
	v_add_co_u32_e32 v37, vcc, v9, v37
	v_addc_co_u32_e32 v38, vcc, v10, v38, vcc
	global_load_dword v37, v[37:38], off
	s_waitcnt vmcnt(1)
	v_subrev_u32_e32 v16, s76, v16
	s_waitcnt vmcnt(0)
	v_subrev_u32_e32 v37, s77, v37
	v_cmp_eq_u32_e32 vcc, v16, v37
	s_and_saveexec_b64 s[66:67], vcc
	s_cbranch_execz .LBB41_16
; %bb.20:                               ;   in Loop: Header=BB41_18 Depth=4
	v_lshlrev_b64 v[38:39], 3, v[1:2]
	v_lshlrev_b64 v[40:41], 3, v[12:13]
	v_add_co_u32_e32 v38, vcc, v32, v38
	v_addc_co_u32_e32 v39, vcc, v33, v39, vcc
	v_add_co_u32_e32 v40, vcc, v14, v40
	v_addc_co_u32_e32 v41, vcc, v15, v41, vcc
	global_load_dwordx2 v[38:39], v[38:39], off
	s_nop 0
	global_load_dwordx2 v[40:41], v[40:41], off
	s_waitcnt vmcnt(0)
	v_fmac_f32_e32 v34, v38, v40
	v_fmac_f32_e32 v35, v39, v40
	v_fma_f32 v34, -v39, v41, v34
	v_fmac_f32_e32 v35, v38, v41
	s_branch .LBB41_16
.LBB41_21:                              ;   in Loop: Header=BB41_14 Depth=3
	s_or_b64 exec, exec, s[20:21]
.LBB41_22:                              ;   in Loop: Header=BB41_14 Depth=3
	s_or_b64 exec, exec, s[18:19]
	v_lshlrev_b64 v[9:10], 3, v[4:5]
	v_mov_b32_e32 v5, s51
	v_add_co_u32_e32 v9, vcc, s50, v9
	v_addc_co_u32_e32 v10, vcc, v5, v10, vcc
	global_load_dwordx2 v[9:10], v[9:10], off
	v_cmp_le_i32_e64 s[18:19], v3, v7
	v_cmp_gt_i32_e32 vcc, v3, v7
	s_waitcnt vmcnt(0)
	v_sub_f32_e32 v13, v9, v34
	v_sub_f32_e32 v14, v10, v35
	s_and_saveexec_b64 s[86:87], vcc
	s_cbranch_execz .LBB41_32
; %bb.23:                               ;   in Loop: Header=BB41_14 Depth=3
	v_lshlrev_b64 v[15:16], 3, v[7:8]
	v_mov_b32_e32 v5, s57
	v_add_co_u32_e32 v15, vcc, s56, v15
	v_addc_co_u32_e32 v16, vcc, v5, v16, vcc
	global_load_dwordx2 v[15:16], v[15:16], off
                                        ; implicit-def: $vgpr38
	s_waitcnt vmcnt(0)
	v_cmp_gt_f32_e32 vcc, 0, v15
	v_cndmask_b32_e64 v5, v15, -v15, vcc
	v_cmp_gt_f32_e32 vcc, 0, v16
	v_cndmask_b32_e64 v37, v16, -v16, vcc
	v_cmp_ngt_f32_e32 vcc, v5, v37
	s_and_saveexec_b64 s[20:21], vcc
	s_xor_b64 s[66:67], exec, s[20:21]
	s_cbranch_execz .LBB41_27
; %bb.24:                               ;   in Loop: Header=BB41_14 Depth=3
	v_mov_b32_e32 v38, 0
	v_cmp_neq_f32_e32 vcc, 0, v16
	s_and_saveexec_b64 s[70:71], vcc
	s_cbranch_execz .LBB41_26
; %bb.25:                               ;   in Loop: Header=BB41_14 Depth=3
	v_div_scale_f32 v38, s[20:21], v37, v37, v5
	v_div_scale_f32 v39, vcc, v5, v37, v5
	v_rcp_f32_e32 v40, v38
	v_fma_f32 v41, -v38, v40, 1.0
	v_fmac_f32_e32 v40, v41, v40
	v_mul_f32_e32 v41, v39, v40
	v_fma_f32 v42, -v38, v41, v39
	v_fmac_f32_e32 v41, v42, v40
	v_fma_f32 v38, -v38, v41, v39
	v_div_fmas_f32 v38, v38, v40, v41
	v_div_fixup_f32 v5, v38, v37, v5
	v_fma_f32 v5, v5, v5, 1.0
	v_mul_f32_e32 v38, 0x4f800000, v5
	v_cmp_gt_f32_e32 vcc, s52, v5
	v_cndmask_b32_e32 v5, v5, v38, vcc
	v_sqrt_f32_e32 v38, v5
	v_add_u32_e32 v39, -1, v38
	v_add_u32_e32 v40, 1, v38
	v_fma_f32 v41, -v39, v38, v5
	v_fma_f32 v42, -v40, v38, v5
	v_cmp_ge_f32_e64 s[20:21], 0, v41
	v_cndmask_b32_e64 v38, v38, v39, s[20:21]
	v_cmp_lt_f32_e64 s[20:21], 0, v42
	v_cndmask_b32_e64 v38, v38, v40, s[20:21]
	v_mul_f32_e32 v39, 0x37800000, v38
	v_cndmask_b32_e32 v38, v38, v39, vcc
	v_cmp_class_f32_e32 vcc, v5, v27
	v_cndmask_b32_e32 v5, v38, v5, vcc
	v_mul_f32_e32 v38, v37, v5
.LBB41_26:                              ;   in Loop: Header=BB41_14 Depth=3
	s_or_b64 exec, exec, s[70:71]
                                        ; implicit-def: $vgpr5
                                        ; implicit-def: $vgpr37
.LBB41_27:                              ;   in Loop: Header=BB41_14 Depth=3
	s_andn2_saveexec_b64 s[66:67], s[66:67]
	s_cbranch_execz .LBB41_29
; %bb.28:                               ;   in Loop: Header=BB41_14 Depth=3
	v_div_scale_f32 v38, s[20:21], v5, v5, v37
	v_div_scale_f32 v39, vcc, v37, v5, v37
	v_rcp_f32_e32 v40, v38
	v_fma_f32 v41, -v38, v40, 1.0
	v_fmac_f32_e32 v40, v41, v40
	v_mul_f32_e32 v41, v39, v40
	v_fma_f32 v42, -v38, v41, v39
	v_fmac_f32_e32 v41, v42, v40
	v_fma_f32 v38, -v38, v41, v39
	v_div_fmas_f32 v38, v38, v40, v41
	v_div_fixup_f32 v37, v38, v5, v37
	v_fma_f32 v37, v37, v37, 1.0
	v_mul_f32_e32 v38, 0x4f800000, v37
	v_cmp_gt_f32_e32 vcc, s52, v37
	v_cndmask_b32_e32 v37, v37, v38, vcc
	v_sqrt_f32_e32 v38, v37
	v_add_u32_e32 v39, -1, v38
	v_add_u32_e32 v40, 1, v38
	v_fma_f32 v41, -v39, v38, v37
	v_fma_f32 v42, -v40, v38, v37
	v_cmp_ge_f32_e64 s[20:21], 0, v41
	v_cndmask_b32_e64 v38, v38, v39, s[20:21]
	v_cmp_lt_f32_e64 s[20:21], 0, v42
	v_cndmask_b32_e64 v38, v38, v40, s[20:21]
	v_mul_f32_e32 v39, 0x37800000, v38
	v_cndmask_b32_e32 v38, v38, v39, vcc
	v_cmp_class_f32_e32 vcc, v37, v27
	v_cndmask_b32_e32 v37, v38, v37, vcc
	v_mul_f32_e32 v38, v5, v37
.LBB41_29:                              ;   in Loop: Header=BB41_14 Depth=3
	s_or_b64 exec, exec, s[66:67]
	v_mov_b32_e32 v5, 0
	v_cmp_lt_f32_e32 vcc, 0, v38
	v_mov_b32_e32 v37, 0
	s_and_saveexec_b64 s[20:21], vcc
	s_cbranch_execz .LBB41_31
; %bb.30:                               ;   in Loop: Header=BB41_14 Depth=3
	v_mul_f32_e32 v5, v16, v16
	v_fmac_f32_e32 v5, v15, v15
	v_div_scale_f32 v37, s[66:67], v5, v5, 1.0
	v_div_scale_f32 v38, vcc, 1.0, v5, 1.0
	v_rcp_f32_e32 v39, v37
	v_fma_f32 v40, -v37, v39, 1.0
	v_fmac_f32_e32 v39, v40, v39
	v_mul_f32_e32 v40, v38, v39
	v_fma_f32 v41, -v37, v40, v38
	v_fmac_f32_e32 v40, v41, v39
	v_fma_f32 v37, -v37, v40, v38
	v_div_fmas_f32 v37, v37, v39, v40
	v_mul_f32_e32 v38, v14, v16
	v_mul_f32_e64 v16, v16, -v13
	v_fmac_f32_e32 v38, v13, v15
	v_fmac_f32_e32 v16, v14, v15
	v_div_fixup_f32 v5, v37, v5, 1.0
	v_mul_f32_e32 v37, v38, v5
	v_mul_f32_e32 v5, v16, v5
.LBB41_31:                              ;   in Loop: Header=BB41_14 Depth=3
	s_or_b64 exec, exec, s[20:21]
	v_mov_b32_e32 v14, v5
	v_mov_b32_e32 v13, v37
.LBB41_32:                              ;   in Loop: Header=BB41_14 Depth=3
	s_or_b64 exec, exec, s[86:87]
	v_cmp_gt_f32_e32 vcc, 0, v13
	v_cndmask_b32_e64 v5, v13, -v13, vcc
	v_cmp_gt_f32_e32 vcc, 0, v14
	v_cndmask_b32_e64 v15, v14, -v14, vcc
	v_cmp_ngt_f32_e32 vcc, v5, v15
                                        ; implicit-def: $vgpr16
	s_and_saveexec_b64 s[20:21], vcc
	s_xor_b64 s[66:67], exec, s[20:21]
	s_cbranch_execnz .LBB41_36
; %bb.33:                               ;   in Loop: Header=BB41_14 Depth=3
	s_andn2_saveexec_b64 s[66:67], s[66:67]
	s_cbranch_execnz .LBB41_39
.LBB41_34:                              ;   in Loop: Header=BB41_14 Depth=3
	s_or_b64 exec, exec, s[66:67]
	v_cmp_class_f32_e64 s[20:21], v16, s53
	s_and_saveexec_b64 s[86:87], s[20:21]
	s_cbranch_execnz .LBB41_40
.LBB41_35:                              ;   in Loop: Header=BB41_14 Depth=3
	s_or_b64 exec, exec, s[86:87]
	s_and_b64 s[18:19], s[22:23], s[20:21]
	s_and_saveexec_b64 s[20:21], s[18:19]
	s_cbranch_execz .LBB41_13
	s_branch .LBB41_81
.LBB41_36:                              ;   in Loop: Header=BB41_14 Depth=3
	v_mov_b32_e32 v16, 0
	v_cmp_neq_f32_e32 vcc, 0, v14
	s_and_saveexec_b64 s[70:71], vcc
	s_cbranch_execz .LBB41_38
; %bb.37:                               ;   in Loop: Header=BB41_14 Depth=3
	v_div_scale_f32 v16, s[20:21], v15, v15, v5
	v_div_scale_f32 v37, vcc, v5, v15, v5
	v_rcp_f32_e32 v38, v16
	v_fma_f32 v39, -v16, v38, 1.0
	v_fmac_f32_e32 v38, v39, v38
	v_mul_f32_e32 v39, v37, v38
	v_fma_f32 v40, -v16, v39, v37
	v_fmac_f32_e32 v39, v40, v38
	v_fma_f32 v16, -v16, v39, v37
	v_div_fmas_f32 v16, v16, v38, v39
	v_div_fixup_f32 v5, v16, v15, v5
	v_fma_f32 v5, v5, v5, 1.0
	v_mul_f32_e32 v16, 0x4f800000, v5
	v_cmp_gt_f32_e32 vcc, s52, v5
	v_cndmask_b32_e32 v5, v5, v16, vcc
	v_sqrt_f32_e32 v16, v5
	v_add_u32_e32 v37, -1, v16
	v_add_u32_e32 v38, 1, v16
	v_fma_f32 v39, -v37, v16, v5
	v_fma_f32 v40, -v38, v16, v5
	v_cmp_ge_f32_e64 s[20:21], 0, v39
	v_cndmask_b32_e64 v16, v16, v37, s[20:21]
	v_cmp_lt_f32_e64 s[20:21], 0, v40
	v_cndmask_b32_e64 v16, v16, v38, s[20:21]
	v_mul_f32_e32 v37, 0x37800000, v16
	v_cndmask_b32_e32 v16, v16, v37, vcc
	v_cmp_class_f32_e32 vcc, v5, v27
	v_cndmask_b32_e32 v5, v16, v5, vcc
	v_mul_f32_e32 v16, v15, v5
.LBB41_38:                              ;   in Loop: Header=BB41_14 Depth=3
	s_or_b64 exec, exec, s[70:71]
                                        ; implicit-def: $vgpr5
                                        ; implicit-def: $vgpr15
	s_andn2_saveexec_b64 s[66:67], s[66:67]
	s_cbranch_execz .LBB41_34
.LBB41_39:                              ;   in Loop: Header=BB41_14 Depth=3
	v_div_scale_f32 v16, s[20:21], v5, v5, v15
	v_div_scale_f32 v37, vcc, v15, v5, v15
	v_rcp_f32_e32 v38, v16
	v_fma_f32 v39, -v16, v38, 1.0
	v_fmac_f32_e32 v38, v39, v38
	v_mul_f32_e32 v39, v37, v38
	v_fma_f32 v40, -v16, v39, v37
	v_fmac_f32_e32 v39, v40, v38
	v_fma_f32 v16, -v16, v39, v37
	v_div_fmas_f32 v16, v16, v38, v39
	v_div_fixup_f32 v15, v16, v5, v15
	v_fma_f32 v15, v15, v15, 1.0
	v_mul_f32_e32 v16, 0x4f800000, v15
	v_cmp_gt_f32_e32 vcc, s52, v15
	v_cndmask_b32_e32 v15, v15, v16, vcc
	v_sqrt_f32_e32 v16, v15
	v_add_u32_e32 v37, -1, v16
	v_add_u32_e32 v38, 1, v16
	v_fma_f32 v39, -v37, v16, v15
	v_fma_f32 v40, -v38, v16, v15
	v_cmp_ge_f32_e64 s[20:21], 0, v39
	v_cndmask_b32_e64 v16, v16, v37, s[20:21]
	v_cmp_lt_f32_e64 s[20:21], 0, v40
	v_cndmask_b32_e64 v16, v16, v38, s[20:21]
	v_mul_f32_e32 v37, 0x37800000, v16
	v_cndmask_b32_e32 v16, v16, v37, vcc
	v_cmp_class_f32_e32 vcc, v15, v27
	v_cndmask_b32_e32 v15, v16, v15, vcc
	v_mul_f32_e32 v16, v5, v15
	s_or_b64 exec, exec, s[66:67]
	v_cmp_class_f32_e64 s[20:21], v16, s53
	s_and_saveexec_b64 s[86:87], s[20:21]
	s_cbranch_execz .LBB41_35
.LBB41_40:                              ;   in Loop: Header=BB41_14 Depth=3
	s_and_saveexec_b64 s[66:67], s[18:19]
	s_xor_b64 s[88:89], exec, s[66:67]
	s_cbranch_execz .LBB41_65
; %bb.41:                               ;   in Loop: Header=BB41_14 Depth=3
	v_cmp_ge_i32_e32 vcc, v3, v7
	s_and_saveexec_b64 s[18:19], vcc
	s_xor_b64 s[90:91], exec, s[18:19]
	s_cbranch_execz .LBB41_49
; %bb.42:                               ;   in Loop: Header=BB41_14 Depth=3
	v_lshlrev_b64 v[15:16], 3, v[7:8]
	v_mov_b32_e32 v5, s59
	v_add_co_u32_e32 v37, vcc, s58, v15
	v_addc_co_u32_e32 v38, vcc, v5, v16, vcc
	s_andn2_b64 vcc, exec, s[34:35]
	global_store_dwordx2 v[37:38], v[13:14], off
	s_cbranch_vccnz .LBB41_48
; %bb.43:                               ;   in Loop: Header=BB41_14 Depth=3
	v_mov_b32_e32 v5, s57
	v_add_co_u32_e32 v15, vcc, s56, v15
	v_addc_co_u32_e32 v16, vcc, v5, v16, vcc
	global_load_dwordx2 v[15:16], v[15:16], off
	s_waitcnt vmcnt(0)
	v_sub_f32_e32 v5, v15, v13
	v_sub_f32_e32 v15, v16, v14
	v_cmp_gt_f32_e32 vcc, 0, v5
	v_cndmask_b32_e64 v5, v5, -v5, vcc
	v_cmp_gt_f32_e32 vcc, 0, v15
	v_cndmask_b32_e64 v13, v15, -v15, vcc
	v_cmp_ngt_f32_e32 vcc, v5, v13
                                        ; implicit-def: $vgpr14
	s_and_saveexec_b64 s[18:19], vcc
	s_xor_b64 s[66:67], exec, s[18:19]
	s_cbranch_execnz .LBB41_109
; %bb.44:                               ;   in Loop: Header=BB41_14 Depth=3
	s_andn2_saveexec_b64 s[66:67], s[66:67]
	s_cbranch_execnz .LBB41_112
.LBB41_45:                              ;   in Loop: Header=BB41_14 Depth=3
	s_or_b64 exec, exec, s[66:67]
	v_cmp_class_f32_e64 s[66:67], v14, s53
	s_and_saveexec_b64 s[18:19], s[66:67]
.LBB41_46:                              ;   in Loop: Header=BB41_14 Depth=3
	v_cmp_lt_f32_e32 vcc, v22, v14
	v_cndmask_b32_e32 v22, v22, v14, vcc
.LBB41_47:                              ;   in Loop: Header=BB41_14 Depth=3
	s_or_b64 exec, exec, s[18:19]
.LBB41_48:                              ;   in Loop: Header=BB41_14 Depth=3
                                        ; implicit-def: $vgpr13
.LBB41_49:                              ;   in Loop: Header=BB41_14 Depth=3
	s_andn2_saveexec_b64 s[90:91], s[90:91]
	s_cbranch_execz .LBB41_64
; %bb.50:                               ;   in Loop: Header=BB41_14 Depth=3
	v_cmp_lt_i32_e32 vcc, v12, v36
	s_and_saveexec_b64 s[92:93], vcc
	s_cbranch_execz .LBB41_63
; %bb.51:                               ;   in Loop: Header=BB41_14 Depth=3
	s_mov_b64 s[18:19], 0
	v_mov_b32_e32 v5, v12
                                        ; implicit-def: $sgpr94_sgpr95
                                        ; implicit-def: $sgpr70_sgpr71
                                        ; implicit-def: $sgpr66_sgpr67
	s_branch .LBB41_53
.LBB41_52:                              ;   in Loop: Header=BB41_53 Depth=4
	s_or_b64 exec, exec, s[68:69]
	s_and_b64 s[68:69], exec, s[70:71]
	s_or_b64 s[18:19], s[68:69], s[18:19]
	s_andn2_b64 s[68:69], s[94:95], exec
	s_and_b64 s[94:95], s[66:67], exec
	s_or_b64 s[94:95], s[68:69], s[94:95]
	s_andn2_b64 exec, exec, s[18:19]
	s_cbranch_execz .LBB41_55
.LBB41_53:                              ;   Parent Loop BB41_5 Depth=1
                                        ;     Parent Loop BB41_9 Depth=2
                                        ;       Parent Loop BB41_14 Depth=3
                                        ; =>      This Inner Loop Header: Depth=4
	v_add_u32_e32 v15, v11, v5
	v_ashrrev_i32_e32 v16, 31, v15
	v_lshlrev_b64 v[37:38], 2, v[15:16]
	v_mov_b32_e32 v39, s29
	v_add_co_u32_e32 v37, vcc, s28, v37
	v_addc_co_u32_e32 v38, vcc, v39, v38, vcc
	global_load_dword v37, v[37:38], off
	s_or_b64 s[66:67], s[66:67], exec
	s_or_b64 s[70:71], s[70:71], exec
	s_waitcnt vmcnt(0)
	v_subrev_u32_e32 v37, s77, v37
	v_cmp_ne_u32_e32 vcc, v37, v3
	s_and_saveexec_b64 s[68:69], vcc
	s_cbranch_execz .LBB41_52
; %bb.54:                               ;   in Loop: Header=BB41_53 Depth=4
	v_add_u32_e32 v5, 1, v5
	v_cmp_ge_i32_e32 vcc, v5, v36
	s_andn2_b64 s[70:71], s[70:71], exec
	s_and_b64 vcc, vcc, exec
	s_andn2_b64 s[66:67], s[66:67], exec
	s_or_b64 s[70:71], s[70:71], vcc
	s_branch .LBB41_52
.LBB41_55:                              ;   in Loop: Header=BB41_14 Depth=3
	s_or_b64 exec, exec, s[18:19]
	s_and_saveexec_b64 s[18:19], s[94:95]
	s_xor_b64 s[94:95], exec, s[18:19]
	s_cbranch_execz .LBB41_62
; %bb.56:                               ;   in Loop: Header=BB41_14 Depth=3
	v_lshlrev_b64 v[15:16], 3, v[15:16]
	v_mov_b32_e32 v5, s75
	v_add_co_u32_e32 v37, vcc, s74, v15
	v_addc_co_u32_e32 v38, vcc, v5, v16, vcc
	s_andn2_b64 vcc, exec, s[34:35]
	global_store_dwordx2 v[37:38], v[13:14], off
	s_cbranch_vccnz .LBB41_62
; %bb.57:                               ;   in Loop: Header=BB41_14 Depth=3
	v_mov_b32_e32 v5, s31
	v_add_co_u32_e32 v15, vcc, s30, v15
	v_addc_co_u32_e32 v16, vcc, v5, v16, vcc
	global_load_dwordx2 v[15:16], v[15:16], off
	s_waitcnt vmcnt(0)
	v_sub_f32_e32 v5, v15, v13
	v_sub_f32_e32 v15, v16, v14
	v_cmp_gt_f32_e32 vcc, 0, v5
	v_cndmask_b32_e64 v5, v5, -v5, vcc
	v_cmp_gt_f32_e32 vcc, 0, v15
	v_cndmask_b32_e64 v13, v15, -v15, vcc
	v_cmp_ngt_f32_e32 vcc, v5, v13
                                        ; implicit-def: $vgpr14
	s_and_saveexec_b64 s[18:19], vcc
	s_xor_b64 s[66:67], exec, s[18:19]
	s_cbranch_execnz .LBB41_117
; %bb.58:                               ;   in Loop: Header=BB41_14 Depth=3
	s_andn2_saveexec_b64 s[66:67], s[66:67]
	s_cbranch_execnz .LBB41_120
.LBB41_59:                              ;   in Loop: Header=BB41_14 Depth=3
	s_or_b64 exec, exec, s[66:67]
	v_cmp_class_f32_e64 s[66:67], v14, s53
	s_and_saveexec_b64 s[18:19], s[66:67]
.LBB41_60:                              ;   in Loop: Header=BB41_14 Depth=3
	v_cmp_lt_f32_e32 vcc, v22, v14
	v_cndmask_b32_e32 v22, v22, v14, vcc
.LBB41_61:                              ;   in Loop: Header=BB41_14 Depth=3
	s_or_b64 exec, exec, s[18:19]
.LBB41_62:                              ;   in Loop: Header=BB41_14 Depth=3
	s_or_b64 exec, exec, s[94:95]
.LBB41_63:                              ;   in Loop: Header=BB41_14 Depth=3
	s_or_b64 exec, exec, s[92:93]
.LBB41_64:                              ;   in Loop: Header=BB41_14 Depth=3
	s_or_b64 exec, exec, s[90:91]
                                        ; implicit-def: $vgpr13
.LBB41_65:                              ;   in Loop: Header=BB41_14 Depth=3
	s_andn2_saveexec_b64 s[88:89], s[88:89]
	s_cbranch_execz .LBB41_80
; %bb.66:                               ;   in Loop: Header=BB41_14 Depth=3
	v_cmp_lt_i32_e32 vcc, v1, v29
	s_and_saveexec_b64 s[90:91], vcc
	s_cbranch_execz .LBB41_79
; %bb.67:                               ;   in Loop: Header=BB41_14 Depth=3
	s_mov_b64 s[18:19], 0
	v_mov_b32_e32 v5, v1
                                        ; implicit-def: $sgpr92_sgpr93
                                        ; implicit-def: $sgpr70_sgpr71
                                        ; implicit-def: $sgpr66_sgpr67
	s_branch .LBB41_69
.LBB41_68:                              ;   in Loop: Header=BB41_69 Depth=4
	s_or_b64 exec, exec, s[94:95]
	s_and_b64 s[68:69], exec, s[70:71]
	s_or_b64 s[18:19], s[68:69], s[18:19]
	s_andn2_b64 s[68:69], s[92:93], exec
	s_and_b64 s[92:93], s[66:67], exec
	s_or_b64 s[92:93], s[68:69], s[92:93]
	s_andn2_b64 exec, exec, s[18:19]
	s_cbranch_execz .LBB41_71
.LBB41_69:                              ;   Parent Loop BB41_5 Depth=1
                                        ;     Parent Loop BB41_9 Depth=2
                                        ;       Parent Loop BB41_14 Depth=3
                                        ; =>      This Inner Loop Header: Depth=4
	v_add_u32_e32 v15, v6, v5
	v_ashrrev_i32_e32 v16, 31, v15
	v_lshlrev_b64 v[37:38], 2, v[15:16]
	v_mov_b32_e32 v39, s41
	v_add_co_u32_e32 v37, vcc, s40, v37
	v_addc_co_u32_e32 v38, vcc, v39, v38, vcc
	global_load_dword v37, v[37:38], off
	s_or_b64 s[66:67], s[66:67], exec
	s_or_b64 s[70:71], s[70:71], exec
	s_waitcnt vmcnt(0)
	v_subrev_u32_e32 v37, s76, v37
	v_cmp_ne_u32_e32 vcc, v37, v7
	s_and_saveexec_b64 s[94:95], vcc
	s_cbranch_execz .LBB41_68
; %bb.70:                               ;   in Loop: Header=BB41_69 Depth=4
	v_add_u32_e32 v5, 1, v5
	v_cmp_ge_i32_e32 vcc, v5, v29
	s_andn2_b64 s[68:69], s[70:71], exec
	s_and_b64 s[70:71], vcc, exec
	s_andn2_b64 s[66:67], s[66:67], exec
	s_or_b64 s[70:71], s[68:69], s[70:71]
	s_branch .LBB41_68
.LBB41_71:                              ;   in Loop: Header=BB41_14 Depth=3
	s_or_b64 exec, exec, s[18:19]
	s_and_saveexec_b64 s[18:19], s[92:93]
	s_xor_b64 s[92:93], exec, s[18:19]
	s_cbranch_execz .LBB41_78
; %bb.72:                               ;   in Loop: Header=BB41_14 Depth=3
	v_lshlrev_b64 v[15:16], 3, v[15:16]
	v_mov_b32_e32 v5, s73
	v_add_co_u32_e32 v37, vcc, s72, v15
	v_addc_co_u32_e32 v38, vcc, v5, v16, vcc
	s_andn2_b64 vcc, exec, s[34:35]
	global_store_dwordx2 v[37:38], v[13:14], off
	s_cbranch_vccnz .LBB41_78
; %bb.73:                               ;   in Loop: Header=BB41_14 Depth=3
	v_mov_b32_e32 v5, s43
	v_add_co_u32_e32 v15, vcc, s42, v15
	v_addc_co_u32_e32 v16, vcc, v5, v16, vcc
	global_load_dwordx2 v[15:16], v[15:16], off
	s_waitcnt vmcnt(0)
	v_sub_f32_e32 v5, v15, v13
	v_sub_f32_e32 v15, v16, v14
	v_cmp_gt_f32_e32 vcc, 0, v5
	v_cndmask_b32_e64 v5, v5, -v5, vcc
	v_cmp_gt_f32_e32 vcc, 0, v15
	v_cndmask_b32_e64 v13, v15, -v15, vcc
	v_cmp_ngt_f32_e32 vcc, v5, v13
                                        ; implicit-def: $vgpr14
	s_and_saveexec_b64 s[18:19], vcc
	s_xor_b64 s[66:67], exec, s[18:19]
	s_cbranch_execnz .LBB41_113
; %bb.74:                               ;   in Loop: Header=BB41_14 Depth=3
	s_andn2_saveexec_b64 s[66:67], s[66:67]
	s_cbranch_execnz .LBB41_116
.LBB41_75:                              ;   in Loop: Header=BB41_14 Depth=3
	s_or_b64 exec, exec, s[66:67]
	v_cmp_class_f32_e64 s[66:67], v14, s53
	s_and_saveexec_b64 s[18:19], s[66:67]
.LBB41_76:                              ;   in Loop: Header=BB41_14 Depth=3
	v_cmp_lt_f32_e32 vcc, v22, v14
	v_cndmask_b32_e32 v22, v22, v14, vcc
.LBB41_77:                              ;   in Loop: Header=BB41_14 Depth=3
	s_or_b64 exec, exec, s[18:19]
.LBB41_78:                              ;   in Loop: Header=BB41_14 Depth=3
	s_or_b64 exec, exec, s[92:93]
.LBB41_79:                              ;   in Loop: Header=BB41_14 Depth=3
	s_or_b64 exec, exec, s[90:91]
.LBB41_80:                              ;   in Loop: Header=BB41_14 Depth=3
	s_or_b64 exec, exec, s[88:89]
	s_or_b64 exec, exec, s[86:87]
	s_and_b64 s[18:19], s[22:23], s[20:21]
	s_and_saveexec_b64 s[20:21], s[18:19]
	s_cbranch_execz .LBB41_13
.LBB41_81:                              ;   in Loop: Header=BB41_14 Depth=3
	v_cmp_ge_i32_e32 vcc, v12, v36
	s_and_saveexec_b64 s[18:19], vcc
	s_xor_b64 s[18:19], exec, s[18:19]
	s_cbranch_execnz .LBB41_88
; %bb.82:                               ;   in Loop: Header=BB41_14 Depth=3
	s_andn2_saveexec_b64 s[18:19], s[18:19]
	s_cbranch_execnz .LBB41_102
.LBB41_83:                              ;   in Loop: Header=BB41_14 Depth=3
	s_or_b64 exec, exec, s[18:19]
	v_cmp_eq_u32_e32 vcc, v3, v7
	s_and_saveexec_b64 s[18:19], vcc
	s_cbranch_execz .LBB41_85
.LBB41_84:                              ;   in Loop: Header=BB41_14 Depth=3
	v_lshlrev_b64 v[7:8], 3, v[7:8]
	v_mov_b32_e32 v1, s57
	v_add_co_u32_e32 v7, vcc, s56, v7
	v_addc_co_u32_e32 v8, vcc, v1, v8, vcc
	global_load_dwordx2 v[7:8], v[7:8], off
	s_waitcnt vmcnt(0)
	v_add_f32_e32 v34, v34, v7
	v_add_f32_e32 v35, v35, v8
.LBB41_85:                              ;   in Loop: Header=BB41_14 Depth=3
	s_or_b64 exec, exec, s[18:19]
	v_sub_f32_e32 v1, v9, v34
	v_sub_f32_e32 v8, v10, v35
	v_cmp_gt_f32_e32 vcc, 0, v1
	v_cndmask_b32_e64 v1, v1, -v1, vcc
	v_cmp_gt_f32_e32 vcc, 0, v8
	v_cndmask_b32_e64 v5, v8, -v8, vcc
	v_cmp_ngt_f32_e32 vcc, v1, v5
                                        ; implicit-def: $vgpr7
	s_and_saveexec_b64 s[18:19], vcc
	s_xor_b64 s[66:67], exec, s[18:19]
	s_cbranch_execnz .LBB41_93
; %bb.86:                               ;   in Loop: Header=BB41_14 Depth=3
	s_andn2_saveexec_b64 s[66:67], s[66:67]
	s_cbranch_execnz .LBB41_96
.LBB41_87:                              ;   in Loop: Header=BB41_14 Depth=3
	s_or_b64 exec, exec, s[66:67]
	v_cmp_class_f32_e64 s[66:67], v7, s53
	s_and_saveexec_b64 s[18:19], s[66:67]
	s_cbranch_execz .LBB41_12
	s_branch .LBB41_97
.LBB41_88:                              ;   in Loop: Header=BB41_14 Depth=3
	v_cmp_lt_i32_e32 vcc, v1, v29
	s_and_saveexec_b64 s[86:87], vcc
	s_cbranch_execz .LBB41_101
; %bb.89:                               ;   in Loop: Header=BB41_14 Depth=3
	s_mov_b64 s[90:91], 0
                                        ; implicit-def: $sgpr88_sgpr89
                                        ; implicit-def: $sgpr70_sgpr71
                                        ; implicit-def: $sgpr66_sgpr67
	s_branch .LBB41_91
.LBB41_90:                              ;   in Loop: Header=BB41_91 Depth=4
	s_or_b64 exec, exec, s[68:69]
	s_and_b64 s[68:69], exec, s[70:71]
	s_or_b64 s[90:91], s[68:69], s[90:91]
	s_andn2_b64 s[68:69], s[88:89], exec
	s_and_b64 s[88:89], s[66:67], exec
	s_or_b64 s[88:89], s[68:69], s[88:89]
	s_andn2_b64 exec, exec, s[90:91]
	s_cbranch_execz .LBB41_98
.LBB41_91:                              ;   Parent Loop BB41_5 Depth=1
                                        ;     Parent Loop BB41_9 Depth=2
                                        ;       Parent Loop BB41_14 Depth=3
                                        ; =>      This Inner Loop Header: Depth=4
	v_add_u32_e32 v11, v6, v1
	v_ashrrev_i32_e32 v12, 31, v11
	v_lshlrev_b64 v[13:14], 2, v[11:12]
	v_mov_b32_e32 v5, s41
	v_add_co_u32_e32 v13, vcc, s40, v13
	v_addc_co_u32_e32 v14, vcc, v5, v14, vcc
	global_load_dword v5, v[13:14], off
	s_or_b64 s[66:67], s[66:67], exec
	s_or_b64 s[70:71], s[70:71], exec
	s_waitcnt vmcnt(0)
	v_subrev_u32_e32 v5, s76, v5
	v_cmp_ne_u32_e32 vcc, v5, v7
	s_and_saveexec_b64 s[68:69], vcc
	s_cbranch_execz .LBB41_90
; %bb.92:                               ;   in Loop: Header=BB41_91 Depth=4
	v_add_u32_e32 v1, 1, v1
	v_cmp_ge_i32_e32 vcc, v1, v29
	s_andn2_b64 s[70:71], s[70:71], exec
	s_and_b64 s[92:93], vcc, exec
	s_andn2_b64 s[66:67], s[66:67], exec
	s_or_b64 s[70:71], s[70:71], s[92:93]
	s_branch .LBB41_90
.LBB41_93:                              ;   in Loop: Header=BB41_14 Depth=3
	v_mov_b32_e32 v7, 0
	v_cmp_neq_f32_e32 vcc, 0, v8
	s_and_saveexec_b64 s[70:71], vcc
	s_cbranch_execz .LBB41_95
; %bb.94:                               ;   in Loop: Header=BB41_14 Depth=3
	v_div_scale_f32 v7, s[18:19], v5, v5, v1
	v_div_scale_f32 v8, vcc, v1, v5, v1
	v_rcp_f32_e32 v9, v7
	v_fma_f32 v10, -v7, v9, 1.0
	v_fmac_f32_e32 v9, v10, v9
	v_mul_f32_e32 v10, v8, v9
	v_fma_f32 v11, -v7, v10, v8
	v_fmac_f32_e32 v10, v11, v9
	v_fma_f32 v7, -v7, v10, v8
	v_div_fmas_f32 v7, v7, v9, v10
	v_div_fixup_f32 v1, v7, v5, v1
	v_fma_f32 v1, v1, v1, 1.0
	v_mul_f32_e32 v7, 0x4f800000, v1
	v_cmp_gt_f32_e32 vcc, s52, v1
	v_cndmask_b32_e32 v1, v1, v7, vcc
	v_sqrt_f32_e32 v7, v1
	v_add_u32_e32 v8, -1, v7
	v_add_u32_e32 v9, 1, v7
	v_fma_f32 v10, -v8, v7, v1
	v_fma_f32 v11, -v9, v7, v1
	v_cmp_ge_f32_e64 s[18:19], 0, v10
	v_cndmask_b32_e64 v7, v7, v8, s[18:19]
	v_cmp_lt_f32_e64 s[18:19], 0, v11
	v_cndmask_b32_e64 v7, v7, v9, s[18:19]
	v_mul_f32_e32 v8, 0x37800000, v7
	v_cndmask_b32_e32 v7, v7, v8, vcc
	v_cmp_class_f32_e32 vcc, v1, v27
	v_cndmask_b32_e32 v1, v7, v1, vcc
	v_mul_f32_e32 v7, v5, v1
.LBB41_95:                              ;   in Loop: Header=BB41_14 Depth=3
	s_or_b64 exec, exec, s[70:71]
                                        ; implicit-def: $vgpr1
                                        ; implicit-def: $vgpr5
	s_andn2_saveexec_b64 s[66:67], s[66:67]
	s_cbranch_execz .LBB41_87
.LBB41_96:                              ;   in Loop: Header=BB41_14 Depth=3
	v_div_scale_f32 v7, s[18:19], v1, v1, v5
	v_div_scale_f32 v8, vcc, v5, v1, v5
	v_rcp_f32_e32 v9, v7
	v_fma_f32 v10, -v7, v9, 1.0
	v_fmac_f32_e32 v9, v10, v9
	v_mul_f32_e32 v10, v8, v9
	v_fma_f32 v11, -v7, v10, v8
	v_fmac_f32_e32 v10, v11, v9
	v_fma_f32 v7, -v7, v10, v8
	v_div_fmas_f32 v7, v7, v9, v10
	v_div_fixup_f32 v5, v7, v1, v5
	v_fma_f32 v5, v5, v5, 1.0
	v_mul_f32_e32 v7, 0x4f800000, v5
	v_cmp_gt_f32_e32 vcc, s52, v5
	v_cndmask_b32_e32 v5, v5, v7, vcc
	v_sqrt_f32_e32 v7, v5
	v_add_u32_e32 v8, -1, v7
	v_add_u32_e32 v9, 1, v7
	v_fma_f32 v10, -v8, v7, v5
	v_fma_f32 v11, -v9, v7, v5
	v_cmp_ge_f32_e64 s[18:19], 0, v10
	v_cndmask_b32_e64 v7, v7, v8, s[18:19]
	v_cmp_lt_f32_e64 s[18:19], 0, v11
	v_cndmask_b32_e64 v7, v7, v9, s[18:19]
	v_mul_f32_e32 v8, 0x37800000, v7
	v_cndmask_b32_e32 v7, v7, v8, vcc
	v_cmp_class_f32_e32 vcc, v5, v27
	v_cndmask_b32_e32 v5, v7, v5, vcc
	v_mul_f32_e32 v7, v1, v5
	s_or_b64 exec, exec, s[66:67]
	v_cmp_class_f32_e64 s[66:67], v7, s53
	s_and_saveexec_b64 s[18:19], s[66:67]
	s_cbranch_execz .LBB41_12
.LBB41_97:                              ;   in Loop: Header=BB41_14 Depth=3
	v_cmp_lt_f32_e32 vcc, v18, v7
	v_cndmask_b32_e32 v18, v18, v7, vcc
	s_branch .LBB41_12
.LBB41_98:                              ;   in Loop: Header=BB41_14 Depth=3
	s_or_b64 exec, exec, s[90:91]
	s_and_saveexec_b64 s[66:67], s[88:89]
	s_xor_b64 s[66:67], exec, s[66:67]
	s_cbranch_execz .LBB41_100
; %bb.99:                               ;   in Loop: Header=BB41_14 Depth=3
	v_lshlrev_b64 v[11:12], 3, v[11:12]
	v_mov_b32_e32 v1, s43
	v_add_co_u32_e32 v11, vcc, s42, v11
	v_lshlrev_b64 v[13:14], 3, v[7:8]
	v_addc_co_u32_e32 v12, vcc, v1, v12, vcc
	v_mov_b32_e32 v1, s57
	v_add_co_u32_e32 v13, vcc, s56, v13
	v_addc_co_u32_e32 v14, vcc, v1, v14, vcc
	global_load_dwordx2 v[11:12], v[11:12], off
	s_nop 0
	global_load_dwordx2 v[13:14], v[13:14], off
	s_waitcnt vmcnt(0)
	v_mul_f32_e64 v1, v14, -v12
	v_mul_f32_e32 v5, v14, v11
	v_fmac_f32_e32 v1, v11, v13
	v_fmac_f32_e32 v5, v12, v13
	v_add_f32_e32 v34, v34, v1
	v_add_f32_e32 v35, v35, v5
.LBB41_100:                             ;   in Loop: Header=BB41_14 Depth=3
	s_or_b64 exec, exec, s[66:67]
.LBB41_101:                             ;   in Loop: Header=BB41_14 Depth=3
	s_or_b64 exec, exec, s[86:87]
                                        ; implicit-def: $vgpr12
                                        ; implicit-def: $vgpr11
                                        ; implicit-def: $vgpr36
	s_andn2_saveexec_b64 s[18:19], s[18:19]
	s_cbranch_execz .LBB41_83
.LBB41_102:                             ;   in Loop: Header=BB41_14 Depth=3
	s_mov_b64 s[88:89], 0
                                        ; implicit-def: $sgpr86_sgpr87
                                        ; implicit-def: $sgpr70_sgpr71
                                        ; implicit-def: $sgpr66_sgpr67
	s_branch .LBB41_104
.LBB41_103:                             ;   in Loop: Header=BB41_104 Depth=4
	s_or_b64 exec, exec, s[68:69]
	s_and_b64 s[68:69], exec, s[70:71]
	s_or_b64 s[88:89], s[68:69], s[88:89]
	s_andn2_b64 s[68:69], s[86:87], exec
	s_and_b64 s[86:87], s[66:67], exec
	s_or_b64 s[86:87], s[68:69], s[86:87]
	s_andn2_b64 exec, exec, s[88:89]
	s_cbranch_execz .LBB41_106
.LBB41_104:                             ;   Parent Loop BB41_5 Depth=1
                                        ;     Parent Loop BB41_9 Depth=2
                                        ;       Parent Loop BB41_14 Depth=3
                                        ; =>      This Inner Loop Header: Depth=4
	v_add_u32_e32 v13, v11, v12
	v_ashrrev_i32_e32 v14, 31, v13
	v_lshlrev_b64 v[15:16], 2, v[13:14]
	v_mov_b32_e32 v1, s29
	v_add_co_u32_e32 v15, vcc, s28, v15
	v_addc_co_u32_e32 v16, vcc, v1, v16, vcc
	global_load_dword v1, v[15:16], off
	s_or_b64 s[66:67], s[66:67], exec
	s_or_b64 s[70:71], s[70:71], exec
	s_waitcnt vmcnt(0)
	v_subrev_u32_e32 v1, s77, v1
	v_cmp_ne_u32_e32 vcc, v1, v3
	s_and_saveexec_b64 s[68:69], vcc
	s_cbranch_execz .LBB41_103
; %bb.105:                              ;   in Loop: Header=BB41_104 Depth=4
	v_add_u32_e32 v12, 1, v12
	v_cmp_ge_i32_e32 vcc, v12, v36
	s_andn2_b64 s[70:71], s[70:71], exec
	s_and_b64 s[90:91], vcc, exec
	s_andn2_b64 s[66:67], s[66:67], exec
	s_or_b64 s[70:71], s[70:71], s[90:91]
	s_branch .LBB41_103
.LBB41_106:                             ;   in Loop: Header=BB41_14 Depth=3
	s_or_b64 exec, exec, s[88:89]
	s_and_saveexec_b64 s[66:67], s[86:87]
	s_xor_b64 s[66:67], exec, s[66:67]
	s_cbranch_execz .LBB41_108
; %bb.107:                              ;   in Loop: Header=BB41_14 Depth=3
	v_lshlrev_b64 v[11:12], 3, v[13:14]
	v_mov_b32_e32 v1, s31
	v_add_co_u32_e32 v11, vcc, s30, v11
	v_addc_co_u32_e32 v12, vcc, v1, v12, vcc
	global_load_dwordx2 v[11:12], v[11:12], off
	s_waitcnt vmcnt(0)
	v_add_f32_e32 v34, v34, v11
	v_add_f32_e32 v35, v35, v12
.LBB41_108:                             ;   in Loop: Header=BB41_14 Depth=3
	s_or_b64 exec, exec, s[66:67]
	s_or_b64 exec, exec, s[18:19]
	v_cmp_eq_u32_e32 vcc, v3, v7
	s_and_saveexec_b64 s[18:19], vcc
	s_cbranch_execnz .LBB41_84
	s_branch .LBB41_85
.LBB41_109:                             ;   in Loop: Header=BB41_14 Depth=3
	v_mov_b32_e32 v14, 0
	v_cmp_neq_f32_e32 vcc, 0, v15
	s_and_saveexec_b64 s[70:71], vcc
	s_cbranch_execz .LBB41_111
; %bb.110:                              ;   in Loop: Header=BB41_14 Depth=3
	v_div_scale_f32 v14, s[18:19], v13, v13, v5
	v_div_scale_f32 v15, vcc, v5, v13, v5
	v_rcp_f32_e32 v16, v14
	v_fma_f32 v37, -v14, v16, 1.0
	v_fmac_f32_e32 v16, v37, v16
	v_mul_f32_e32 v37, v15, v16
	v_fma_f32 v38, -v14, v37, v15
	v_fmac_f32_e32 v37, v38, v16
	v_fma_f32 v14, -v14, v37, v15
	v_div_fmas_f32 v14, v14, v16, v37
	v_div_fixup_f32 v5, v14, v13, v5
	v_fma_f32 v5, v5, v5, 1.0
	v_mul_f32_e32 v14, 0x4f800000, v5
	v_cmp_gt_f32_e32 vcc, s52, v5
	v_cndmask_b32_e32 v5, v5, v14, vcc
	v_sqrt_f32_e32 v14, v5
	v_add_u32_e32 v15, -1, v14
	v_add_u32_e32 v16, 1, v14
	v_fma_f32 v37, -v15, v14, v5
	v_fma_f32 v38, -v16, v14, v5
	v_cmp_ge_f32_e64 s[18:19], 0, v37
	v_cndmask_b32_e64 v14, v14, v15, s[18:19]
	v_cmp_lt_f32_e64 s[18:19], 0, v38
	v_cndmask_b32_e64 v14, v14, v16, s[18:19]
	v_mul_f32_e32 v15, 0x37800000, v14
	v_cndmask_b32_e32 v14, v14, v15, vcc
	v_cmp_class_f32_e32 vcc, v5, v27
	v_cndmask_b32_e32 v5, v14, v5, vcc
	v_mul_f32_e32 v14, v13, v5
.LBB41_111:                             ;   in Loop: Header=BB41_14 Depth=3
	s_or_b64 exec, exec, s[70:71]
                                        ; implicit-def: $vgpr5
                                        ; implicit-def: $vgpr13
	s_andn2_saveexec_b64 s[66:67], s[66:67]
	s_cbranch_execz .LBB41_45
.LBB41_112:                             ;   in Loop: Header=BB41_14 Depth=3
	v_div_scale_f32 v14, s[18:19], v5, v5, v13
	v_div_scale_f32 v15, vcc, v13, v5, v13
	v_rcp_f32_e32 v16, v14
	v_fma_f32 v37, -v14, v16, 1.0
	v_fmac_f32_e32 v16, v37, v16
	v_mul_f32_e32 v37, v15, v16
	v_fma_f32 v38, -v14, v37, v15
	v_fmac_f32_e32 v37, v38, v16
	v_fma_f32 v14, -v14, v37, v15
	v_div_fmas_f32 v14, v14, v16, v37
	v_div_fixup_f32 v13, v14, v5, v13
	v_fma_f32 v13, v13, v13, 1.0
	v_mul_f32_e32 v14, 0x4f800000, v13
	v_cmp_gt_f32_e32 vcc, s52, v13
	v_cndmask_b32_e32 v13, v13, v14, vcc
	v_sqrt_f32_e32 v14, v13
	v_add_u32_e32 v15, -1, v14
	v_add_u32_e32 v16, 1, v14
	v_fma_f32 v37, -v15, v14, v13
	v_fma_f32 v38, -v16, v14, v13
	v_cmp_ge_f32_e64 s[18:19], 0, v37
	v_cndmask_b32_e64 v14, v14, v15, s[18:19]
	v_cmp_lt_f32_e64 s[18:19], 0, v38
	v_cndmask_b32_e64 v14, v14, v16, s[18:19]
	v_mul_f32_e32 v15, 0x37800000, v14
	v_cndmask_b32_e32 v14, v14, v15, vcc
	v_cmp_class_f32_e32 vcc, v13, v27
	v_cndmask_b32_e32 v13, v14, v13, vcc
	v_mul_f32_e32 v14, v5, v13
	s_or_b64 exec, exec, s[66:67]
	v_cmp_class_f32_e64 s[66:67], v14, s53
	s_and_saveexec_b64 s[18:19], s[66:67]
	s_cbranch_execnz .LBB41_46
	s_branch .LBB41_47
.LBB41_113:                             ;   in Loop: Header=BB41_14 Depth=3
	v_mov_b32_e32 v14, 0
	v_cmp_neq_f32_e32 vcc, 0, v15
	s_and_saveexec_b64 s[70:71], vcc
	s_cbranch_execz .LBB41_115
; %bb.114:                              ;   in Loop: Header=BB41_14 Depth=3
	v_div_scale_f32 v14, s[18:19], v13, v13, v5
	v_div_scale_f32 v15, vcc, v5, v13, v5
	v_rcp_f32_e32 v16, v14
	v_fma_f32 v37, -v14, v16, 1.0
	v_fmac_f32_e32 v16, v37, v16
	v_mul_f32_e32 v37, v15, v16
	v_fma_f32 v38, -v14, v37, v15
	v_fmac_f32_e32 v37, v38, v16
	v_fma_f32 v14, -v14, v37, v15
	v_div_fmas_f32 v14, v14, v16, v37
	v_div_fixup_f32 v5, v14, v13, v5
	v_fma_f32 v5, v5, v5, 1.0
	v_mul_f32_e32 v14, 0x4f800000, v5
	v_cmp_gt_f32_e32 vcc, s52, v5
	v_cndmask_b32_e32 v5, v5, v14, vcc
	v_sqrt_f32_e32 v14, v5
	v_add_u32_e32 v15, -1, v14
	v_add_u32_e32 v16, 1, v14
	v_fma_f32 v37, -v15, v14, v5
	v_fma_f32 v38, -v16, v14, v5
	v_cmp_ge_f32_e64 s[18:19], 0, v37
	v_cndmask_b32_e64 v14, v14, v15, s[18:19]
	v_cmp_lt_f32_e64 s[18:19], 0, v38
	v_cndmask_b32_e64 v14, v14, v16, s[18:19]
	v_mul_f32_e32 v15, 0x37800000, v14
	v_cndmask_b32_e32 v14, v14, v15, vcc
	v_cmp_class_f32_e32 vcc, v5, v27
	v_cndmask_b32_e32 v5, v14, v5, vcc
	v_mul_f32_e32 v14, v13, v5
.LBB41_115:                             ;   in Loop: Header=BB41_14 Depth=3
	s_or_b64 exec, exec, s[70:71]
                                        ; implicit-def: $vgpr5
                                        ; implicit-def: $vgpr13
	s_andn2_saveexec_b64 s[66:67], s[66:67]
	s_cbranch_execz .LBB41_75
.LBB41_116:                             ;   in Loop: Header=BB41_14 Depth=3
	v_div_scale_f32 v14, s[18:19], v5, v5, v13
	v_div_scale_f32 v15, vcc, v13, v5, v13
	v_rcp_f32_e32 v16, v14
	v_fma_f32 v37, -v14, v16, 1.0
	v_fmac_f32_e32 v16, v37, v16
	v_mul_f32_e32 v37, v15, v16
	v_fma_f32 v38, -v14, v37, v15
	v_fmac_f32_e32 v37, v38, v16
	v_fma_f32 v14, -v14, v37, v15
	v_div_fmas_f32 v14, v14, v16, v37
	v_div_fixup_f32 v13, v14, v5, v13
	v_fma_f32 v13, v13, v13, 1.0
	v_mul_f32_e32 v14, 0x4f800000, v13
	v_cmp_gt_f32_e32 vcc, s52, v13
	v_cndmask_b32_e32 v13, v13, v14, vcc
	v_sqrt_f32_e32 v14, v13
	v_add_u32_e32 v15, -1, v14
	v_add_u32_e32 v16, 1, v14
	v_fma_f32 v37, -v15, v14, v13
	v_fma_f32 v38, -v16, v14, v13
	v_cmp_ge_f32_e64 s[18:19], 0, v37
	v_cndmask_b32_e64 v14, v14, v15, s[18:19]
	v_cmp_lt_f32_e64 s[18:19], 0, v38
	v_cndmask_b32_e64 v14, v14, v16, s[18:19]
	v_mul_f32_e32 v15, 0x37800000, v14
	v_cndmask_b32_e32 v14, v14, v15, vcc
	v_cmp_class_f32_e32 vcc, v13, v27
	v_cndmask_b32_e32 v13, v14, v13, vcc
	v_mul_f32_e32 v14, v5, v13
	s_or_b64 exec, exec, s[66:67]
	v_cmp_class_f32_e64 s[66:67], v14, s53
	s_and_saveexec_b64 s[18:19], s[66:67]
	s_cbranch_execnz .LBB41_76
	s_branch .LBB41_77
.LBB41_117:                             ;   in Loop: Header=BB41_14 Depth=3
	v_mov_b32_e32 v14, 0
	v_cmp_neq_f32_e32 vcc, 0, v15
	s_and_saveexec_b64 s[70:71], vcc
	s_cbranch_execz .LBB41_119
; %bb.118:                              ;   in Loop: Header=BB41_14 Depth=3
	v_div_scale_f32 v14, s[18:19], v13, v13, v5
	v_div_scale_f32 v15, vcc, v5, v13, v5
	v_rcp_f32_e32 v16, v14
	v_fma_f32 v37, -v14, v16, 1.0
	v_fmac_f32_e32 v16, v37, v16
	v_mul_f32_e32 v37, v15, v16
	v_fma_f32 v38, -v14, v37, v15
	v_fmac_f32_e32 v37, v38, v16
	v_fma_f32 v14, -v14, v37, v15
	v_div_fmas_f32 v14, v14, v16, v37
	v_div_fixup_f32 v5, v14, v13, v5
	v_fma_f32 v5, v5, v5, 1.0
	v_mul_f32_e32 v14, 0x4f800000, v5
	v_cmp_gt_f32_e32 vcc, s52, v5
	v_cndmask_b32_e32 v5, v5, v14, vcc
	v_sqrt_f32_e32 v14, v5
	v_add_u32_e32 v15, -1, v14
	v_add_u32_e32 v16, 1, v14
	v_fma_f32 v37, -v15, v14, v5
	v_fma_f32 v38, -v16, v14, v5
	v_cmp_ge_f32_e64 s[18:19], 0, v37
	v_cndmask_b32_e64 v14, v14, v15, s[18:19]
	v_cmp_lt_f32_e64 s[18:19], 0, v38
	v_cndmask_b32_e64 v14, v14, v16, s[18:19]
	v_mul_f32_e32 v15, 0x37800000, v14
	v_cndmask_b32_e32 v14, v14, v15, vcc
	v_cmp_class_f32_e32 vcc, v5, v27
	v_cndmask_b32_e32 v5, v14, v5, vcc
	v_mul_f32_e32 v14, v13, v5
.LBB41_119:                             ;   in Loop: Header=BB41_14 Depth=3
	s_or_b64 exec, exec, s[70:71]
                                        ; implicit-def: $vgpr5
                                        ; implicit-def: $vgpr13
	s_andn2_saveexec_b64 s[66:67], s[66:67]
	s_cbranch_execz .LBB41_59
.LBB41_120:                             ;   in Loop: Header=BB41_14 Depth=3
	v_div_scale_f32 v14, s[18:19], v5, v5, v13
	v_div_scale_f32 v15, vcc, v13, v5, v13
	v_rcp_f32_e32 v16, v14
	v_fma_f32 v37, -v14, v16, 1.0
	v_fmac_f32_e32 v16, v37, v16
	v_mul_f32_e32 v37, v15, v16
	v_fma_f32 v38, -v14, v37, v15
	v_fmac_f32_e32 v37, v38, v16
	v_fma_f32 v14, -v14, v37, v15
	v_div_fmas_f32 v14, v14, v16, v37
	v_div_fixup_f32 v13, v14, v5, v13
	v_fma_f32 v13, v13, v13, 1.0
	v_mul_f32_e32 v14, 0x4f800000, v13
	v_cmp_gt_f32_e32 vcc, s52, v13
	v_cndmask_b32_e32 v13, v13, v14, vcc
	v_sqrt_f32_e32 v14, v13
	v_add_u32_e32 v15, -1, v14
	v_add_u32_e32 v16, 1, v14
	v_fma_f32 v37, -v15, v14, v13
	v_fma_f32 v38, -v16, v14, v13
	v_cmp_ge_f32_e64 s[18:19], 0, v37
	v_cndmask_b32_e64 v14, v14, v15, s[18:19]
	v_cmp_lt_f32_e64 s[18:19], 0, v38
	v_cndmask_b32_e64 v14, v14, v16, s[18:19]
	v_mul_f32_e32 v15, 0x37800000, v14
	v_cndmask_b32_e32 v14, v14, v15, vcc
	v_cmp_class_f32_e32 vcc, v13, v27
	v_cndmask_b32_e32 v13, v14, v13, vcc
	v_mul_f32_e32 v14, v5, v13
	s_or_b64 exec, exec, s[66:67]
	v_cmp_class_f32_e64 s[66:67], v14, s53
	s_and_saveexec_b64 s[18:19], s[66:67]
	s_cbranch_execnz .LBB41_60
	s_branch .LBB41_61
.LBB41_121:                             ;   in Loop: Header=BB41_5 Depth=1
	s_and_b64 vcc, exec, s[34:35]
	s_cbranch_vccnz .LBB41_124
; %bb.122:                              ;   in Loop: Header=BB41_5 Depth=1
	s_andn2_b64 vcc, exec, s[22:23]
	s_cbranch_vccz .LBB41_135
.LBB41_123:                             ;   in Loop: Header=BB41_5 Depth=1
	s_and_saveexec_b64 s[16:17], s[0:1]
	s_cbranch_execnz .LBB41_146
	s_branch .LBB41_157
.LBB41_124:                             ;   in Loop: Header=BB41_5 Depth=1
	v_mov_b32_dpp v1, v22 row_shr:1 row_mask:0xf bank_mask:0xf
	v_cmp_lt_f32_e32 vcc, v22, v1
	v_cndmask_b32_e32 v1, v22, v1, vcc
	s_nop 1
	v_mov_b32_dpp v3, v1 row_shr:2 row_mask:0xf bank_mask:0xf
	v_cmp_lt_f32_e32 vcc, v1, v3
	v_cndmask_b32_e32 v1, v1, v3, vcc
	s_nop 1
	;; [unrolled: 4-line block ×4, first 2 shown]
	v_mov_b32_dpp v3, v1 row_bcast:15 row_mask:0xa bank_mask:0xf
	v_cmp_lt_f32_e32 vcc, v1, v3
	v_cndmask_b32_e32 v1, v1, v3, vcc
	s_nop 1
	v_mov_b32_dpp v3, v1 row_bcast:31 row_mask:0xc bank_mask:0xf
	s_and_saveexec_b64 s[16:17], s[2:3]
; %bb.125:                              ;   in Loop: Header=BB41_5 Depth=1
	v_cmp_lt_f32_e32 vcc, v1, v3
	v_cndmask_b32_e32 v1, v1, v3, vcc
	ds_write_b32 v24, v1
; %bb.126:                              ;   in Loop: Header=BB41_5 Depth=1
	s_or_b64 exec, exec, s[16:17]
	s_waitcnt vmcnt(0) lgkmcnt(0)
	s_barrier
	s_and_saveexec_b64 s[16:17], s[6:7]
	s_cbranch_execz .LBB41_128
; %bb.127:                              ;   in Loop: Header=BB41_5 Depth=1
	ds_read2_b32 v[3:4], v17 offset1:8
	s_waitcnt lgkmcnt(0)
	v_cmp_lt_f32_e32 vcc, v3, v4
	v_cndmask_b32_e32 v1, v3, v4, vcc
	ds_write_b32 v17, v1
.LBB41_128:                             ;   in Loop: Header=BB41_5 Depth=1
	s_or_b64 exec, exec, s[16:17]
	s_waitcnt lgkmcnt(0)
	s_barrier
	s_and_saveexec_b64 s[16:17], s[8:9]
	s_cbranch_execz .LBB41_130
; %bb.129:                              ;   in Loop: Header=BB41_5 Depth=1
	ds_read2_b32 v[3:4], v17 offset1:4
	s_waitcnt lgkmcnt(0)
	v_cmp_lt_f32_e32 vcc, v3, v4
	v_cndmask_b32_e32 v1, v3, v4, vcc
	ds_write_b32 v17, v1
.LBB41_130:                             ;   in Loop: Header=BB41_5 Depth=1
	s_or_b64 exec, exec, s[16:17]
	s_waitcnt lgkmcnt(0)
	;; [unrolled: 12-line block ×3, first 2 shown]
	s_barrier
	s_and_saveexec_b64 s[16:17], s[12:13]
	s_cbranch_execz .LBB41_134
; %bb.133:                              ;   in Loop: Header=BB41_5 Depth=1
	ds_read_b64 v[3:4], v2
	s_waitcnt lgkmcnt(0)
	v_cmp_lt_f32_e32 vcc, v3, v4
	v_cndmask_b32_e32 v1, v3, v4, vcc
	ds_write_b32 v2, v1
.LBB41_134:                             ;   in Loop: Header=BB41_5 Depth=1
	s_or_b64 exec, exec, s[16:17]
	s_load_dwordx2 s[16:17], s[4:5], 0xc8
	s_waitcnt lgkmcnt(0)
	s_barrier
	ds_read_b32 v1, v2
	s_load_dword s18, s[16:17], 0x0
	s_waitcnt lgkmcnt(0)
	v_div_scale_f32 v3, s[16:17], s18, s18, v1
	v_div_scale_f32 v4, vcc, v1, s18, v1
	v_rcp_f32_e32 v5, v3
	v_fma_f32 v6, -v3, v5, 1.0
	v_fmac_f32_e32 v5, v6, v5
	v_mul_f32_e32 v6, v4, v5
	v_fma_f32 v7, -v3, v6, v4
	v_fmac_f32_e32 v6, v7, v5
	v_fma_f32 v3, -v3, v6, v4
	v_div_fmas_f32 v3, v3, v5, v6
	v_div_fixup_f32 v22, v3, s18, v1
	s_andn2_b64 vcc, exec, s[22:23]
	s_cbranch_vccnz .LBB41_123
.LBB41_135:                             ;   in Loop: Header=BB41_5 Depth=1
	v_mov_b32_dpp v1, v18 row_shr:1 row_mask:0xf bank_mask:0xf
	v_cmp_lt_f32_e32 vcc, v18, v1
	v_cndmask_b32_e32 v1, v18, v1, vcc
	s_nop 1
	v_mov_b32_dpp v3, v1 row_shr:2 row_mask:0xf bank_mask:0xf
	v_cmp_lt_f32_e32 vcc, v1, v3
	v_cndmask_b32_e32 v1, v1, v3, vcc
	s_nop 1
	;; [unrolled: 4-line block ×4, first 2 shown]
	v_mov_b32_dpp v3, v1 row_bcast:15 row_mask:0xa bank_mask:0xf
	v_cmp_lt_f32_e32 vcc, v1, v3
	v_cndmask_b32_e32 v1, v1, v3, vcc
	s_nop 1
	v_mov_b32_dpp v3, v1 row_bcast:31 row_mask:0xc bank_mask:0xf
	s_and_saveexec_b64 s[16:17], s[2:3]
; %bb.136:                              ;   in Loop: Header=BB41_5 Depth=1
	v_cmp_lt_f32_e32 vcc, v1, v3
	v_cndmask_b32_e32 v1, v1, v3, vcc
	ds_write_b32 v24, v1
; %bb.137:                              ;   in Loop: Header=BB41_5 Depth=1
	s_or_b64 exec, exec, s[16:17]
	s_waitcnt vmcnt(0) lgkmcnt(0)
	s_barrier
	s_and_saveexec_b64 s[16:17], s[6:7]
	s_cbranch_execz .LBB41_139
; %bb.138:                              ;   in Loop: Header=BB41_5 Depth=1
	ds_read2_b32 v[3:4], v17 offset1:8
	s_waitcnt lgkmcnt(0)
	v_cmp_lt_f32_e32 vcc, v3, v4
	v_cndmask_b32_e32 v1, v3, v4, vcc
	ds_write_b32 v17, v1
.LBB41_139:                             ;   in Loop: Header=BB41_5 Depth=1
	s_or_b64 exec, exec, s[16:17]
	s_waitcnt lgkmcnt(0)
	s_barrier
	s_and_saveexec_b64 s[16:17], s[8:9]
	s_cbranch_execz .LBB41_141
; %bb.140:                              ;   in Loop: Header=BB41_5 Depth=1
	ds_read2_b32 v[3:4], v17 offset1:4
	s_waitcnt lgkmcnt(0)
	v_cmp_lt_f32_e32 vcc, v3, v4
	v_cndmask_b32_e32 v1, v3, v4, vcc
	ds_write_b32 v17, v1
.LBB41_141:                             ;   in Loop: Header=BB41_5 Depth=1
	s_or_b64 exec, exec, s[16:17]
	s_waitcnt lgkmcnt(0)
	;; [unrolled: 12-line block ×3, first 2 shown]
	s_barrier
	s_and_saveexec_b64 s[16:17], s[12:13]
	s_cbranch_execz .LBB41_145
; %bb.144:                              ;   in Loop: Header=BB41_5 Depth=1
	ds_read_b64 v[3:4], v2
	s_waitcnt lgkmcnt(0)
	v_cmp_lt_f32_e32 vcc, v3, v4
	v_cndmask_b32_e32 v1, v3, v4, vcc
	ds_write_b32 v2, v1
.LBB41_145:                             ;   in Loop: Header=BB41_5 Depth=1
	s_or_b64 exec, exec, s[16:17]
	s_load_dwordx2 s[16:17], s[4:5], 0xc8
	s_waitcnt lgkmcnt(0)
	s_barrier
	ds_read_b32 v1, v2
	s_load_dword s18, s[16:17], 0x0
	s_waitcnt lgkmcnt(0)
	v_div_scale_f32 v3, s[16:17], s18, s18, v1
	v_div_scale_f32 v4, vcc, v1, s18, v1
	v_rcp_f32_e32 v5, v3
	v_fma_f32 v6, -v3, v5, 1.0
	v_fmac_f32_e32 v5, v6, v5
	v_mul_f32_e32 v6, v4, v5
	v_fma_f32 v7, -v3, v6, v4
	v_fmac_f32_e32 v6, v7, v5
	v_fma_f32 v3, -v3, v6, v4
	v_div_fmas_f32 v3, v3, v5, v6
	v_div_fixup_f32 v18, v3, s18, v1
	s_and_saveexec_b64 s[16:17], s[0:1]
	s_cbranch_execz .LBB41_157
.LBB41_146:                             ;   in Loop: Header=BB41_5 Depth=1
	s_mov_b64 s[18:19], 0
	v_mov_b32_e32 v3, v21
	s_branch .LBB41_148
.LBB41_147:                             ;   in Loop: Header=BB41_148 Depth=2
	s_or_b64 exec, exec, s[20:21]
	v_add_u32_e32 v3, 16, v3
	v_cmp_le_u32_e32 vcc, s63, v3
	s_or_b64 s[18:19], vcc, s[18:19]
	s_andn2_b64 exec, exec, s[18:19]
	s_cbranch_execz .LBB41_157
.LBB41_148:                             ;   Parent Loop BB41_5 Depth=1
                                        ; =>  This Loop Header: Depth=2
                                        ;       Child Loop BB41_151 Depth 3
                                        ;       Child Loop BB41_154 Depth 3
	v_cmp_gt_i32_e32 vcc, s65, v3
	s_and_saveexec_b64 s[20:21], vcc
	s_cbranch_execz .LBB41_147
; %bb.149:                              ;   in Loop: Header=BB41_148 Depth=2
	v_ashrrev_i32_e32 v4, 31, v3
	v_lshlrev_b64 v[5:6], 2, v[3:4]
	v_mov_b32_e32 v1, s37
	v_add_co_u32_e32 v7, vcc, s36, v5
	v_addc_co_u32_e32 v8, vcc, v1, v6, vcc
	global_load_dword v1, v[7:8], off
	v_mov_b32_e32 v8, s39
	v_add_co_u32_e32 v7, vcc, s38, v5
	v_addc_co_u32_e32 v8, vcc, v8, v6, vcc
	global_load_dword v8, v[7:8], off
	s_waitcnt vmcnt(1)
	v_add_u32_e32 v7, v25, v1
	s_waitcnt vmcnt(0)
	v_subrev_u32_e32 v1, s76, v8
	v_cmp_lt_i32_e32 vcc, v7, v1
	s_and_saveexec_b64 s[66:67], vcc
	s_cbranch_execz .LBB41_152
; %bb.150:                              ;   in Loop: Header=BB41_148 Depth=2
	v_ashrrev_i32_e32 v8, 31, v7
	v_lshlrev_b64 v[10:11], 3, v[7:8]
	v_mov_b32_e32 v9, s73
	v_add_co_u32_e32 v8, vcc, s72, v10
	v_addc_co_u32_e32 v9, vcc, v9, v11, vcc
	v_mov_b32_e32 v12, s43
	v_add_co_u32_e32 v10, vcc, s42, v10
	v_addc_co_u32_e32 v11, vcc, v12, v11, vcc
	s_mov_b64 s[70:71], 0
.LBB41_151:                             ;   Parent Loop BB41_5 Depth=1
                                        ;     Parent Loop BB41_148 Depth=2
                                        ; =>    This Inner Loop Header: Depth=3
	global_load_dwordx2 v[12:13], v[8:9], off
	v_add_co_u32_e32 v8, vcc, 0x200, v8
	v_add_u32_e32 v7, 64, v7
	v_addc_co_u32_e32 v9, vcc, 0, v9, vcc
	v_cmp_ge_i32_e32 vcc, v7, v1
	s_or_b64 s[70:71], vcc, s[70:71]
	s_waitcnt vmcnt(0)
	global_store_dwordx2 v[10:11], v[12:13], off
	v_add_co_u32_e32 v10, vcc, 0x200, v10
	v_addc_co_u32_e32 v11, vcc, 0, v11, vcc
	s_andn2_b64 exec, exec, s[70:71]
	s_cbranch_execnz .LBB41_151
.LBB41_152:                             ;   in Loop: Header=BB41_148 Depth=2
	s_or_b64 exec, exec, s[66:67]
	v_mov_b32_e32 v1, s25
	v_add_co_u32_e32 v7, vcc, s24, v5
	v_addc_co_u32_e32 v8, vcc, v1, v6, vcc
	global_load_dword v1, v[7:8], off
	v_mov_b32_e32 v7, s27
	v_add_co_u32_e32 v5, vcc, s26, v5
	v_addc_co_u32_e32 v6, vcc, v7, v6, vcc
	global_load_dword v6, v[5:6], off
	s_waitcnt vmcnt(1)
	v_add_u32_e32 v5, v26, v1
	s_waitcnt vmcnt(0)
	v_subrev_u32_e32 v1, s77, v6
	v_cmp_lt_i32_e32 vcc, v5, v1
	s_and_saveexec_b64 s[66:67], vcc
	s_cbranch_execz .LBB41_155
; %bb.153:                              ;   in Loop: Header=BB41_148 Depth=2
	v_ashrrev_i32_e32 v6, 31, v5
	v_lshlrev_b64 v[8:9], 3, v[5:6]
	v_mov_b32_e32 v7, s75
	v_add_co_u32_e32 v6, vcc, s74, v8
	v_addc_co_u32_e32 v7, vcc, v7, v9, vcc
	v_mov_b32_e32 v10, s31
	v_add_co_u32_e32 v8, vcc, s30, v8
	v_addc_co_u32_e32 v9, vcc, v10, v9, vcc
	s_mov_b64 s[70:71], 0
.LBB41_154:                             ;   Parent Loop BB41_5 Depth=1
                                        ;     Parent Loop BB41_148 Depth=2
                                        ; =>    This Inner Loop Header: Depth=3
	global_load_dwordx2 v[10:11], v[6:7], off
	v_add_co_u32_e32 v6, vcc, 0x200, v6
	v_add_u32_e32 v5, 64, v5
	v_addc_co_u32_e32 v7, vcc, 0, v7, vcc
	v_cmp_ge_i32_e32 vcc, v5, v1
	s_or_b64 s[70:71], vcc, s[70:71]
	s_waitcnt vmcnt(0)
	global_store_dwordx2 v[8:9], v[10:11], off
	v_add_co_u32_e32 v8, vcc, 0x200, v8
	v_addc_co_u32_e32 v9, vcc, 0, v9, vcc
	s_andn2_b64 exec, exec, s[70:71]
	s_cbranch_execnz .LBB41_154
.LBB41_155:                             ;   in Loop: Header=BB41_148 Depth=2
	s_or_b64 exec, exec, s[66:67]
	s_and_b64 exec, exec, s[14:15]
	s_cbranch_execz .LBB41_147
; %bb.156:                              ;   in Loop: Header=BB41_148 Depth=2
	v_lshlrev_b64 v[4:5], 3, v[3:4]
	v_mov_b32_e32 v1, s59
	v_add_co_u32_e32 v6, vcc, s58, v4
	v_addc_co_u32_e32 v7, vcc, v1, v5, vcc
	global_load_dwordx2 v[6:7], v[6:7], off
	v_mov_b32_e32 v1, s57
	v_add_co_u32_e32 v4, vcc, s56, v4
	v_addc_co_u32_e32 v5, vcc, v1, v5, vcc
	s_waitcnt vmcnt(0)
	global_store_dwordx2 v[4:5], v[6:7], off
	s_branch .LBB41_147
.LBB41_157:                             ;   in Loop: Header=BB41_5 Depth=1
	s_or_b64 exec, exec, s[16:17]
	s_mov_b64 s[18:19], -1
	s_and_b64 vcc, exec, s[60:61]
	s_mov_b64 s[20:21], -1
	s_cbranch_vccz .LBB41_167
; %bb.158:                              ;   in Loop: Header=BB41_5 Depth=1
	v_readlane_b32 s20, v43, 4
	v_readlane_b32 s21, v43, 5
	s_mov_b64 s[16:17], -1
	s_and_b64 vcc, exec, s[20:21]
                                        ; implicit-def: $sgpr20_sgpr21
	s_cbranch_vccz .LBB41_164
; %bb.159:                              ;   in Loop: Header=BB41_5 Depth=1
	v_readlane_b32 s20, v43, 2
	v_readlane_b32 s21, v43, 3
	s_and_b64 vcc, exec, s[20:21]
                                        ; implicit-def: $sgpr20_sgpr21
	s_cbranch_vccz .LBB41_161
; %bb.160:                              ;   in Loop: Header=BB41_5 Depth=1
	v_cmp_ge_f32_e64 s[20:21], s64, v18
	s_mov_b64 s[16:17], 0
.LBB41_161:                             ;   in Loop: Header=BB41_5 Depth=1
	s_andn2_b64 vcc, exec, s[16:17]
	s_cbranch_vccnz .LBB41_163
; %bb.162:                              ;   in Loop: Header=BB41_5 Depth=1
	v_cmp_ge_f32_e32 vcc, s64, v22
	s_andn2_b64 s[16:17], s[20:21], exec
	s_and_b64 s[20:21], vcc, exec
	s_or_b64 s[20:21], s[16:17], s[20:21]
.LBB41_163:                             ;   in Loop: Header=BB41_5 Depth=1
	s_mov_b64 s[16:17], 0
.LBB41_164:                             ;   in Loop: Header=BB41_5 Depth=1
	s_andn2_b64 vcc, exec, s[16:17]
	s_cbranch_vccnz .LBB41_166
; %bb.165:                              ;   in Loop: Header=BB41_5 Depth=1
	v_cmp_ge_f32_e32 vcc, s64, v22
	v_cmp_ge_f32_e64 s[16:17], s64, v18
	s_and_b64 s[16:17], vcc, s[16:17]
	s_andn2_b64 s[20:21], s[20:21], exec
	s_and_b64 s[16:17], s[16:17], exec
	s_or_b64 s[20:21], s[20:21], s[16:17]
.LBB41_166:                             ;   in Loop: Header=BB41_5 Depth=1
	s_xor_b64 s[20:21], s[20:21], -1
.LBB41_167:                             ;   in Loop: Header=BB41_5 Depth=1
	v_mov_b32_e32 v1, s33
	s_and_saveexec_b64 s[16:17], s[20:21]
	s_cbranch_execz .LBB41_4
; %bb.168:                              ;   in Loop: Header=BB41_5 Depth=1
	s_load_dwordx2 s[18:19], s[4:5], 0x0
	s_add_i32 s33, s33, 1
	s_waitcnt lgkmcnt(0)
	s_cmp_eq_u32 s33, s19
	s_mov_b32 s21, s19
	s_cselect_b64 s[18:19], -1, 0
	v_mov_b32_e32 v1, s21
	s_orn2_b64 s[18:19], s[18:19], exec
	s_branch .LBB41_4
.LBB41_169:
	s_or_b64 exec, exec, s[78:79]
	s_load_dwordx4 s[8:11], s[4:5], 0xb8
	v_readlane_b32 s2, v43, 0
	v_readlane_b32 s3, v43, 1
	s_or_b64 exec, exec, s[2:3]
	s_andn2_b64 vcc, exec, s[60:61]
	s_cbranch_vccnz .LBB41_2
.LBB41_170:
	v_mov_b32_dpp v2, v1 row_shr:1 row_mask:0xf bank_mask:0xf
	v_max_i32_e32 v1, v1, v2
	v_cmp_eq_u32_e32 vcc, 63, v20
	s_nop 0
	v_mov_b32_dpp v2, v1 row_shr:2 row_mask:0xf bank_mask:0xf
	v_max_i32_e32 v1, v1, v2
	s_nop 1
	v_mov_b32_dpp v2, v1 row_shr:4 row_mask:0xf bank_mask:0xe
	v_max_i32_e32 v1, v1, v2
	;; [unrolled: 3-line block ×3, first 2 shown]
	s_nop 1
	v_mov_b32_dpp v2, v1 row_bcast:15 row_mask:0xa bank_mask:0xf
	v_max_i32_e32 v1, v1, v2
	s_nop 1
	v_mov_b32_dpp v2, v1 row_bcast:31 row_mask:0xc bank_mask:0xf
	s_and_saveexec_b64 s[0:1], vcc
; %bb.171:
	v_lshlrev_b32_e32 v3, 2, v19
	v_max_i32_e32 v1, v1, v2
	ds_write_b32 v3, v1 offset:64
; %bb.172:
	s_or_b64 exec, exec, s[0:1]
	v_cmp_gt_u32_e32 vcc, 8, v0
	s_waitcnt vmcnt(0) lgkmcnt(0)
	s_barrier
	s_and_saveexec_b64 s[0:1], vcc
	s_cbranch_execz .LBB41_174
; %bb.173:
	ds_read2_b32 v[1:2], v17 offset0:16 offset1:24
	s_waitcnt lgkmcnt(0)
	v_max_i32_e32 v1, v1, v2
	ds_write_b32 v17, v1 offset:64
.LBB41_174:
	s_or_b64 exec, exec, s[0:1]
	v_cmp_gt_u32_e32 vcc, 4, v0
	s_waitcnt lgkmcnt(0)
	s_barrier
	s_and_saveexec_b64 s[0:1], vcc
	s_cbranch_execz .LBB41_176
; %bb.175:
	ds_read2_b32 v[1:2], v17 offset0:16 offset1:20
	s_waitcnt lgkmcnt(0)
	v_max_i32_e32 v1, v1, v2
	ds_write_b32 v17, v1 offset:64
.LBB41_176:
	s_or_b64 exec, exec, s[0:1]
	v_cmp_gt_u32_e32 vcc, 2, v0
	s_waitcnt lgkmcnt(0)
	s_barrier
	s_and_saveexec_b64 s[0:1], vcc
	s_cbranch_execz .LBB41_178
; %bb.177:
	ds_read2_b32 v[1:2], v17 offset0:16 offset1:18
	s_waitcnt lgkmcnt(0)
	v_max_i32_e32 v1, v1, v2
	ds_write_b32 v17, v1 offset:64
.LBB41_178:
	s_or_b64 exec, exec, s[0:1]
	v_cmp_eq_u32_e32 vcc, 0, v0
	s_waitcnt lgkmcnt(0)
	s_barrier
	s_and_saveexec_b64 s[0:1], vcc
	s_cbranch_execz .LBB41_180
; %bb.179:
	v_mov_b32_e32 v3, 0
	ds_read_b64 v[1:2], v3 offset:64
	s_waitcnt lgkmcnt(0)
	v_max_i32_e32 v1, v1, v2
	ds_write_b32 v3, v1 offset:64
.LBB41_180:
	s_or_b64 exec, exec, s[0:1]
	s_waitcnt lgkmcnt(0)
	s_barrier
	s_and_saveexec_b64 s[0:1], vcc
	s_cbranch_execz .LBB41_183
; %bb.181:
	v_mbcnt_lo_u32_b32 v1, exec_lo, 0
	v_mbcnt_hi_u32_b32 v1, exec_hi, v1
	v_cmp_eq_u32_e32 vcc, 0, v1
	s_and_b64 exec, exec, vcc
	s_cbranch_execz .LBB41_183
; %bb.182:
	v_mov_b32_e32 v1, 0
	ds_read_b32 v2, v1 offset:64
	s_load_dwordx2 s[2:3], s[4:5], 0x8
	s_waitcnt lgkmcnt(0)
	v_add_u32_e32 v2, 1, v2
	global_atomic_smax v1, v2, s[2:3]
.LBB41_183:
	s_or_b64 exec, exec, s[0:1]
	v_cmp_eq_u32_e32 vcc, 0, v0
	s_and_b64 s[0:1], vcc, s[34:35]
	s_and_saveexec_b64 s[2:3], s[0:1]
	s_cbranch_execz .LBB41_190
.LBB41_184:
	s_mov_b64 s[0:1], exec
	v_mov_b32_e32 v0, 0x7fc00000
.LBB41_185:                             ; =>This Inner Loop Header: Depth=1
	s_ff1_i32_b64 s4, s[0:1]
	v_readlane_b32 s6, v22, s4
	s_lshl_b64 s[4:5], 1, s4
	v_max_f32_e32 v0, v0, v0
	v_max_f32_e64 v1, s6, s6
	s_andn2_b64 s[0:1], s[0:1], s[4:5]
	s_cmp_lg_u64 s[0:1], 0
	v_max_f32_e32 v0, v0, v1
	s_cbranch_scc1 .LBB41_185
; %bb.186:
	v_mbcnt_lo_u32_b32 v1, exec_lo, 0
	v_mbcnt_hi_u32_b32 v1, exec_hi, v1
	v_cmp_eq_u32_e64 s[0:1], 0, v1
	s_and_saveexec_b64 s[4:5], s[0:1]
	s_xor_b64 s[4:5], exec, s[4:5]
	s_cbranch_execz .LBB41_190
; %bb.187:
	v_mov_b32_e32 v2, 0
	s_waitcnt lgkmcnt(0)
	global_load_dword v1, v2, s[8:9]
	s_mov_b64 s[4:5], 0
	v_max_f32_e32 v3, v0, v0
.LBB41_188:                             ; =>This Inner Loop Header: Depth=1
	s_waitcnt vmcnt(0)
	v_max_f32_e32 v0, v1, v1
	v_max_f32_e32 v0, v0, v3
	global_atomic_cmpswap v0, v2, v[0:1], s[8:9] glc
	s_waitcnt vmcnt(0)
	v_cmp_eq_u32_e64 s[0:1], v0, v1
	s_or_b64 s[4:5], s[0:1], s[4:5]
	v_mov_b32_e32 v1, v0
	s_andn2_b64 exec, exec, s[4:5]
	s_cbranch_execnz .LBB41_188
; %bb.189:
	s_or_b64 exec, exec, s[4:5]
.LBB41_190:
	s_or_b64 exec, exec, s[2:3]
	s_and_b64 s[0:1], vcc, s[22:23]
	s_and_saveexec_b64 s[2:3], s[0:1]
	s_cbranch_execz .LBB41_196
; %bb.191:
	s_mov_b64 s[0:1], exec
	v_mov_b32_e32 v0, 0x7fc00000
.LBB41_192:                             ; =>This Inner Loop Header: Depth=1
	s_ff1_i32_b64 s2, s[0:1]
	v_readlane_b32 s4, v18, s2
	s_lshl_b64 s[2:3], 1, s2
	v_max_f32_e32 v0, v0, v0
	v_max_f32_e64 v1, s4, s4
	s_andn2_b64 s[0:1], s[0:1], s[2:3]
	s_cmp_lg_u64 s[0:1], 0
	v_max_f32_e32 v0, v0, v1
	s_cbranch_scc1 .LBB41_192
; %bb.193:
	v_mbcnt_lo_u32_b32 v1, exec_lo, 0
	v_mbcnt_hi_u32_b32 v1, exec_hi, v1
	v_cmp_eq_u32_e32 vcc, 0, v1
	s_and_saveexec_b64 s[0:1], vcc
	s_xor_b64 s[0:1], exec, s[0:1]
	s_cbranch_execz .LBB41_196
; %bb.194:
	v_mov_b32_e32 v2, 0
	s_waitcnt lgkmcnt(0)
	global_load_dword v1, v2, s[10:11]
	s_mov_b64 s[0:1], 0
	v_max_f32_e32 v3, v0, v0
.LBB41_195:                             ; =>This Inner Loop Header: Depth=1
	s_waitcnt vmcnt(0)
	v_max_f32_e32 v0, v1, v1
	v_max_f32_e32 v0, v0, v3
	global_atomic_cmpswap v0, v2, v[0:1], s[10:11] glc
	s_waitcnt vmcnt(0)
	v_cmp_eq_u32_e32 vcc, v0, v1
	s_or_b64 s[0:1], vcc, s[0:1]
	v_mov_b32_e32 v1, v0
	s_andn2_b64 exec, exec, s[0:1]
	s_cbranch_execnz .LBB41_195
.LBB41_196:
	s_endpgm
	.section	.rodata,"a",@progbits
	.p2align	6, 0x0
	.amdhsa_kernel _ZN9rocsparseL6kernelILi1024ELi64E21rocsparse_complex_numIfEiiEEvbbbT3_PS3_NS_15floating_traitsIT1_E6data_tES3_T2_PKS9_SB_PKS3_PKS6_21rocsparse_index_base_SB_SB_SD_PS6_SH_SG_SB_SB_SD_SH_SH_SG_SH_SH_PS8_SI_PKS8_
		.amdhsa_group_segment_fixed_size 128
		.amdhsa_private_segment_fixed_size 0
		.amdhsa_kernarg_size 208
		.amdhsa_user_sgpr_count 6
		.amdhsa_user_sgpr_private_segment_buffer 1
		.amdhsa_user_sgpr_dispatch_ptr 0
		.amdhsa_user_sgpr_queue_ptr 0
		.amdhsa_user_sgpr_kernarg_segment_ptr 1
		.amdhsa_user_sgpr_dispatch_id 0
		.amdhsa_user_sgpr_flat_scratch_init 0
		.amdhsa_user_sgpr_private_segment_size 0
		.amdhsa_uses_dynamic_stack 0
		.amdhsa_system_sgpr_private_segment_wavefront_offset 0
		.amdhsa_system_sgpr_workgroup_id_x 1
		.amdhsa_system_sgpr_workgroup_id_y 0
		.amdhsa_system_sgpr_workgroup_id_z 0
		.amdhsa_system_sgpr_workgroup_info 0
		.amdhsa_system_vgpr_workitem_id 0
		.amdhsa_next_free_vgpr 44
		.amdhsa_next_free_sgpr 96
		.amdhsa_reserve_vcc 1
		.amdhsa_reserve_flat_scratch 0
		.amdhsa_float_round_mode_32 0
		.amdhsa_float_round_mode_16_64 0
		.amdhsa_float_denorm_mode_32 3
		.amdhsa_float_denorm_mode_16_64 3
		.amdhsa_dx10_clamp 1
		.amdhsa_ieee_mode 1
		.amdhsa_fp16_overflow 0
		.amdhsa_exception_fp_ieee_invalid_op 0
		.amdhsa_exception_fp_denorm_src 0
		.amdhsa_exception_fp_ieee_div_zero 0
		.amdhsa_exception_fp_ieee_overflow 0
		.amdhsa_exception_fp_ieee_underflow 0
		.amdhsa_exception_fp_ieee_inexact 0
		.amdhsa_exception_int_div_zero 0
	.end_amdhsa_kernel
	.section	.text._ZN9rocsparseL6kernelILi1024ELi64E21rocsparse_complex_numIfEiiEEvbbbT3_PS3_NS_15floating_traitsIT1_E6data_tES3_T2_PKS9_SB_PKS3_PKS6_21rocsparse_index_base_SB_SB_SD_PS6_SH_SG_SB_SB_SD_SH_SH_SG_SH_SH_PS8_SI_PKS8_,"axG",@progbits,_ZN9rocsparseL6kernelILi1024ELi64E21rocsparse_complex_numIfEiiEEvbbbT3_PS3_NS_15floating_traitsIT1_E6data_tES3_T2_PKS9_SB_PKS3_PKS6_21rocsparse_index_base_SB_SB_SD_PS6_SH_SG_SB_SB_SD_SH_SH_SG_SH_SH_PS8_SI_PKS8_,comdat
.Lfunc_end41:
	.size	_ZN9rocsparseL6kernelILi1024ELi64E21rocsparse_complex_numIfEiiEEvbbbT3_PS3_NS_15floating_traitsIT1_E6data_tES3_T2_PKS9_SB_PKS3_PKS6_21rocsparse_index_base_SB_SB_SD_PS6_SH_SG_SB_SB_SD_SH_SH_SG_SH_SH_PS8_SI_PKS8_, .Lfunc_end41-_ZN9rocsparseL6kernelILi1024ELi64E21rocsparse_complex_numIfEiiEEvbbbT3_PS3_NS_15floating_traitsIT1_E6data_tES3_T2_PKS9_SB_PKS3_PKS6_21rocsparse_index_base_SB_SB_SD_PS6_SH_SG_SB_SB_SD_SH_SH_SG_SH_SH_PS8_SI_PKS8_
                                        ; -- End function
	.set _ZN9rocsparseL6kernelILi1024ELi64E21rocsparse_complex_numIfEiiEEvbbbT3_PS3_NS_15floating_traitsIT1_E6data_tES3_T2_PKS9_SB_PKS3_PKS6_21rocsparse_index_base_SB_SB_SD_PS6_SH_SG_SB_SB_SD_SH_SH_SG_SH_SH_PS8_SI_PKS8_.num_vgpr, 44
	.set _ZN9rocsparseL6kernelILi1024ELi64E21rocsparse_complex_numIfEiiEEvbbbT3_PS3_NS_15floating_traitsIT1_E6data_tES3_T2_PKS9_SB_PKS3_PKS6_21rocsparse_index_base_SB_SB_SD_PS6_SH_SG_SB_SB_SD_SH_SH_SG_SH_SH_PS8_SI_PKS8_.num_agpr, 0
	.set _ZN9rocsparseL6kernelILi1024ELi64E21rocsparse_complex_numIfEiiEEvbbbT3_PS3_NS_15floating_traitsIT1_E6data_tES3_T2_PKS9_SB_PKS3_PKS6_21rocsparse_index_base_SB_SB_SD_PS6_SH_SG_SB_SB_SD_SH_SH_SG_SH_SH_PS8_SI_PKS8_.numbered_sgpr, 96
	.set _ZN9rocsparseL6kernelILi1024ELi64E21rocsparse_complex_numIfEiiEEvbbbT3_PS3_NS_15floating_traitsIT1_E6data_tES3_T2_PKS9_SB_PKS3_PKS6_21rocsparse_index_base_SB_SB_SD_PS6_SH_SG_SB_SB_SD_SH_SH_SG_SH_SH_PS8_SI_PKS8_.num_named_barrier, 0
	.set _ZN9rocsparseL6kernelILi1024ELi64E21rocsparse_complex_numIfEiiEEvbbbT3_PS3_NS_15floating_traitsIT1_E6data_tES3_T2_PKS9_SB_PKS3_PKS6_21rocsparse_index_base_SB_SB_SD_PS6_SH_SG_SB_SB_SD_SH_SH_SG_SH_SH_PS8_SI_PKS8_.private_seg_size, 0
	.set _ZN9rocsparseL6kernelILi1024ELi64E21rocsparse_complex_numIfEiiEEvbbbT3_PS3_NS_15floating_traitsIT1_E6data_tES3_T2_PKS9_SB_PKS3_PKS6_21rocsparse_index_base_SB_SB_SD_PS6_SH_SG_SB_SB_SD_SH_SH_SG_SH_SH_PS8_SI_PKS8_.uses_vcc, 1
	.set _ZN9rocsparseL6kernelILi1024ELi64E21rocsparse_complex_numIfEiiEEvbbbT3_PS3_NS_15floating_traitsIT1_E6data_tES3_T2_PKS9_SB_PKS3_PKS6_21rocsparse_index_base_SB_SB_SD_PS6_SH_SG_SB_SB_SD_SH_SH_SG_SH_SH_PS8_SI_PKS8_.uses_flat_scratch, 0
	.set _ZN9rocsparseL6kernelILi1024ELi64E21rocsparse_complex_numIfEiiEEvbbbT3_PS3_NS_15floating_traitsIT1_E6data_tES3_T2_PKS9_SB_PKS3_PKS6_21rocsparse_index_base_SB_SB_SD_PS6_SH_SG_SB_SB_SD_SH_SH_SG_SH_SH_PS8_SI_PKS8_.has_dyn_sized_stack, 0
	.set _ZN9rocsparseL6kernelILi1024ELi64E21rocsparse_complex_numIfEiiEEvbbbT3_PS3_NS_15floating_traitsIT1_E6data_tES3_T2_PKS9_SB_PKS3_PKS6_21rocsparse_index_base_SB_SB_SD_PS6_SH_SG_SB_SB_SD_SH_SH_SG_SH_SH_PS8_SI_PKS8_.has_recursion, 0
	.set _ZN9rocsparseL6kernelILi1024ELi64E21rocsparse_complex_numIfEiiEEvbbbT3_PS3_NS_15floating_traitsIT1_E6data_tES3_T2_PKS9_SB_PKS3_PKS6_21rocsparse_index_base_SB_SB_SD_PS6_SH_SG_SB_SB_SD_SH_SH_SG_SH_SH_PS8_SI_PKS8_.has_indirect_call, 0
	.section	.AMDGPU.csdata,"",@progbits
; Kernel info:
; codeLenInByte = 7872
; TotalNumSgprs: 100
; NumVgprs: 44
; ScratchSize: 0
; MemoryBound: 0
; FloatMode: 240
; IeeeMode: 1
; LDSByteSize: 128 bytes/workgroup (compile time only)
; SGPRBlocks: 12
; VGPRBlocks: 10
; NumSGPRsForWavesPerEU: 100
; NumVGPRsForWavesPerEU: 44
; Occupancy: 5
; WaveLimiterHint : 1
; COMPUTE_PGM_RSRC2:SCRATCH_EN: 0
; COMPUTE_PGM_RSRC2:USER_SGPR: 6
; COMPUTE_PGM_RSRC2:TRAP_HANDLER: 0
; COMPUTE_PGM_RSRC2:TGID_X_EN: 1
; COMPUTE_PGM_RSRC2:TGID_Y_EN: 0
; COMPUTE_PGM_RSRC2:TGID_Z_EN: 0
; COMPUTE_PGM_RSRC2:TIDIG_COMP_CNT: 0
	.section	.text._ZN9rocsparseL14kernel_freerunILi1024ELi1E21rocsparse_complex_numIdEiiEEvT3_S3_T2_PKS4_S6_PKS3_PKT1_21rocsparse_index_base_S6_S6_S8_PS9_SD_SC_S6_S6_S8_SD_SD_SC_SD_SD_,"axG",@progbits,_ZN9rocsparseL14kernel_freerunILi1024ELi1E21rocsparse_complex_numIdEiiEEvT3_S3_T2_PKS4_S6_PKS3_PKT1_21rocsparse_index_base_S6_S6_S8_PS9_SD_SC_S6_S6_S8_SD_SD_SC_SD_SD_,comdat
	.globl	_ZN9rocsparseL14kernel_freerunILi1024ELi1E21rocsparse_complex_numIdEiiEEvT3_S3_T2_PKS4_S6_PKS3_PKT1_21rocsparse_index_base_S6_S6_S8_PS9_SD_SC_S6_S6_S8_SD_SD_SC_SD_SD_ ; -- Begin function _ZN9rocsparseL14kernel_freerunILi1024ELi1E21rocsparse_complex_numIdEiiEEvT3_S3_T2_PKS4_S6_PKS3_PKT1_21rocsparse_index_base_S6_S6_S8_PS9_SD_SC_S6_S6_S8_SD_SD_SC_SD_SD_
	.p2align	8
	.type	_ZN9rocsparseL14kernel_freerunILi1024ELi1E21rocsparse_complex_numIdEiiEEvT3_S3_T2_PKS4_S6_PKS3_PKT1_21rocsparse_index_base_S6_S6_S8_PS9_SD_SC_S6_S6_S8_SD_SD_SC_SD_SD_,@function
_ZN9rocsparseL14kernel_freerunILi1024ELi1E21rocsparse_complex_numIdEiiEEvT3_S3_T2_PKS4_S6_PKS3_PKT1_21rocsparse_index_base_S6_S6_S8_PS9_SD_SC_S6_S6_S8_SD_SD_SC_SD_SD_: ; @_ZN9rocsparseL14kernel_freerunILi1024ELi1E21rocsparse_complex_numIdEiiEEvT3_S3_T2_PKS4_S6_PKS3_PKT1_21rocsparse_index_base_S6_S6_S8_PS9_SD_SC_S6_S6_S8_SD_SD_SC_SD_SD_
; %bb.0:
	s_load_dwordx2 s[34:35], s[4:5], 0x0
	s_lshl_b32 s67, s6, 10
	v_or_b32_e32 v4, s67, v0
	s_mov_b32 s33, 0
	s_waitcnt lgkmcnt(0)
	s_cmp_gt_i32 s34, 0
	v_cmp_gt_i32_e32 vcc, s35, v4
	s_cselect_b64 s[0:1], -1, 0
	s_and_b64 s[0:1], vcc, s[0:1]
	s_and_saveexec_b64 s[2:3], s[0:1]
	s_cbranch_execz .LBB42_68
; %bb.1:
	s_load_dwordx8 s[8:15], s[4:5], 0x38
	s_load_dwordx8 s[16:23], s[4:5], 0x10
	v_ashrrev_i32_e32 v5, 31, v4
	v_lshlrev_b64 v[0:1], 2, v[4:5]
	s_addk_i32 s67, 0x400
	s_waitcnt lgkmcnt(0)
	v_mov_b32_e32 v3, s11
	v_add_co_u32_e32 v2, vcc, s10, v0
	v_addc_co_u32_e32 v3, vcc, v3, v1, vcc
	global_load_dword v5, v[2:3], off
	v_mov_b32_e32 v3, s9
	v_add_co_u32_e32 v2, vcc, s8, v0
	v_addc_co_u32_e32 v3, vcc, v3, v1, vcc
	global_load_dword v7, v[2:3], off
	v_mov_b32_e32 v3, s17
	v_add_co_u32_e32 v2, vcc, s16, v0
	v_addc_co_u32_e32 v3, vcc, v3, v1, vcc
	global_load_dword v2, v[2:3], off
	v_mov_b32_e32 v3, s19
	v_add_co_u32_e32 v0, vcc, s18, v0
	v_addc_co_u32_e32 v1, vcc, v3, v1, vcc
	global_load_dword v0, v[0:1], off
	s_load_dwordx4 s[16:19], s[4:5], 0x98
	s_load_dwordx8 s[24:31], s[4:5], 0x68
	s_load_dword s64, s[4:5], 0x30
	s_load_dwordx2 s[36:37], s[4:5], 0x58
	s_load_dword s65, s[4:5], 0x60
	s_load_dwordx2 s[38:39], s[4:5], 0x88
	s_load_dword s66, s[4:5], 0x90
	v_mov_b32_e32 v9, s13
	s_mov_b32 s40, 0
	v_mov_b32_e32 v10, s15
	v_mov_b32_e32 v6, 0
	s_brev_b32 s41, 8
	v_mov_b32_e32 v23, 0x260
	s_movk_i32 s68, 0x1f8
	v_mov_b32_e32 v24, 0x100
	v_cmp_gt_u32_e64 s[0:1], s67, v4
	v_mov_b32_e32 v32, 0xffffff80
	s_waitcnt vmcnt(2)
	v_sub_u32_e32 v25, v5, v7
	s_waitcnt lgkmcnt(0)
	v_subrev_u32_e32 v7, s65, v7
	v_ashrrev_i32_e32 v8, 31, v7
	v_cmp_lt_i32_e64 s[4:5], 0, v25
	s_waitcnt vmcnt(1)
	v_subrev_u32_e32 v26, s64, v2
	s_waitcnt vmcnt(0)
	v_subrev_u32_e32 v27, s64, v0
	v_cmp_lt_i32_e64 s[2:3], v2, v0
	v_lshlrev_b64 v[0:1], 2, v[7:8]
	v_lshlrev_b64 v[2:3], 4, v[7:8]
	v_add_co_u32_e32 v28, vcc, s12, v0
	v_addc_co_u32_e32 v29, vcc, v9, v1, vcc
	v_add_co_u32_e32 v30, vcc, s14, v2
	v_addc_co_u32_e32 v31, vcc, v10, v3, vcc
	s_branch .LBB42_3
.LBB42_2:                               ;   in Loop: Header=BB42_3 Depth=1
	s_or_b64 exec, exec, s[6:7]
	s_add_i32 s33, s33, 1
	s_cmp_eq_u32 s33, s34
	s_cbranch_scc1 .LBB42_68
.LBB42_3:                               ; =>This Loop Header: Depth=1
                                        ;     Child Loop BB42_6 Depth 2
                                        ;       Child Loop BB42_10 Depth 3
                                        ;       Child Loop BB42_40 Depth 3
	;; [unrolled: 1-line block ×3, first 2 shown]
                                        ;     Child Loop BB42_61 Depth 2
                                        ;       Child Loop BB42_64 Depth 3
                                        ;       Child Loop BB42_67 Depth 3
	s_and_saveexec_b64 s[42:43], s[2:3]
	s_cbranch_execz .LBB42_57
; %bb.4:                                ;   in Loop: Header=BB42_3 Depth=1
	s_mov_b64 s[44:45], 0
	v_mov_b32_e32 v8, v26
	s_branch .LBB42_6
.LBB42_5:                               ;   in Loop: Header=BB42_6 Depth=2
	s_or_b64 exec, exec, s[46:47]
	v_add_u32_e32 v8, 1, v8
	v_cmp_ge_i32_e32 vcc, v8, v27
	s_or_b64 s[44:45], vcc, s[44:45]
	s_andn2_b64 exec, exec, s[44:45]
	s_cbranch_execz .LBB42_57
.LBB42_6:                               ;   Parent Loop BB42_3 Depth=1
                                        ; =>  This Loop Header: Depth=2
                                        ;       Child Loop BB42_10 Depth 3
                                        ;       Child Loop BB42_40 Depth 3
	;; [unrolled: 1-line block ×3, first 2 shown]
	v_ashrrev_i32_e32 v9, 31, v8
	v_lshlrev_b64 v[0:1], 2, v[8:9]
	v_mov_b32_e32 v2, s21
	v_add_co_u32_e32 v0, vcc, s20, v0
	v_addc_co_u32_e32 v1, vcc, v2, v1, vcc
	global_load_dword v0, v[0:1], off
	v_mov_b32_e32 v3, s25
	v_mov_b32_e32 v5, s27
	s_waitcnt vmcnt(0)
	v_subrev_u32_e32 v11, s64, v0
	v_ashrrev_i32_e32 v12, 31, v11
	v_lshlrev_b64 v[0:1], 2, v[11:12]
	v_add_co_u32_e32 v2, vcc, s24, v0
	v_addc_co_u32_e32 v3, vcc, v3, v1, vcc
	v_add_co_u32_e32 v0, vcc, s26, v0
	v_addc_co_u32_e32 v1, vcc, v5, v1, vcc
	global_load_dword v10, v[2:3], off
	global_load_dword v14, v[0:1], off
	v_mov_b32_e32 v5, 0
	v_mov_b32_e32 v0, 0
	;; [unrolled: 1-line block ×5, first 2 shown]
	s_waitcnt vmcnt(1)
	v_subrev_u32_e32 v13, s66, v10
	s_waitcnt vmcnt(0)
	v_sub_u32_e32 v33, v14, v10
	v_mov_b32_e32 v14, v5
	s_and_saveexec_b64 s[6:7], s[4:5]
	s_cbranch_execz .LBB42_14
; %bb.7:                                ;   in Loop: Header=BB42_6 Depth=2
	v_ashrrev_i32_e32 v14, 31, v13
	v_lshlrev_b64 v[0:1], 2, v[13:14]
	v_mov_b32_e32 v2, s29
	v_add_co_u32_e32 v10, vcc, s28, v0
	v_addc_co_u32_e32 v16, vcc, v2, v1, vcc
	v_lshlrev_b64 v[0:1], 4, v[13:14]
	v_mov_b32_e32 v2, s31
	v_add_co_u32_e32 v17, vcc, s30, v0
	v_addc_co_u32_e32 v18, vcc, v2, v1, vcc
	v_mov_b32_e32 v0, 0
	v_mov_b32_e32 v14, 0
	;; [unrolled: 1-line block ×4, first 2 shown]
	s_mov_b64 s[46:47], 0
	v_mov_b32_e32 v3, 0
	v_mov_b32_e32 v5, v14
                                        ; implicit-def: $sgpr48_sgpr49
	s_branch .LBB42_10
.LBB42_8:                               ;   in Loop: Header=BB42_10 Depth=3
	s_or_b64 exec, exec, s[52:53]
	v_cmp_le_i32_e32 vcc, v19, v20
	v_addc_co_u32_e32 v5, vcc, 0, v5, vcc
	v_cmp_ge_i32_e32 vcc, v19, v20
	v_addc_co_u32_e32 v14, vcc, 0, v14, vcc
	v_cmp_ge_i32_e32 vcc, v5, v25
	s_andn2_b64 s[48:49], s[48:49], exec
	s_and_b64 s[52:53], vcc, exec
	s_or_b64 s[48:49], s[48:49], s[52:53]
.LBB42_9:                               ;   in Loop: Header=BB42_10 Depth=3
	s_or_b64 exec, exec, s[50:51]
	s_and_b64 s[50:51], exec, s[48:49]
	s_or_b64 s[46:47], s[50:51], s[46:47]
	s_andn2_b64 exec, exec, s[46:47]
	s_cbranch_execz .LBB42_13
.LBB42_10:                              ;   Parent Loop BB42_3 Depth=1
                                        ;     Parent Loop BB42_6 Depth=2
                                        ; =>    This Inner Loop Header: Depth=3
	v_cmp_lt_i32_e32 vcc, v14, v33
	s_or_b64 s[48:49], s[48:49], exec
	s_and_saveexec_b64 s[50:51], vcc
	s_cbranch_execz .LBB42_9
; %bb.11:                               ;   in Loop: Header=BB42_10 Depth=3
	v_lshlrev_b64 v[19:20], 2, v[5:6]
	v_mov_b32_e32 v15, v6
	v_add_co_u32_e32 v19, vcc, v28, v19
	v_addc_co_u32_e32 v20, vcc, v29, v20, vcc
	global_load_dword v21, v[19:20], off
	v_lshlrev_b64 v[19:20], 2, v[14:15]
	v_add_co_u32_e32 v19, vcc, v10, v19
	v_addc_co_u32_e32 v20, vcc, v16, v20, vcc
	global_load_dword v20, v[19:20], off
	s_waitcnt vmcnt(1)
	v_subrev_u32_e32 v19, s65, v21
	s_waitcnt vmcnt(0)
	v_subrev_u32_e32 v20, s66, v20
	v_cmp_eq_u32_e32 vcc, v19, v20
	s_and_saveexec_b64 s[52:53], vcc
	s_cbranch_execz .LBB42_8
; %bb.12:                               ;   in Loop: Header=BB42_10 Depth=3
	v_lshlrev_b64 v[21:22], 4, v[5:6]
	v_add_co_u32_e32 v21, vcc, v30, v21
	v_addc_co_u32_e32 v22, vcc, v31, v22, vcc
	global_load_dwordx4 v[34:37], v[21:22], off
	v_lshlrev_b64 v[21:22], 4, v[14:15]
	v_add_co_u32_e32 v21, vcc, v17, v21
	v_addc_co_u32_e32 v22, vcc, v18, v22, vcc
	global_load_dwordx4 v[38:41], v[21:22], off
	s_waitcnt vmcnt(0)
	v_fma_f64 v[0:1], v[34:35], v[38:39], v[0:1]
	v_fma_f64 v[2:3], v[36:37], v[38:39], v[2:3]
	v_fma_f64 v[0:1], -v[36:37], v[40:41], v[0:1]
	v_fma_f64 v[2:3], v[34:35], v[40:41], v[2:3]
	s_branch .LBB42_8
.LBB42_13:                              ;   in Loop: Header=BB42_6 Depth=2
	s_or_b64 exec, exec, s[46:47]
.LBB42_14:                              ;   in Loop: Header=BB42_6 Depth=2
	s_or_b64 exec, exec, s[6:7]
	v_lshlrev_b64 v[9:10], 4, v[8:9]
	v_mov_b32_e32 v15, s23
	v_add_co_u32_e32 v9, vcc, s22, v9
	v_addc_co_u32_e32 v10, vcc, v15, v10, vcc
	global_load_dwordx4 v[15:18], v[9:10], off
	v_cmp_le_i32_e64 s[6:7], v4, v11
	v_cmp_gt_i32_e32 vcc, v4, v11
	s_waitcnt vmcnt(0)
	v_add_f64 v[15:16], v[15:16], -v[0:1]
	v_add_f64 v[9:10], v[17:18], -v[2:3]
	s_and_saveexec_b64 s[46:47], vcc
	s_cbranch_execz .LBB42_24
; %bb.15:                               ;   in Loop: Header=BB42_6 Depth=2
	v_lshlrev_b64 v[0:1], 4, v[11:12]
	v_mov_b32_e32 v2, s17
	v_add_co_u32_e32 v0, vcc, s16, v0
	v_addc_co_u32_e32 v1, vcc, v2, v1, vcc
	global_load_dwordx4 v[0:3], v[0:1], off
                                        ; implicit-def: $vgpr21_vgpr22
	s_waitcnt vmcnt(0)
	v_cmp_gt_f64_e32 vcc, 0, v[0:1]
	v_xor_b32_e32 v18, 0x80000000, v1
	v_xor_b32_e32 v19, 0x80000000, v3
	v_mov_b32_e32 v17, v0
	v_cndmask_b32_e32 v18, v1, v18, vcc
	v_cmp_gt_f64_e32 vcc, 0, v[2:3]
	v_cndmask_b32_e32 v20, v3, v19, vcc
	v_mov_b32_e32 v19, v2
	v_cmp_ngt_f64_e32 vcc, v[17:18], v[19:20]
	s_and_saveexec_b64 s[48:49], vcc
	s_xor_b64 s[48:49], exec, s[48:49]
	s_cbranch_execz .LBB42_19
; %bb.16:                               ;   in Loop: Header=BB42_6 Depth=2
	v_cmp_neq_f64_e32 vcc, 0, v[2:3]
	v_mov_b32_e32 v21, 0
	v_mov_b32_e32 v22, 0
	s_and_saveexec_b64 s[50:51], vcc
	s_cbranch_execz .LBB42_18
; %bb.17:                               ;   in Loop: Header=BB42_6 Depth=2
	v_div_scale_f64 v[21:22], s[52:53], v[19:20], v[19:20], v[17:18]
	v_rcp_f64_e32 v[34:35], v[21:22]
	v_fma_f64 v[36:37], -v[21:22], v[34:35], 1.0
	v_fma_f64 v[34:35], v[34:35], v[36:37], v[34:35]
	v_div_scale_f64 v[36:37], vcc, v[17:18], v[19:20], v[17:18]
	v_fma_f64 v[38:39], -v[21:22], v[34:35], 1.0
	v_fma_f64 v[34:35], v[34:35], v[38:39], v[34:35]
	v_mul_f64 v[38:39], v[36:37], v[34:35]
	v_fma_f64 v[21:22], -v[21:22], v[38:39], v[36:37]
	v_div_fmas_f64 v[21:22], v[21:22], v[34:35], v[38:39]
	v_div_fixup_f64 v[17:18], v[21:22], v[19:20], v[17:18]
	v_fma_f64 v[17:18], v[17:18], v[17:18], 1.0
	v_cmp_gt_f64_e32 vcc, s[40:41], v[17:18]
	v_cndmask_b32_e32 v21, 0, v24, vcc
	v_ldexp_f64 v[17:18], v[17:18], v21
	v_rsq_f64_e32 v[21:22], v[17:18]
	v_mul_f64 v[34:35], v[17:18], v[21:22]
	v_mul_f64 v[21:22], v[21:22], 0.5
	v_fma_f64 v[36:37], -v[21:22], v[34:35], 0.5
	v_fma_f64 v[34:35], v[34:35], v[36:37], v[34:35]
	v_fma_f64 v[21:22], v[21:22], v[36:37], v[21:22]
	v_fma_f64 v[36:37], -v[34:35], v[34:35], v[17:18]
	v_fma_f64 v[34:35], v[36:37], v[21:22], v[34:35]
	v_fma_f64 v[36:37], -v[34:35], v[34:35], v[17:18]
	v_fma_f64 v[21:22], v[36:37], v[21:22], v[34:35]
	v_cndmask_b32_e32 v34, 0, v32, vcc
	v_cmp_class_f64_e32 vcc, v[17:18], v23
	v_ldexp_f64 v[21:22], v[21:22], v34
	v_cndmask_b32_e32 v18, v22, v18, vcc
	v_cndmask_b32_e32 v17, v21, v17, vcc
	v_mul_f64 v[21:22], v[19:20], v[17:18]
.LBB42_18:                              ;   in Loop: Header=BB42_6 Depth=2
	s_or_b64 exec, exec, s[50:51]
                                        ; implicit-def: $vgpr17_vgpr18
                                        ; implicit-def: $vgpr19_vgpr20
.LBB42_19:                              ;   in Loop: Header=BB42_6 Depth=2
	s_andn2_saveexec_b64 s[48:49], s[48:49]
	s_cbranch_execz .LBB42_21
; %bb.20:                               ;   in Loop: Header=BB42_6 Depth=2
	v_div_scale_f64 v[21:22], s[50:51], v[17:18], v[17:18], v[19:20]
	v_rcp_f64_e32 v[34:35], v[21:22]
	v_fma_f64 v[36:37], -v[21:22], v[34:35], 1.0
	v_fma_f64 v[34:35], v[34:35], v[36:37], v[34:35]
	v_div_scale_f64 v[36:37], vcc, v[19:20], v[17:18], v[19:20]
	v_fma_f64 v[38:39], -v[21:22], v[34:35], 1.0
	v_fma_f64 v[34:35], v[34:35], v[38:39], v[34:35]
	v_mul_f64 v[38:39], v[36:37], v[34:35]
	v_fma_f64 v[21:22], -v[21:22], v[38:39], v[36:37]
	v_div_fmas_f64 v[21:22], v[21:22], v[34:35], v[38:39]
	v_div_fixup_f64 v[19:20], v[21:22], v[17:18], v[19:20]
	v_fma_f64 v[19:20], v[19:20], v[19:20], 1.0
	v_cmp_gt_f64_e32 vcc, s[40:41], v[19:20]
	v_cndmask_b32_e32 v21, 0, v24, vcc
	v_ldexp_f64 v[19:20], v[19:20], v21
	v_rsq_f64_e32 v[21:22], v[19:20]
	v_mul_f64 v[34:35], v[19:20], v[21:22]
	v_mul_f64 v[21:22], v[21:22], 0.5
	v_fma_f64 v[36:37], -v[21:22], v[34:35], 0.5
	v_fma_f64 v[34:35], v[34:35], v[36:37], v[34:35]
	v_fma_f64 v[21:22], v[21:22], v[36:37], v[21:22]
	v_fma_f64 v[36:37], -v[34:35], v[34:35], v[19:20]
	v_fma_f64 v[34:35], v[36:37], v[21:22], v[34:35]
	v_fma_f64 v[36:37], -v[34:35], v[34:35], v[19:20]
	v_fma_f64 v[21:22], v[36:37], v[21:22], v[34:35]
	v_cndmask_b32_e32 v34, 0, v32, vcc
	v_cmp_class_f64_e32 vcc, v[19:20], v23
	v_ldexp_f64 v[21:22], v[21:22], v34
	v_cndmask_b32_e32 v20, v22, v20, vcc
	v_cndmask_b32_e32 v19, v21, v19, vcc
	v_mul_f64 v[21:22], v[17:18], v[19:20]
.LBB42_21:                              ;   in Loop: Header=BB42_6 Depth=2
	s_or_b64 exec, exec, s[48:49]
	v_cmp_lt_f64_e32 vcc, 0, v[21:22]
	v_mov_b32_e32 v17, 0
	v_mov_b32_e32 v19, 0
	;; [unrolled: 1-line block ×4, first 2 shown]
	s_and_saveexec_b64 s[48:49], vcc
	s_cbranch_execz .LBB42_23
; %bb.22:                               ;   in Loop: Header=BB42_6 Depth=2
	v_mul_f64 v[17:18], v[2:3], v[2:3]
	v_fma_f64 v[17:18], v[0:1], v[0:1], v[17:18]
	v_div_scale_f64 v[19:20], s[50:51], v[17:18], v[17:18], 1.0
	v_rcp_f64_e32 v[21:22], v[19:20]
	v_fma_f64 v[34:35], -v[19:20], v[21:22], 1.0
	v_fma_f64 v[21:22], v[21:22], v[34:35], v[21:22]
	v_div_scale_f64 v[34:35], vcc, 1.0, v[17:18], 1.0
	v_fma_f64 v[36:37], -v[19:20], v[21:22], 1.0
	v_fma_f64 v[21:22], v[21:22], v[36:37], v[21:22]
	v_mul_f64 v[36:37], v[34:35], v[21:22]
	v_fma_f64 v[19:20], -v[19:20], v[36:37], v[34:35]
	v_div_fmas_f64 v[19:20], v[19:20], v[21:22], v[36:37]
	v_mul_f64 v[21:22], v[9:10], v[2:3]
	v_mul_f64 v[2:3], v[2:3], -v[15:16]
	v_fma_f64 v[15:16], v[15:16], v[0:1], v[21:22]
	v_fma_f64 v[0:1], v[9:10], v[0:1], v[2:3]
	v_div_fixup_f64 v[19:20], v[19:20], v[17:18], 1.0
	v_mul_f64 v[17:18], v[15:16], v[19:20]
	v_mul_f64 v[19:20], v[0:1], v[19:20]
.LBB42_23:                              ;   in Loop: Header=BB42_6 Depth=2
	s_or_b64 exec, exec, s[48:49]
	v_mov_b32_e32 v15, v17
	v_mov_b32_e32 v9, v19
	;; [unrolled: 1-line block ×4, first 2 shown]
.LBB42_24:                              ;   in Loop: Header=BB42_6 Depth=2
	s_or_b64 exec, exec, s[46:47]
	v_cmp_gt_f64_e32 vcc, 0, v[15:16]
	v_xor_b32_e32 v0, 0x80000000, v16
	v_xor_b32_e32 v2, 0x80000000, v10
                                        ; implicit-def: $vgpr17_vgpr18
	v_cndmask_b32_e32 v1, v16, v0, vcc
	v_cmp_gt_f64_e32 vcc, 0, v[9:10]
	v_mov_b32_e32 v0, v15
	v_cndmask_b32_e32 v3, v10, v2, vcc
	v_mov_b32_e32 v2, v9
	v_cmp_ngt_f64_e32 vcc, v[0:1], v[2:3]
	s_and_saveexec_b64 s[46:47], vcc
	s_xor_b64 s[46:47], exec, s[46:47]
	s_cbranch_execnz .LBB42_27
; %bb.25:                               ;   in Loop: Header=BB42_6 Depth=2
	s_andn2_saveexec_b64 s[46:47], s[46:47]
	s_cbranch_execnz .LBB42_30
.LBB42_26:                              ;   in Loop: Header=BB42_6 Depth=2
	s_or_b64 exec, exec, s[46:47]
	v_cmp_class_f64_e64 s[48:49], v[17:18], s68
	s_and_saveexec_b64 s[46:47], s[48:49]
	s_cbranch_execz .LBB42_5
	s_branch .LBB42_31
.LBB42_27:                              ;   in Loop: Header=BB42_6 Depth=2
	v_cmp_neq_f64_e32 vcc, 0, v[9:10]
	v_mov_b32_e32 v17, 0
	v_mov_b32_e32 v18, 0
	s_and_saveexec_b64 s[48:49], vcc
	s_cbranch_execz .LBB42_29
; %bb.28:                               ;   in Loop: Header=BB42_6 Depth=2
	v_div_scale_f64 v[17:18], s[50:51], v[2:3], v[2:3], v[0:1]
	v_rcp_f64_e32 v[19:20], v[17:18]
	v_fma_f64 v[21:22], -v[17:18], v[19:20], 1.0
	v_fma_f64 v[19:20], v[19:20], v[21:22], v[19:20]
	v_div_scale_f64 v[21:22], vcc, v[0:1], v[2:3], v[0:1]
	v_fma_f64 v[34:35], -v[17:18], v[19:20], 1.0
	v_fma_f64 v[19:20], v[19:20], v[34:35], v[19:20]
	v_mul_f64 v[34:35], v[21:22], v[19:20]
	v_fma_f64 v[17:18], -v[17:18], v[34:35], v[21:22]
	v_div_fmas_f64 v[17:18], v[17:18], v[19:20], v[34:35]
	v_div_fixup_f64 v[0:1], v[17:18], v[2:3], v[0:1]
	v_fma_f64 v[0:1], v[0:1], v[0:1], 1.0
	v_cmp_gt_f64_e32 vcc, s[40:41], v[0:1]
	v_cndmask_b32_e32 v17, 0, v24, vcc
	v_ldexp_f64 v[0:1], v[0:1], v17
	v_rsq_f64_e32 v[17:18], v[0:1]
	v_mul_f64 v[19:20], v[0:1], v[17:18]
	v_mul_f64 v[17:18], v[17:18], 0.5
	v_fma_f64 v[21:22], -v[17:18], v[19:20], 0.5
	v_fma_f64 v[19:20], v[19:20], v[21:22], v[19:20]
	v_fma_f64 v[17:18], v[17:18], v[21:22], v[17:18]
	v_fma_f64 v[21:22], -v[19:20], v[19:20], v[0:1]
	v_fma_f64 v[19:20], v[21:22], v[17:18], v[19:20]
	v_fma_f64 v[21:22], -v[19:20], v[19:20], v[0:1]
	v_fma_f64 v[17:18], v[21:22], v[17:18], v[19:20]
	v_cndmask_b32_e32 v19, 0, v32, vcc
	v_cmp_class_f64_e32 vcc, v[0:1], v23
	v_ldexp_f64 v[17:18], v[17:18], v19
	v_cndmask_b32_e32 v1, v18, v1, vcc
	v_cndmask_b32_e32 v0, v17, v0, vcc
	v_mul_f64 v[17:18], v[2:3], v[0:1]
.LBB42_29:                              ;   in Loop: Header=BB42_6 Depth=2
	s_or_b64 exec, exec, s[48:49]
                                        ; implicit-def: $vgpr0_vgpr1
                                        ; implicit-def: $vgpr2_vgpr3
	s_andn2_saveexec_b64 s[46:47], s[46:47]
	s_cbranch_execz .LBB42_26
.LBB42_30:                              ;   in Loop: Header=BB42_6 Depth=2
	v_div_scale_f64 v[17:18], s[48:49], v[0:1], v[0:1], v[2:3]
	v_rcp_f64_e32 v[19:20], v[17:18]
	v_fma_f64 v[21:22], -v[17:18], v[19:20], 1.0
	v_fma_f64 v[19:20], v[19:20], v[21:22], v[19:20]
	v_div_scale_f64 v[21:22], vcc, v[2:3], v[0:1], v[2:3]
	v_fma_f64 v[34:35], -v[17:18], v[19:20], 1.0
	v_fma_f64 v[19:20], v[19:20], v[34:35], v[19:20]
	v_mul_f64 v[34:35], v[21:22], v[19:20]
	v_fma_f64 v[17:18], -v[17:18], v[34:35], v[21:22]
	v_div_fmas_f64 v[17:18], v[17:18], v[19:20], v[34:35]
	v_div_fixup_f64 v[2:3], v[17:18], v[0:1], v[2:3]
	v_fma_f64 v[2:3], v[2:3], v[2:3], 1.0
	v_cmp_gt_f64_e32 vcc, s[40:41], v[2:3]
	v_cndmask_b32_e32 v17, 0, v24, vcc
	v_ldexp_f64 v[2:3], v[2:3], v17
	v_rsq_f64_e32 v[17:18], v[2:3]
	v_mul_f64 v[19:20], v[2:3], v[17:18]
	v_mul_f64 v[17:18], v[17:18], 0.5
	v_fma_f64 v[21:22], -v[17:18], v[19:20], 0.5
	v_fma_f64 v[19:20], v[19:20], v[21:22], v[19:20]
	v_fma_f64 v[17:18], v[17:18], v[21:22], v[17:18]
	v_fma_f64 v[21:22], -v[19:20], v[19:20], v[2:3]
	v_fma_f64 v[19:20], v[21:22], v[17:18], v[19:20]
	v_fma_f64 v[21:22], -v[19:20], v[19:20], v[2:3]
	v_fma_f64 v[17:18], v[21:22], v[17:18], v[19:20]
	v_cndmask_b32_e32 v19, 0, v32, vcc
	v_cmp_class_f64_e32 vcc, v[2:3], v23
	v_ldexp_f64 v[17:18], v[17:18], v19
	v_cndmask_b32_e32 v3, v18, v3, vcc
	v_cndmask_b32_e32 v2, v17, v2, vcc
	v_mul_f64 v[17:18], v[0:1], v[2:3]
	s_or_b64 exec, exec, s[46:47]
	v_cmp_class_f64_e64 s[48:49], v[17:18], s68
	s_and_saveexec_b64 s[46:47], s[48:49]
	s_cbranch_execz .LBB42_5
.LBB42_31:                              ;   in Loop: Header=BB42_6 Depth=2
	s_mov_b64 s[48:49], 0
                                        ; implicit-def: $vgpr0_vgpr1
	s_and_saveexec_b64 s[50:51], s[6:7]
	s_xor_b64 s[6:7], exec, s[50:51]
	s_cbranch_execnz .LBB42_34
; %bb.32:                               ;   in Loop: Header=BB42_6 Depth=2
	s_andn2_saveexec_b64 s[6:7], s[6:7]
	s_cbranch_execnz .LBB42_47
.LBB42_33:                              ;   in Loop: Header=BB42_6 Depth=2
	s_or_b64 exec, exec, s[6:7]
	s_and_b64 exec, exec, s[48:49]
	s_cbranch_execz .LBB42_5
	s_branch .LBB42_56
.LBB42_34:                              ;   in Loop: Header=BB42_6 Depth=2
	v_cmp_ge_i32_e32 vcc, v4, v11
                                        ; implicit-def: $vgpr0_vgpr1
	s_and_saveexec_b64 s[50:51], vcc
	s_xor_b64 s[50:51], exec, s[50:51]
	s_cbranch_execz .LBB42_36
; %bb.35:                               ;   in Loop: Header=BB42_6 Depth=2
	v_lshlrev_b64 v[0:1], 4, v[11:12]
	v_mov_b32_e32 v2, s19
	v_add_co_u32_e32 v0, vcc, s18, v0
	v_addc_co_u32_e32 v1, vcc, v2, v1, vcc
	s_mov_b64 s[48:49], exec
	global_store_dwordx2 v[0:1], v[15:16], off
                                        ; implicit-def: $vgpr14
                                        ; implicit-def: $vgpr33
                                        ; implicit-def: $vgpr15_vgpr16
                                        ; implicit-def: $vgpr13
.LBB42_36:                              ;   in Loop: Header=BB42_6 Depth=2
	s_andn2_saveexec_b64 s[50:51], s[50:51]
	s_cbranch_execz .LBB42_46
; %bb.37:                               ;   in Loop: Header=BB42_6 Depth=2
	v_cmp_lt_i32_e32 vcc, v14, v33
	s_mov_b64 s[54:55], s[48:49]
                                        ; implicit-def: $vgpr0_vgpr1
	s_and_saveexec_b64 s[52:53], vcc
	s_cbranch_execz .LBB42_45
; %bb.38:                               ;   in Loop: Header=BB42_6 Depth=2
	s_mov_b64 s[56:57], 0
                                        ; implicit-def: $sgpr54_sgpr55
                                        ; implicit-def: $sgpr60_sgpr61
                                        ; implicit-def: $sgpr58_sgpr59
	s_branch .LBB42_40
.LBB42_39:                              ;   in Loop: Header=BB42_40 Depth=3
	s_or_b64 exec, exec, s[62:63]
	s_and_b64 s[62:63], exec, s[60:61]
	s_or_b64 s[56:57], s[62:63], s[56:57]
	s_andn2_b64 s[54:55], s[54:55], exec
	s_and_b64 s[62:63], s[58:59], exec
	s_or_b64 s[54:55], s[54:55], s[62:63]
	s_andn2_b64 exec, exec, s[56:57]
	s_cbranch_execz .LBB42_42
.LBB42_40:                              ;   Parent Loop BB42_3 Depth=1
                                        ;     Parent Loop BB42_6 Depth=2
                                        ; =>    This Inner Loop Header: Depth=3
	v_add_u32_e32 v2, v13, v14
	v_ashrrev_i32_e32 v3, 31, v2
	v_lshlrev_b64 v[0:1], 2, v[2:3]
	v_mov_b32_e32 v5, s29
	v_add_co_u32_e32 v0, vcc, s28, v0
	v_addc_co_u32_e32 v1, vcc, v5, v1, vcc
	global_load_dword v0, v[0:1], off
	s_or_b64 s[58:59], s[58:59], exec
	s_or_b64 s[60:61], s[60:61], exec
	s_waitcnt vmcnt(0)
	v_subrev_u32_e32 v0, s66, v0
	v_cmp_ne_u32_e32 vcc, v0, v4
	s_and_saveexec_b64 s[62:63], vcc
	s_cbranch_execz .LBB42_39
; %bb.41:                               ;   in Loop: Header=BB42_40 Depth=3
	v_add_u32_e32 v14, 1, v14
	v_cmp_ge_i32_e32 vcc, v14, v33
	s_andn2_b64 s[60:61], s[60:61], exec
	s_and_b64 s[70:71], vcc, exec
	s_andn2_b64 s[58:59], s[58:59], exec
	s_or_b64 s[60:61], s[60:61], s[70:71]
	s_branch .LBB42_39
.LBB42_42:                              ;   in Loop: Header=BB42_6 Depth=2
	s_or_b64 exec, exec, s[56:57]
	s_mov_b64 s[56:57], s[48:49]
                                        ; implicit-def: $vgpr0_vgpr1
	s_and_saveexec_b64 s[58:59], s[54:55]
	s_xor_b64 s[54:55], exec, s[58:59]
	s_cbranch_execz .LBB42_44
; %bb.43:                               ;   in Loop: Header=BB42_6 Depth=2
	v_lshlrev_b64 v[0:1], 4, v[2:3]
	v_mov_b32_e32 v2, s39
	v_add_co_u32_e32 v0, vcc, s38, v0
	v_addc_co_u32_e32 v1, vcc, v2, v1, vcc
	s_or_b64 s[56:57], s[48:49], exec
	global_store_dwordx2 v[0:1], v[15:16], off
.LBB42_44:                              ;   in Loop: Header=BB42_6 Depth=2
	s_or_b64 exec, exec, s[54:55]
	s_andn2_b64 s[54:55], s[48:49], exec
	s_and_b64 s[56:57], s[56:57], exec
	s_or_b64 s[54:55], s[54:55], s[56:57]
.LBB42_45:                              ;   in Loop: Header=BB42_6 Depth=2
	s_or_b64 exec, exec, s[52:53]
	s_andn2_b64 s[48:49], s[48:49], exec
	s_and_b64 s[52:53], s[54:55], exec
	s_or_b64 s[48:49], s[48:49], s[52:53]
.LBB42_46:                              ;   in Loop: Header=BB42_6 Depth=2
	s_or_b64 exec, exec, s[50:51]
	s_and_b64 s[48:49], s[48:49], exec
                                        ; implicit-def: $vgpr15_vgpr16
                                        ; implicit-def: $vgpr11_vgpr12
	s_andn2_saveexec_b64 s[6:7], s[6:7]
	s_cbranch_execz .LBB42_33
.LBB42_47:                              ;   in Loop: Header=BB42_6 Depth=2
	v_cmp_lt_i32_e32 vcc, v5, v25
	s_mov_b64 s[52:53], s[48:49]
                                        ; implicit-def: $vgpr0_vgpr1
	s_and_saveexec_b64 s[50:51], vcc
	s_cbranch_execz .LBB42_55
; %bb.48:                               ;   in Loop: Header=BB42_6 Depth=2
	s_mov_b64 s[54:55], 0
                                        ; implicit-def: $sgpr52_sgpr53
                                        ; implicit-def: $sgpr58_sgpr59
                                        ; implicit-def: $sgpr56_sgpr57
	s_branch .LBB42_50
.LBB42_49:                              ;   in Loop: Header=BB42_50 Depth=3
	s_or_b64 exec, exec, s[60:61]
	s_and_b64 s[60:61], exec, s[58:59]
	s_or_b64 s[54:55], s[60:61], s[54:55]
	s_andn2_b64 s[52:53], s[52:53], exec
	s_and_b64 s[60:61], s[56:57], exec
	s_or_b64 s[52:53], s[52:53], s[60:61]
	s_andn2_b64 exec, exec, s[54:55]
	s_cbranch_execz .LBB42_52
.LBB42_50:                              ;   Parent Loop BB42_3 Depth=1
                                        ;     Parent Loop BB42_6 Depth=2
                                        ; =>    This Inner Loop Header: Depth=3
	v_add_u32_e32 v2, v7, v5
	v_ashrrev_i32_e32 v3, 31, v2
	v_lshlrev_b64 v[0:1], 2, v[2:3]
	v_mov_b32_e32 v12, s13
	v_add_co_u32_e32 v0, vcc, s12, v0
	v_addc_co_u32_e32 v1, vcc, v12, v1, vcc
	global_load_dword v0, v[0:1], off
	s_or_b64 s[56:57], s[56:57], exec
	s_or_b64 s[58:59], s[58:59], exec
	s_waitcnt vmcnt(0)
	v_subrev_u32_e32 v0, s65, v0
	v_cmp_ne_u32_e32 vcc, v0, v11
	s_and_saveexec_b64 s[60:61], vcc
	s_cbranch_execz .LBB42_49
; %bb.51:                               ;   in Loop: Header=BB42_50 Depth=3
	v_add_u32_e32 v5, 1, v5
	v_cmp_ge_i32_e32 vcc, v5, v25
	s_andn2_b64 s[58:59], s[58:59], exec
	s_and_b64 s[62:63], vcc, exec
	s_andn2_b64 s[56:57], s[56:57], exec
	s_or_b64 s[58:59], s[58:59], s[62:63]
	s_branch .LBB42_49
.LBB42_52:                              ;   in Loop: Header=BB42_6 Depth=2
	s_or_b64 exec, exec, s[54:55]
	s_mov_b64 s[54:55], s[48:49]
                                        ; implicit-def: $vgpr0_vgpr1
	s_and_saveexec_b64 s[56:57], s[52:53]
	s_xor_b64 s[52:53], exec, s[56:57]
	s_cbranch_execz .LBB42_54
; %bb.53:                               ;   in Loop: Header=BB42_6 Depth=2
	v_lshlrev_b64 v[0:1], 4, v[2:3]
	v_mov_b32_e32 v2, s37
	v_add_co_u32_e32 v0, vcc, s36, v0
	v_addc_co_u32_e32 v1, vcc, v2, v1, vcc
	s_or_b64 s[54:55], s[48:49], exec
	global_store_dwordx2 v[0:1], v[15:16], off
.LBB42_54:                              ;   in Loop: Header=BB42_6 Depth=2
	s_or_b64 exec, exec, s[52:53]
	s_andn2_b64 s[52:53], s[48:49], exec
	s_and_b64 s[54:55], s[54:55], exec
	s_or_b64 s[52:53], s[52:53], s[54:55]
.LBB42_55:                              ;   in Loop: Header=BB42_6 Depth=2
	s_or_b64 exec, exec, s[50:51]
	s_andn2_b64 s[48:49], s[48:49], exec
	s_and_b64 s[50:51], s[52:53], exec
	s_or_b64 s[48:49], s[48:49], s[50:51]
	s_or_b64 exec, exec, s[6:7]
	s_and_b64 exec, exec, s[48:49]
	s_cbranch_execz .LBB42_5
.LBB42_56:                              ;   in Loop: Header=BB42_6 Depth=2
	global_store_dwordx2 v[0:1], v[9:10], off offset:8
	s_branch .LBB42_5
.LBB42_57:                              ;   in Loop: Header=BB42_3 Depth=1
	s_or_b64 exec, exec, s[42:43]
	s_and_saveexec_b64 s[6:7], s[0:1]
	s_cbranch_execz .LBB42_2
; %bb.58:                               ;   in Loop: Header=BB42_3 Depth=1
	s_mov_b64 s[42:43], 0
	v_mov_b32_e32 v0, v4
	s_branch .LBB42_61
.LBB42_59:                              ;   in Loop: Header=BB42_61 Depth=2
	s_or_b64 exec, exec, s[46:47]
	v_lshlrev_b64 v[1:2], 4, v[0:1]
	v_mov_b32_e32 v3, s19
	v_add_co_u32_e32 v8, vcc, s18, v1
	v_addc_co_u32_e32 v9, vcc, v3, v2, vcc
	global_load_dwordx4 v[8:11], v[8:9], off
	v_mov_b32_e32 v3, s17
	v_add_co_u32_e32 v1, vcc, s16, v1
	v_addc_co_u32_e32 v2, vcc, v3, v2, vcc
	s_waitcnt vmcnt(0)
	global_store_dwordx4 v[1:2], v[8:11], off
.LBB42_60:                              ;   in Loop: Header=BB42_61 Depth=2
	s_or_b64 exec, exec, s[44:45]
	v_add_u32_e32 v0, 0x400, v0
	v_cmp_le_u32_e32 vcc, s67, v0
	s_or_b64 s[42:43], vcc, s[42:43]
	s_andn2_b64 exec, exec, s[42:43]
	s_cbranch_execz .LBB42_2
.LBB42_61:                              ;   Parent Loop BB42_3 Depth=1
                                        ; =>  This Loop Header: Depth=2
                                        ;       Child Loop BB42_64 Depth 3
                                        ;       Child Loop BB42_67 Depth 3
	v_cmp_gt_i32_e32 vcc, s35, v0
	s_and_saveexec_b64 s[44:45], vcc
	s_cbranch_execz .LBB42_60
; %bb.62:                               ;   in Loop: Header=BB42_61 Depth=2
	v_ashrrev_i32_e32 v1, 31, v0
	v_lshlrev_b64 v[2:3], 2, v[0:1]
	v_mov_b32_e32 v5, s9
	v_add_co_u32_e32 v8, vcc, s8, v2
	v_addc_co_u32_e32 v9, vcc, v5, v3, vcc
	global_load_dword v8, v[8:9], off
	v_mov_b32_e32 v5, s11
	v_add_co_u32_e32 v9, vcc, s10, v2
	v_addc_co_u32_e32 v10, vcc, v5, v3, vcc
	global_load_dword v5, v[9:10], off
	s_waitcnt vmcnt(0)
	v_cmp_lt_i32_e32 vcc, v8, v5
	s_and_saveexec_b64 s[46:47], vcc
	s_cbranch_execz .LBB42_65
; %bb.63:                               ;   in Loop: Header=BB42_61 Depth=2
	v_subrev_u32_e32 v8, s65, v8
	v_ashrrev_i32_e32 v9, 31, v8
	v_lshlrev_b64 v[11:12], 4, v[8:9]
	v_mov_b32_e32 v10, s15
	v_add_co_u32_e32 v9, vcc, s14, v11
	v_addc_co_u32_e32 v10, vcc, v10, v12, vcc
	v_mov_b32_e32 v13, s37
	v_add_co_u32_e32 v11, vcc, s36, v11
	v_subrev_u32_e32 v5, s65, v5
	v_addc_co_u32_e32 v12, vcc, v13, v12, vcc
	s_mov_b64 s[48:49], 0
.LBB42_64:                              ;   Parent Loop BB42_3 Depth=1
                                        ;     Parent Loop BB42_61 Depth=2
                                        ; =>    This Inner Loop Header: Depth=3
	global_load_dwordx4 v[13:16], v[11:12], off
	v_add_co_u32_e32 v11, vcc, 16, v11
	v_add_u32_e32 v8, 1, v8
	v_addc_co_u32_e32 v12, vcc, 0, v12, vcc
	v_cmp_ge_i32_e32 vcc, v8, v5
	s_or_b64 s[48:49], vcc, s[48:49]
	s_waitcnt vmcnt(0)
	global_store_dwordx4 v[9:10], v[13:16], off
	v_add_co_u32_e32 v9, vcc, 16, v9
	v_addc_co_u32_e32 v10, vcc, 0, v10, vcc
	s_andn2_b64 exec, exec, s[48:49]
	s_cbranch_execnz .LBB42_64
.LBB42_65:                              ;   in Loop: Header=BB42_61 Depth=2
	s_or_b64 exec, exec, s[46:47]
	v_mov_b32_e32 v5, s25
	v_add_co_u32_e32 v8, vcc, s24, v2
	v_addc_co_u32_e32 v9, vcc, v5, v3, vcc
	v_mov_b32_e32 v5, s27
	v_add_co_u32_e32 v2, vcc, s26, v2
	v_addc_co_u32_e32 v3, vcc, v5, v3, vcc
	global_load_dword v8, v[8:9], off
	s_nop 0
	global_load_dword v2, v[2:3], off
	s_waitcnt vmcnt(0)
	v_cmp_lt_i32_e32 vcc, v8, v2
	s_and_saveexec_b64 s[46:47], vcc
	s_cbranch_execz .LBB42_59
; %bb.66:                               ;   in Loop: Header=BB42_61 Depth=2
	v_subrev_u32_e32 v5, s66, v2
	v_subrev_u32_e32 v2, s66, v8
	v_ashrrev_i32_e32 v3, 31, v2
	v_lshlrev_b64 v[10:11], 4, v[2:3]
	v_mov_b32_e32 v3, s31
	v_add_co_u32_e32 v8, vcc, s30, v10
	v_addc_co_u32_e32 v9, vcc, v3, v11, vcc
	v_mov_b32_e32 v3, s39
	v_add_co_u32_e32 v10, vcc, s38, v10
	v_addc_co_u32_e32 v11, vcc, v3, v11, vcc
	s_mov_b64 s[48:49], 0
.LBB42_67:                              ;   Parent Loop BB42_3 Depth=1
                                        ;     Parent Loop BB42_61 Depth=2
                                        ; =>    This Inner Loop Header: Depth=3
	global_load_dwordx4 v[12:15], v[10:11], off
	v_add_co_u32_e32 v10, vcc, 16, v10
	v_add_u32_e32 v2, 1, v2
	v_addc_co_u32_e32 v11, vcc, 0, v11, vcc
	v_cmp_ge_i32_e32 vcc, v2, v5
	s_or_b64 s[48:49], vcc, s[48:49]
	s_waitcnt vmcnt(0)
	global_store_dwordx4 v[8:9], v[12:15], off
	v_add_co_u32_e32 v8, vcc, 16, v8
	v_addc_co_u32_e32 v9, vcc, 0, v9, vcc
	s_andn2_b64 exec, exec, s[48:49]
	s_cbranch_execnz .LBB42_67
	s_branch .LBB42_59
.LBB42_68:
	s_endpgm
	.section	.rodata,"a",@progbits
	.p2align	6, 0x0
	.amdhsa_kernel _ZN9rocsparseL14kernel_freerunILi1024ELi1E21rocsparse_complex_numIdEiiEEvT3_S3_T2_PKS4_S6_PKS3_PKT1_21rocsparse_index_base_S6_S6_S8_PS9_SD_SC_S6_S6_S8_SD_SD_SC_SD_SD_
		.amdhsa_group_segment_fixed_size 0
		.amdhsa_private_segment_fixed_size 0
		.amdhsa_kernarg_size 168
		.amdhsa_user_sgpr_count 6
		.amdhsa_user_sgpr_private_segment_buffer 1
		.amdhsa_user_sgpr_dispatch_ptr 0
		.amdhsa_user_sgpr_queue_ptr 0
		.amdhsa_user_sgpr_kernarg_segment_ptr 1
		.amdhsa_user_sgpr_dispatch_id 0
		.amdhsa_user_sgpr_flat_scratch_init 0
		.amdhsa_user_sgpr_private_segment_size 0
		.amdhsa_uses_dynamic_stack 0
		.amdhsa_system_sgpr_private_segment_wavefront_offset 0
		.amdhsa_system_sgpr_workgroup_id_x 1
		.amdhsa_system_sgpr_workgroup_id_y 0
		.amdhsa_system_sgpr_workgroup_id_z 0
		.amdhsa_system_sgpr_workgroup_info 0
		.amdhsa_system_vgpr_workitem_id 0
		.amdhsa_next_free_vgpr 42
		.amdhsa_next_free_sgpr 72
		.amdhsa_reserve_vcc 1
		.amdhsa_reserve_flat_scratch 0
		.amdhsa_float_round_mode_32 0
		.amdhsa_float_round_mode_16_64 0
		.amdhsa_float_denorm_mode_32 3
		.amdhsa_float_denorm_mode_16_64 3
		.amdhsa_dx10_clamp 1
		.amdhsa_ieee_mode 1
		.amdhsa_fp16_overflow 0
		.amdhsa_exception_fp_ieee_invalid_op 0
		.amdhsa_exception_fp_denorm_src 0
		.amdhsa_exception_fp_ieee_div_zero 0
		.amdhsa_exception_fp_ieee_overflow 0
		.amdhsa_exception_fp_ieee_underflow 0
		.amdhsa_exception_fp_ieee_inexact 0
		.amdhsa_exception_int_div_zero 0
	.end_amdhsa_kernel
	.section	.text._ZN9rocsparseL14kernel_freerunILi1024ELi1E21rocsparse_complex_numIdEiiEEvT3_S3_T2_PKS4_S6_PKS3_PKT1_21rocsparse_index_base_S6_S6_S8_PS9_SD_SC_S6_S6_S8_SD_SD_SC_SD_SD_,"axG",@progbits,_ZN9rocsparseL14kernel_freerunILi1024ELi1E21rocsparse_complex_numIdEiiEEvT3_S3_T2_PKS4_S6_PKS3_PKT1_21rocsparse_index_base_S6_S6_S8_PS9_SD_SC_S6_S6_S8_SD_SD_SC_SD_SD_,comdat
.Lfunc_end42:
	.size	_ZN9rocsparseL14kernel_freerunILi1024ELi1E21rocsparse_complex_numIdEiiEEvT3_S3_T2_PKS4_S6_PKS3_PKT1_21rocsparse_index_base_S6_S6_S8_PS9_SD_SC_S6_S6_S8_SD_SD_SC_SD_SD_, .Lfunc_end42-_ZN9rocsparseL14kernel_freerunILi1024ELi1E21rocsparse_complex_numIdEiiEEvT3_S3_T2_PKS4_S6_PKS3_PKT1_21rocsparse_index_base_S6_S6_S8_PS9_SD_SC_S6_S6_S8_SD_SD_SC_SD_SD_
                                        ; -- End function
	.set _ZN9rocsparseL14kernel_freerunILi1024ELi1E21rocsparse_complex_numIdEiiEEvT3_S3_T2_PKS4_S6_PKS3_PKT1_21rocsparse_index_base_S6_S6_S8_PS9_SD_SC_S6_S6_S8_SD_SD_SC_SD_SD_.num_vgpr, 42
	.set _ZN9rocsparseL14kernel_freerunILi1024ELi1E21rocsparse_complex_numIdEiiEEvT3_S3_T2_PKS4_S6_PKS3_PKT1_21rocsparse_index_base_S6_S6_S8_PS9_SD_SC_S6_S6_S8_SD_SD_SC_SD_SD_.num_agpr, 0
	.set _ZN9rocsparseL14kernel_freerunILi1024ELi1E21rocsparse_complex_numIdEiiEEvT3_S3_T2_PKS4_S6_PKS3_PKT1_21rocsparse_index_base_S6_S6_S8_PS9_SD_SC_S6_S6_S8_SD_SD_SC_SD_SD_.numbered_sgpr, 72
	.set _ZN9rocsparseL14kernel_freerunILi1024ELi1E21rocsparse_complex_numIdEiiEEvT3_S3_T2_PKS4_S6_PKS3_PKT1_21rocsparse_index_base_S6_S6_S8_PS9_SD_SC_S6_S6_S8_SD_SD_SC_SD_SD_.num_named_barrier, 0
	.set _ZN9rocsparseL14kernel_freerunILi1024ELi1E21rocsparse_complex_numIdEiiEEvT3_S3_T2_PKS4_S6_PKS3_PKT1_21rocsparse_index_base_S6_S6_S8_PS9_SD_SC_S6_S6_S8_SD_SD_SC_SD_SD_.private_seg_size, 0
	.set _ZN9rocsparseL14kernel_freerunILi1024ELi1E21rocsparse_complex_numIdEiiEEvT3_S3_T2_PKS4_S6_PKS3_PKT1_21rocsparse_index_base_S6_S6_S8_PS9_SD_SC_S6_S6_S8_SD_SD_SC_SD_SD_.uses_vcc, 1
	.set _ZN9rocsparseL14kernel_freerunILi1024ELi1E21rocsparse_complex_numIdEiiEEvT3_S3_T2_PKS4_S6_PKS3_PKT1_21rocsparse_index_base_S6_S6_S8_PS9_SD_SC_S6_S6_S8_SD_SD_SC_SD_SD_.uses_flat_scratch, 0
	.set _ZN9rocsparseL14kernel_freerunILi1024ELi1E21rocsparse_complex_numIdEiiEEvT3_S3_T2_PKS4_S6_PKS3_PKT1_21rocsparse_index_base_S6_S6_S8_PS9_SD_SC_S6_S6_S8_SD_SD_SC_SD_SD_.has_dyn_sized_stack, 0
	.set _ZN9rocsparseL14kernel_freerunILi1024ELi1E21rocsparse_complex_numIdEiiEEvT3_S3_T2_PKS4_S6_PKS3_PKT1_21rocsparse_index_base_S6_S6_S8_PS9_SD_SC_S6_S6_S8_SD_SD_SC_SD_SD_.has_recursion, 0
	.set _ZN9rocsparseL14kernel_freerunILi1024ELi1E21rocsparse_complex_numIdEiiEEvT3_S3_T2_PKS4_S6_PKS3_PKT1_21rocsparse_index_base_S6_S6_S8_PS9_SD_SC_S6_S6_S8_SD_SD_SC_SD_SD_.has_indirect_call, 0
	.section	.AMDGPU.csdata,"",@progbits
; Kernel info:
; codeLenInByte = 3352
; TotalNumSgprs: 76
; NumVgprs: 42
; ScratchSize: 0
; MemoryBound: 1
; FloatMode: 240
; IeeeMode: 1
; LDSByteSize: 0 bytes/workgroup (compile time only)
; SGPRBlocks: 9
; VGPRBlocks: 10
; NumSGPRsForWavesPerEU: 76
; NumVGPRsForWavesPerEU: 42
; Occupancy: 5
; WaveLimiterHint : 1
; COMPUTE_PGM_RSRC2:SCRATCH_EN: 0
; COMPUTE_PGM_RSRC2:USER_SGPR: 6
; COMPUTE_PGM_RSRC2:TRAP_HANDLER: 0
; COMPUTE_PGM_RSRC2:TGID_X_EN: 1
; COMPUTE_PGM_RSRC2:TGID_Y_EN: 0
; COMPUTE_PGM_RSRC2:TGID_Z_EN: 0
; COMPUTE_PGM_RSRC2:TIDIG_COMP_CNT: 0
	.section	.text._ZN9rocsparseL14kernel_freerunILi1024ELi2E21rocsparse_complex_numIdEiiEEvT3_S3_T2_PKS4_S6_PKS3_PKT1_21rocsparse_index_base_S6_S6_S8_PS9_SD_SC_S6_S6_S8_SD_SD_SC_SD_SD_,"axG",@progbits,_ZN9rocsparseL14kernel_freerunILi1024ELi2E21rocsparse_complex_numIdEiiEEvT3_S3_T2_PKS4_S6_PKS3_PKT1_21rocsparse_index_base_S6_S6_S8_PS9_SD_SC_S6_S6_S8_SD_SD_SC_SD_SD_,comdat
	.globl	_ZN9rocsparseL14kernel_freerunILi1024ELi2E21rocsparse_complex_numIdEiiEEvT3_S3_T2_PKS4_S6_PKS3_PKT1_21rocsparse_index_base_S6_S6_S8_PS9_SD_SC_S6_S6_S8_SD_SD_SC_SD_SD_ ; -- Begin function _ZN9rocsparseL14kernel_freerunILi1024ELi2E21rocsparse_complex_numIdEiiEEvT3_S3_T2_PKS4_S6_PKS3_PKT1_21rocsparse_index_base_S6_S6_S8_PS9_SD_SC_S6_S6_S8_SD_SD_SC_SD_SD_
	.p2align	8
	.type	_ZN9rocsparseL14kernel_freerunILi1024ELi2E21rocsparse_complex_numIdEiiEEvT3_S3_T2_PKS4_S6_PKS3_PKT1_21rocsparse_index_base_S6_S6_S8_PS9_SD_SC_S6_S6_S8_SD_SD_SC_SD_SD_,@function
_ZN9rocsparseL14kernel_freerunILi1024ELi2E21rocsparse_complex_numIdEiiEEvT3_S3_T2_PKS4_S6_PKS3_PKT1_21rocsparse_index_base_S6_S6_S8_PS9_SD_SC_S6_S6_S8_SD_SD_SC_SD_SD_: ; @_ZN9rocsparseL14kernel_freerunILi1024ELi2E21rocsparse_complex_numIdEiiEEvT3_S3_T2_PKS4_S6_PKS3_PKT1_21rocsparse_index_base_S6_S6_S8_PS9_SD_SC_S6_S6_S8_SD_SD_SC_SD_SD_
; %bb.0:
	s_load_dwordx2 s[34:35], s[4:5], 0x0
	v_lshrrev_b32_e32 v1, 1, v0
	s_lshl_b32 s73, s6, 10
	v_or_b32_e32 v24, s73, v1
	s_mov_b32 s33, 0
	s_waitcnt lgkmcnt(0)
	s_cmp_gt_i32 s34, 0
	v_cmp_gt_i32_e32 vcc, s35, v24
	s_cselect_b64 s[0:1], -1, 0
	s_and_b64 s[0:1], vcc, s[0:1]
	s_and_saveexec_b64 s[2:3], s[0:1]
	s_cbranch_execz .LBB43_72
; %bb.1:
	s_load_dwordx4 s[36:39], s[4:5], 0x98
	s_load_dwordx8 s[8:15], s[4:5], 0x68
	s_load_dwordx8 s[16:23], s[4:5], 0x38
	;; [unrolled: 1-line block ×3, first 2 shown]
	s_load_dword s70, s[4:5], 0x30
	s_load_dwordx2 s[40:41], s[4:5], 0x58
	s_load_dword s71, s[4:5], 0x60
	s_load_dwordx2 s[42:43], s[4:5], 0x88
	s_load_dword s72, s[4:5], 0x90
	v_and_b32_e32 v0, 1, v0
	s_addk_i32 s73, 0x400
	s_mov_b32 s44, 0
	s_waitcnt lgkmcnt(0)
	v_subrev_u32_e32 v25, s70, v0
	v_cmp_gt_u32_e64 s[0:1], s73, v24
	v_subrev_u32_e32 v26, s71, v0
	v_subrev_u32_e32 v27, s72, v0
	v_cmp_eq_u32_e64 s[2:3], 0, v0
	v_mov_b32_e32 v5, 0
	s_brev_b32 s45, 8
	v_mov_b32_e32 v28, 0x260
	s_movk_i32 s74, 0x1f8
	v_mov_b32_e32 v29, 0x100
	v_mov_b32_e32 v30, 0xffffff80
	s_branch .LBB43_3
.LBB43_2:                               ;   in Loop: Header=BB43_3 Depth=1
	s_or_b64 exec, exec, s[4:5]
	s_add_i32 s33, s33, 1
	s_cmp_eq_u32 s33, s34
	s_cbranch_scc1 .LBB43_72
.LBB43_3:                               ; =>This Loop Header: Depth=1
                                        ;     Child Loop BB43_5 Depth 2
                                        ;       Child Loop BB43_9 Depth 3
                                        ;         Child Loop BB43_13 Depth 4
                                        ;         Child Loop BB43_43 Depth 4
	;; [unrolled: 1-line block ×3, first 2 shown]
                                        ;     Child Loop BB43_63 Depth 2
                                        ;       Child Loop BB43_66 Depth 3
                                        ;       Child Loop BB43_69 Depth 3
	s_mov_b32 s4, 0
	s_mov_b64 s[46:47], -1
	s_branch .LBB43_5
.LBB43_4:                               ;   in Loop: Header=BB43_5 Depth=2
	s_or_b64 exec, exec, s[48:49]
	s_xor_b64 s[6:7], s[46:47], -1
	s_movk_i32 s4, 0x200
	s_mov_b64 s[46:47], 0
	s_and_b64 vcc, exec, s[6:7]
	s_cbranch_vccnz .LBB43_60
.LBB43_5:                               ;   Parent Loop BB43_3 Depth=1
                                        ; =>  This Loop Header: Depth=2
                                        ;       Child Loop BB43_9 Depth 3
                                        ;         Child Loop BB43_13 Depth 4
                                        ;         Child Loop BB43_43 Depth 4
	;; [unrolled: 1-line block ×3, first 2 shown]
	v_or_b32_e32 v6, s4, v24
	v_cmp_gt_i32_e32 vcc, s35, v6
	s_and_saveexec_b64 s[48:49], vcc
	s_cbranch_execz .LBB43_4
; %bb.6:                                ;   in Loop: Header=BB43_5 Depth=2
	v_ashrrev_i32_e32 v7, 31, v6
	v_lshlrev_b64 v[0:1], 2, v[6:7]
	v_mov_b32_e32 v3, s25
	v_add_co_u32_e32 v2, vcc, s24, v0
	v_addc_co_u32_e32 v3, vcc, v3, v1, vcc
	global_load_dword v4, v[2:3], off
	v_mov_b32_e32 v3, s27
	v_add_co_u32_e32 v2, vcc, s26, v0
	v_addc_co_u32_e32 v3, vcc, v3, v1, vcc
	global_load_dword v2, v[2:3], off
	s_waitcnt vmcnt(1)
	v_add_u32_e32 v7, v25, v4
	s_waitcnt vmcnt(0)
	v_subrev_u32_e32 v31, s70, v2
	v_cmp_lt_i32_e32 vcc, v7, v31
	s_and_b64 exec, exec, vcc
	s_cbranch_execz .LBB43_4
; %bb.7:                                ;   in Loop: Header=BB43_5 Depth=2
	v_mov_b32_e32 v3, s19
	v_add_co_u32_e32 v2, vcc, s18, v0
	v_addc_co_u32_e32 v3, vcc, v3, v1, vcc
	v_mov_b32_e32 v4, s17
	v_add_co_u32_e32 v0, vcc, s16, v0
	v_addc_co_u32_e32 v1, vcc, v4, v1, vcc
	global_load_dword v0, v[0:1], off
	s_nop 0
	global_load_dword v1, v[2:3], off
	v_mov_b32_e32 v4, s21
	v_mov_b32_e32 v8, s23
	s_mov_b64 s[50:51], 0
	s_waitcnt vmcnt(1)
	v_subrev_u32_e32 v9, s71, v0
	v_ashrrev_i32_e32 v10, 31, v9
	s_waitcnt vmcnt(0)
	v_sub_u32_e32 v32, v1, v0
	v_lshlrev_b64 v[0:1], 2, v[9:10]
	v_lshlrev_b64 v[2:3], 4, v[9:10]
	v_add_co_u32_e32 v33, vcc, s20, v0
	v_addc_co_u32_e32 v34, vcc, v4, v1, vcc
	v_add_co_u32_e32 v35, vcc, s22, v2
	v_cmp_lt_i32_e64 s[4:5], 0, v32
	v_addc_co_u32_e32 v36, vcc, v8, v3, vcc
	s_branch .LBB43_9
.LBB43_8:                               ;   in Loop: Header=BB43_9 Depth=3
	s_or_b64 exec, exec, s[52:53]
	v_add_u32_e32 v7, 2, v7
	v_cmp_ge_i32_e32 vcc, v7, v31
	s_or_b64 s[50:51], vcc, s[50:51]
	s_andn2_b64 exec, exec, s[50:51]
	s_cbranch_execz .LBB43_4
.LBB43_9:                               ;   Parent Loop BB43_3 Depth=1
                                        ;     Parent Loop BB43_5 Depth=2
                                        ; =>    This Loop Header: Depth=3
                                        ;         Child Loop BB43_13 Depth 4
                                        ;         Child Loop BB43_43 Depth 4
	;; [unrolled: 1-line block ×3, first 2 shown]
	v_ashrrev_i32_e32 v8, 31, v7
	v_lshlrev_b64 v[0:1], 2, v[7:8]
	v_mov_b32_e32 v2, s29
	v_add_co_u32_e32 v0, vcc, s28, v0
	v_addc_co_u32_e32 v1, vcc, v2, v1, vcc
	global_load_dword v0, v[0:1], off
	v_mov_b32_e32 v3, s9
	v_mov_b32_e32 v4, s11
	s_waitcnt vmcnt(0)
	v_subrev_u32_e32 v12, s70, v0
	v_ashrrev_i32_e32 v13, 31, v12
	v_lshlrev_b64 v[0:1], 2, v[12:13]
	v_add_co_u32_e32 v2, vcc, s8, v0
	v_addc_co_u32_e32 v3, vcc, v3, v1, vcc
	v_add_co_u32_e32 v0, vcc, s10, v0
	v_addc_co_u32_e32 v1, vcc, v4, v1, vcc
	global_load_dword v10, v[2:3], off
	global_load_dword v11, v[0:1], off
	v_mov_b32_e32 v4, 0
	v_mov_b32_e32 v0, 0
	v_mov_b32_e32 v2, 0
	v_mov_b32_e32 v1, 0
	v_mov_b32_e32 v3, 0
	v_mov_b32_e32 v15, v4
	s_waitcnt vmcnt(1)
	v_subrev_u32_e32 v14, s72, v10
	s_waitcnt vmcnt(0)
	v_sub_u32_e32 v37, v11, v10
	s_and_saveexec_b64 s[6:7], s[4:5]
	s_cbranch_execz .LBB43_17
; %bb.10:                               ;   in Loop: Header=BB43_9 Depth=3
	v_ashrrev_i32_e32 v15, 31, v14
	v_lshlrev_b64 v[0:1], 2, v[14:15]
	v_mov_b32_e32 v2, s13
	v_add_co_u32_e32 v10, vcc, s12, v0
	v_addc_co_u32_e32 v11, vcc, v2, v1, vcc
	v_lshlrev_b64 v[0:1], 4, v[14:15]
	v_mov_b32_e32 v2, s15
	v_add_co_u32_e32 v17, vcc, s14, v0
	v_addc_co_u32_e32 v18, vcc, v2, v1, vcc
	v_mov_b32_e32 v0, 0
	v_mov_b32_e32 v15, 0
	;; [unrolled: 1-line block ×4, first 2 shown]
	s_mov_b64 s[52:53], 0
	v_mov_b32_e32 v3, 0
	v_mov_b32_e32 v4, v15
                                        ; implicit-def: $sgpr54_sgpr55
	s_branch .LBB43_13
.LBB43_11:                              ;   in Loop: Header=BB43_13 Depth=4
	s_or_b64 exec, exec, s[58:59]
	v_cmp_le_i32_e32 vcc, v19, v20
	v_addc_co_u32_e32 v4, vcc, 0, v4, vcc
	v_cmp_ge_i32_e32 vcc, v19, v20
	v_addc_co_u32_e32 v15, vcc, 0, v15, vcc
	v_cmp_ge_i32_e32 vcc, v4, v32
	s_andn2_b64 s[54:55], s[54:55], exec
	s_and_b64 s[58:59], vcc, exec
	s_or_b64 s[54:55], s[54:55], s[58:59]
.LBB43_12:                              ;   in Loop: Header=BB43_13 Depth=4
	s_or_b64 exec, exec, s[56:57]
	s_and_b64 s[56:57], exec, s[54:55]
	s_or_b64 s[52:53], s[56:57], s[52:53]
	s_andn2_b64 exec, exec, s[52:53]
	s_cbranch_execz .LBB43_16
.LBB43_13:                              ;   Parent Loop BB43_3 Depth=1
                                        ;     Parent Loop BB43_5 Depth=2
                                        ;       Parent Loop BB43_9 Depth=3
                                        ; =>      This Inner Loop Header: Depth=4
	v_cmp_lt_i32_e32 vcc, v15, v37
	s_or_b64 s[54:55], s[54:55], exec
	s_and_saveexec_b64 s[56:57], vcc
	s_cbranch_execz .LBB43_12
; %bb.14:                               ;   in Loop: Header=BB43_13 Depth=4
	v_lshlrev_b64 v[19:20], 2, v[4:5]
	v_mov_b32_e32 v16, v5
	v_add_co_u32_e32 v19, vcc, v33, v19
	v_addc_co_u32_e32 v20, vcc, v34, v20, vcc
	global_load_dword v21, v[19:20], off
	v_lshlrev_b64 v[19:20], 2, v[15:16]
	v_add_co_u32_e32 v19, vcc, v10, v19
	v_addc_co_u32_e32 v20, vcc, v11, v20, vcc
	global_load_dword v20, v[19:20], off
	s_waitcnt vmcnt(1)
	v_subrev_u32_e32 v19, s71, v21
	s_waitcnt vmcnt(0)
	v_subrev_u32_e32 v20, s72, v20
	v_cmp_eq_u32_e32 vcc, v19, v20
	s_and_saveexec_b64 s[58:59], vcc
	s_cbranch_execz .LBB43_11
; %bb.15:                               ;   in Loop: Header=BB43_13 Depth=4
	v_lshlrev_b64 v[21:22], 4, v[4:5]
	v_add_co_u32_e32 v21, vcc, v35, v21
	v_addc_co_u32_e32 v22, vcc, v36, v22, vcc
	global_load_dwordx4 v[38:41], v[21:22], off
	v_lshlrev_b64 v[21:22], 4, v[15:16]
	v_add_co_u32_e32 v21, vcc, v17, v21
	v_addc_co_u32_e32 v22, vcc, v18, v22, vcc
	global_load_dwordx4 v[42:45], v[21:22], off
	s_waitcnt vmcnt(0)
	v_fma_f64 v[0:1], v[38:39], v[42:43], v[0:1]
	v_fma_f64 v[2:3], v[40:41], v[42:43], v[2:3]
	v_fma_f64 v[0:1], -v[40:41], v[44:45], v[0:1]
	v_fma_f64 v[2:3], v[38:39], v[44:45], v[2:3]
	s_branch .LBB43_11
.LBB43_16:                              ;   in Loop: Header=BB43_9 Depth=3
	s_or_b64 exec, exec, s[52:53]
.LBB43_17:                              ;   in Loop: Header=BB43_9 Depth=3
	s_or_b64 exec, exec, s[6:7]
	v_lshlrev_b64 v[10:11], 4, v[7:8]
	v_mov_b32_e32 v8, s31
	v_add_co_u32_e32 v10, vcc, s30, v10
	v_addc_co_u32_e32 v11, vcc, v8, v11, vcc
	global_load_dwordx4 v[16:19], v[10:11], off
	v_cmp_le_i32_e64 s[6:7], v6, v12
	v_cmp_gt_i32_e32 vcc, v6, v12
	s_waitcnt vmcnt(0)
	v_add_f64 v[16:17], v[16:17], -v[0:1]
	v_add_f64 v[10:11], v[18:19], -v[2:3]
	s_and_saveexec_b64 s[52:53], vcc
	s_cbranch_execz .LBB43_27
; %bb.18:                               ;   in Loop: Header=BB43_9 Depth=3
	v_lshlrev_b64 v[0:1], 4, v[12:13]
	v_mov_b32_e32 v2, s37
	v_add_co_u32_e32 v0, vcc, s36, v0
	v_addc_co_u32_e32 v1, vcc, v2, v1, vcc
	global_load_dwordx4 v[0:3], v[0:1], off
                                        ; implicit-def: $vgpr22_vgpr23
	s_waitcnt vmcnt(0)
	v_cmp_gt_f64_e32 vcc, 0, v[0:1]
	v_xor_b32_e32 v8, 0x80000000, v1
	v_xor_b32_e32 v20, 0x80000000, v3
	v_mov_b32_e32 v18, v0
	v_cndmask_b32_e32 v19, v1, v8, vcc
	v_cmp_gt_f64_e32 vcc, 0, v[2:3]
	v_cndmask_b32_e32 v21, v3, v20, vcc
	v_mov_b32_e32 v20, v2
	v_cmp_ngt_f64_e32 vcc, v[18:19], v[20:21]
	s_and_saveexec_b64 s[54:55], vcc
	s_xor_b64 s[54:55], exec, s[54:55]
	s_cbranch_execz .LBB43_22
; %bb.19:                               ;   in Loop: Header=BB43_9 Depth=3
	v_cmp_neq_f64_e32 vcc, 0, v[2:3]
	v_mov_b32_e32 v22, 0
	v_mov_b32_e32 v23, 0
	s_and_saveexec_b64 s[56:57], vcc
	s_cbranch_execz .LBB43_21
; %bb.20:                               ;   in Loop: Header=BB43_9 Depth=3
	v_div_scale_f64 v[22:23], s[58:59], v[20:21], v[20:21], v[18:19]
	v_rcp_f64_e32 v[38:39], v[22:23]
	v_fma_f64 v[40:41], -v[22:23], v[38:39], 1.0
	v_fma_f64 v[38:39], v[38:39], v[40:41], v[38:39]
	v_div_scale_f64 v[40:41], vcc, v[18:19], v[20:21], v[18:19]
	v_fma_f64 v[42:43], -v[22:23], v[38:39], 1.0
	v_fma_f64 v[38:39], v[38:39], v[42:43], v[38:39]
	v_mul_f64 v[42:43], v[40:41], v[38:39]
	v_fma_f64 v[22:23], -v[22:23], v[42:43], v[40:41]
	v_div_fmas_f64 v[22:23], v[22:23], v[38:39], v[42:43]
	v_div_fixup_f64 v[18:19], v[22:23], v[20:21], v[18:19]
	v_fma_f64 v[18:19], v[18:19], v[18:19], 1.0
	v_cmp_gt_f64_e32 vcc, s[44:45], v[18:19]
	v_cndmask_b32_e32 v8, 0, v29, vcc
	v_ldexp_f64 v[18:19], v[18:19], v8
	v_cndmask_b32_e32 v8, 0, v30, vcc
	v_rsq_f64_e32 v[22:23], v[18:19]
	v_cmp_class_f64_e32 vcc, v[18:19], v28
	v_mul_f64 v[38:39], v[18:19], v[22:23]
	v_mul_f64 v[22:23], v[22:23], 0.5
	v_fma_f64 v[40:41], -v[22:23], v[38:39], 0.5
	v_fma_f64 v[38:39], v[38:39], v[40:41], v[38:39]
	v_fma_f64 v[22:23], v[22:23], v[40:41], v[22:23]
	v_fma_f64 v[40:41], -v[38:39], v[38:39], v[18:19]
	v_fma_f64 v[38:39], v[40:41], v[22:23], v[38:39]
	v_fma_f64 v[40:41], -v[38:39], v[38:39], v[18:19]
	v_fma_f64 v[22:23], v[40:41], v[22:23], v[38:39]
	v_ldexp_f64 v[22:23], v[22:23], v8
	v_cndmask_b32_e32 v19, v23, v19, vcc
	v_cndmask_b32_e32 v18, v22, v18, vcc
	v_mul_f64 v[22:23], v[20:21], v[18:19]
.LBB43_21:                              ;   in Loop: Header=BB43_9 Depth=3
	s_or_b64 exec, exec, s[56:57]
                                        ; implicit-def: $vgpr18_vgpr19
                                        ; implicit-def: $vgpr20_vgpr21
.LBB43_22:                              ;   in Loop: Header=BB43_9 Depth=3
	s_andn2_saveexec_b64 s[54:55], s[54:55]
	s_cbranch_execz .LBB43_24
; %bb.23:                               ;   in Loop: Header=BB43_9 Depth=3
	v_div_scale_f64 v[22:23], s[56:57], v[18:19], v[18:19], v[20:21]
	v_rcp_f64_e32 v[38:39], v[22:23]
	v_fma_f64 v[40:41], -v[22:23], v[38:39], 1.0
	v_fma_f64 v[38:39], v[38:39], v[40:41], v[38:39]
	v_div_scale_f64 v[40:41], vcc, v[20:21], v[18:19], v[20:21]
	v_fma_f64 v[42:43], -v[22:23], v[38:39], 1.0
	v_fma_f64 v[38:39], v[38:39], v[42:43], v[38:39]
	v_mul_f64 v[42:43], v[40:41], v[38:39]
	v_fma_f64 v[22:23], -v[22:23], v[42:43], v[40:41]
	v_div_fmas_f64 v[22:23], v[22:23], v[38:39], v[42:43]
	v_div_fixup_f64 v[20:21], v[22:23], v[18:19], v[20:21]
	v_fma_f64 v[20:21], v[20:21], v[20:21], 1.0
	v_cmp_gt_f64_e32 vcc, s[44:45], v[20:21]
	v_cndmask_b32_e32 v8, 0, v29, vcc
	v_ldexp_f64 v[20:21], v[20:21], v8
	v_cndmask_b32_e32 v8, 0, v30, vcc
	v_rsq_f64_e32 v[22:23], v[20:21]
	v_cmp_class_f64_e32 vcc, v[20:21], v28
	v_mul_f64 v[38:39], v[20:21], v[22:23]
	v_mul_f64 v[22:23], v[22:23], 0.5
	v_fma_f64 v[40:41], -v[22:23], v[38:39], 0.5
	v_fma_f64 v[38:39], v[38:39], v[40:41], v[38:39]
	v_fma_f64 v[22:23], v[22:23], v[40:41], v[22:23]
	v_fma_f64 v[40:41], -v[38:39], v[38:39], v[20:21]
	v_fma_f64 v[38:39], v[40:41], v[22:23], v[38:39]
	v_fma_f64 v[40:41], -v[38:39], v[38:39], v[20:21]
	v_fma_f64 v[22:23], v[40:41], v[22:23], v[38:39]
	v_ldexp_f64 v[22:23], v[22:23], v8
	v_cndmask_b32_e32 v21, v23, v21, vcc
	v_cndmask_b32_e32 v20, v22, v20, vcc
	v_mul_f64 v[22:23], v[18:19], v[20:21]
.LBB43_24:                              ;   in Loop: Header=BB43_9 Depth=3
	s_or_b64 exec, exec, s[54:55]
	v_cmp_lt_f64_e32 vcc, 0, v[22:23]
	v_mov_b32_e32 v18, 0
	v_mov_b32_e32 v20, 0
	;; [unrolled: 1-line block ×4, first 2 shown]
	s_and_saveexec_b64 s[54:55], vcc
	s_cbranch_execz .LBB43_26
; %bb.25:                               ;   in Loop: Header=BB43_9 Depth=3
	v_mul_f64 v[18:19], v[2:3], v[2:3]
	v_fma_f64 v[18:19], v[0:1], v[0:1], v[18:19]
	v_div_scale_f64 v[20:21], s[56:57], v[18:19], v[18:19], 1.0
	v_rcp_f64_e32 v[22:23], v[20:21]
	v_fma_f64 v[38:39], -v[20:21], v[22:23], 1.0
	v_fma_f64 v[22:23], v[22:23], v[38:39], v[22:23]
	v_div_scale_f64 v[38:39], vcc, 1.0, v[18:19], 1.0
	v_fma_f64 v[40:41], -v[20:21], v[22:23], 1.0
	v_fma_f64 v[22:23], v[22:23], v[40:41], v[22:23]
	v_mul_f64 v[40:41], v[38:39], v[22:23]
	v_fma_f64 v[20:21], -v[20:21], v[40:41], v[38:39]
	v_div_fmas_f64 v[20:21], v[20:21], v[22:23], v[40:41]
	v_mul_f64 v[22:23], v[10:11], v[2:3]
	v_mul_f64 v[2:3], v[2:3], -v[16:17]
	v_fma_f64 v[16:17], v[16:17], v[0:1], v[22:23]
	v_fma_f64 v[0:1], v[10:11], v[0:1], v[2:3]
	v_div_fixup_f64 v[20:21], v[20:21], v[18:19], 1.0
	v_mul_f64 v[18:19], v[16:17], v[20:21]
	v_mul_f64 v[20:21], v[0:1], v[20:21]
.LBB43_26:                              ;   in Loop: Header=BB43_9 Depth=3
	s_or_b64 exec, exec, s[54:55]
	v_mov_b32_e32 v16, v18
	v_mov_b32_e32 v10, v20
	;; [unrolled: 1-line block ×4, first 2 shown]
.LBB43_27:                              ;   in Loop: Header=BB43_9 Depth=3
	s_or_b64 exec, exec, s[52:53]
	v_cmp_gt_f64_e32 vcc, 0, v[16:17]
	v_xor_b32_e32 v0, 0x80000000, v17
	v_xor_b32_e32 v2, 0x80000000, v11
                                        ; implicit-def: $vgpr18_vgpr19
	v_cndmask_b32_e32 v1, v17, v0, vcc
	v_cmp_gt_f64_e32 vcc, 0, v[10:11]
	v_mov_b32_e32 v0, v16
	v_cndmask_b32_e32 v3, v11, v2, vcc
	v_mov_b32_e32 v2, v10
	v_cmp_ngt_f64_e32 vcc, v[0:1], v[2:3]
	s_and_saveexec_b64 s[52:53], vcc
	s_xor_b64 s[52:53], exec, s[52:53]
	s_cbranch_execnz .LBB43_30
; %bb.28:                               ;   in Loop: Header=BB43_9 Depth=3
	s_andn2_saveexec_b64 s[52:53], s[52:53]
	s_cbranch_execnz .LBB43_33
.LBB43_29:                              ;   in Loop: Header=BB43_9 Depth=3
	s_or_b64 exec, exec, s[52:53]
	v_cmp_class_f64_e64 s[54:55], v[18:19], s74
	s_and_saveexec_b64 s[52:53], s[54:55]
	s_cbranch_execz .LBB43_8
	s_branch .LBB43_34
.LBB43_30:                              ;   in Loop: Header=BB43_9 Depth=3
	v_cmp_neq_f64_e32 vcc, 0, v[10:11]
	v_mov_b32_e32 v18, 0
	v_mov_b32_e32 v19, 0
	s_and_saveexec_b64 s[54:55], vcc
	s_cbranch_execz .LBB43_32
; %bb.31:                               ;   in Loop: Header=BB43_9 Depth=3
	v_div_scale_f64 v[18:19], s[56:57], v[2:3], v[2:3], v[0:1]
	v_rcp_f64_e32 v[20:21], v[18:19]
	v_fma_f64 v[22:23], -v[18:19], v[20:21], 1.0
	v_fma_f64 v[20:21], v[20:21], v[22:23], v[20:21]
	v_div_scale_f64 v[22:23], vcc, v[0:1], v[2:3], v[0:1]
	v_fma_f64 v[38:39], -v[18:19], v[20:21], 1.0
	v_fma_f64 v[20:21], v[20:21], v[38:39], v[20:21]
	v_mul_f64 v[38:39], v[22:23], v[20:21]
	v_fma_f64 v[18:19], -v[18:19], v[38:39], v[22:23]
	v_div_fmas_f64 v[18:19], v[18:19], v[20:21], v[38:39]
	v_div_fixup_f64 v[0:1], v[18:19], v[2:3], v[0:1]
	v_fma_f64 v[0:1], v[0:1], v[0:1], 1.0
	v_cmp_gt_f64_e32 vcc, s[44:45], v[0:1]
	v_cndmask_b32_e32 v8, 0, v29, vcc
	v_ldexp_f64 v[0:1], v[0:1], v8
	v_cndmask_b32_e32 v8, 0, v30, vcc
	v_rsq_f64_e32 v[18:19], v[0:1]
	v_cmp_class_f64_e32 vcc, v[0:1], v28
	v_mul_f64 v[20:21], v[0:1], v[18:19]
	v_mul_f64 v[18:19], v[18:19], 0.5
	v_fma_f64 v[22:23], -v[18:19], v[20:21], 0.5
	v_fma_f64 v[20:21], v[20:21], v[22:23], v[20:21]
	v_fma_f64 v[18:19], v[18:19], v[22:23], v[18:19]
	v_fma_f64 v[22:23], -v[20:21], v[20:21], v[0:1]
	v_fma_f64 v[20:21], v[22:23], v[18:19], v[20:21]
	v_fma_f64 v[22:23], -v[20:21], v[20:21], v[0:1]
	v_fma_f64 v[18:19], v[22:23], v[18:19], v[20:21]
	v_ldexp_f64 v[18:19], v[18:19], v8
	v_cndmask_b32_e32 v1, v19, v1, vcc
	v_cndmask_b32_e32 v0, v18, v0, vcc
	v_mul_f64 v[18:19], v[2:3], v[0:1]
.LBB43_32:                              ;   in Loop: Header=BB43_9 Depth=3
	s_or_b64 exec, exec, s[54:55]
                                        ; implicit-def: $vgpr0_vgpr1
                                        ; implicit-def: $vgpr2_vgpr3
	s_andn2_saveexec_b64 s[52:53], s[52:53]
	s_cbranch_execz .LBB43_29
.LBB43_33:                              ;   in Loop: Header=BB43_9 Depth=3
	v_div_scale_f64 v[18:19], s[54:55], v[0:1], v[0:1], v[2:3]
	v_rcp_f64_e32 v[20:21], v[18:19]
	v_fma_f64 v[22:23], -v[18:19], v[20:21], 1.0
	v_fma_f64 v[20:21], v[20:21], v[22:23], v[20:21]
	v_div_scale_f64 v[22:23], vcc, v[2:3], v[0:1], v[2:3]
	v_fma_f64 v[38:39], -v[18:19], v[20:21], 1.0
	v_fma_f64 v[20:21], v[20:21], v[38:39], v[20:21]
	v_mul_f64 v[38:39], v[22:23], v[20:21]
	v_fma_f64 v[18:19], -v[18:19], v[38:39], v[22:23]
	v_div_fmas_f64 v[18:19], v[18:19], v[20:21], v[38:39]
	v_div_fixup_f64 v[2:3], v[18:19], v[0:1], v[2:3]
	v_fma_f64 v[2:3], v[2:3], v[2:3], 1.0
	v_cmp_gt_f64_e32 vcc, s[44:45], v[2:3]
	v_cndmask_b32_e32 v8, 0, v29, vcc
	v_ldexp_f64 v[2:3], v[2:3], v8
	v_cndmask_b32_e32 v8, 0, v30, vcc
	v_rsq_f64_e32 v[18:19], v[2:3]
	v_cmp_class_f64_e32 vcc, v[2:3], v28
	v_mul_f64 v[20:21], v[2:3], v[18:19]
	v_mul_f64 v[18:19], v[18:19], 0.5
	v_fma_f64 v[22:23], -v[18:19], v[20:21], 0.5
	v_fma_f64 v[20:21], v[20:21], v[22:23], v[20:21]
	v_fma_f64 v[18:19], v[18:19], v[22:23], v[18:19]
	v_fma_f64 v[22:23], -v[20:21], v[20:21], v[2:3]
	v_fma_f64 v[20:21], v[22:23], v[18:19], v[20:21]
	v_fma_f64 v[22:23], -v[20:21], v[20:21], v[2:3]
	v_fma_f64 v[18:19], v[22:23], v[18:19], v[20:21]
	v_ldexp_f64 v[18:19], v[18:19], v8
	v_cndmask_b32_e32 v3, v19, v3, vcc
	v_cndmask_b32_e32 v2, v18, v2, vcc
	v_mul_f64 v[18:19], v[0:1], v[2:3]
	s_or_b64 exec, exec, s[52:53]
	v_cmp_class_f64_e64 s[54:55], v[18:19], s74
	s_and_saveexec_b64 s[52:53], s[54:55]
	s_cbranch_execz .LBB43_8
.LBB43_34:                              ;   in Loop: Header=BB43_9 Depth=3
	s_mov_b64 s[54:55], 0
                                        ; implicit-def: $vgpr0_vgpr1
	s_and_saveexec_b64 s[56:57], s[6:7]
	s_xor_b64 s[6:7], exec, s[56:57]
	s_cbranch_execnz .LBB43_37
; %bb.35:                               ;   in Loop: Header=BB43_9 Depth=3
	s_andn2_saveexec_b64 s[6:7], s[6:7]
	s_cbranch_execnz .LBB43_50
.LBB43_36:                              ;   in Loop: Header=BB43_9 Depth=3
	s_or_b64 exec, exec, s[6:7]
	s_and_b64 exec, exec, s[54:55]
	s_cbranch_execz .LBB43_8
	s_branch .LBB43_59
.LBB43_37:                              ;   in Loop: Header=BB43_9 Depth=3
	v_cmp_ge_i32_e32 vcc, v6, v12
                                        ; implicit-def: $vgpr0_vgpr1
	s_and_saveexec_b64 s[56:57], vcc
	s_xor_b64 s[56:57], exec, s[56:57]
	s_cbranch_execz .LBB43_39
; %bb.38:                               ;   in Loop: Header=BB43_9 Depth=3
	v_lshlrev_b64 v[0:1], 4, v[12:13]
	v_mov_b32_e32 v2, s39
	v_add_co_u32_e32 v0, vcc, s38, v0
	v_addc_co_u32_e32 v1, vcc, v2, v1, vcc
	s_mov_b64 s[54:55], exec
	global_store_dwordx2 v[0:1], v[16:17], off
                                        ; implicit-def: $vgpr15
                                        ; implicit-def: $vgpr37
                                        ; implicit-def: $vgpr16_vgpr17
                                        ; implicit-def: $vgpr14
.LBB43_39:                              ;   in Loop: Header=BB43_9 Depth=3
	s_andn2_saveexec_b64 s[56:57], s[56:57]
	s_cbranch_execz .LBB43_49
; %bb.40:                               ;   in Loop: Header=BB43_9 Depth=3
	v_cmp_lt_i32_e32 vcc, v15, v37
	s_mov_b64 s[60:61], s[54:55]
                                        ; implicit-def: $vgpr0_vgpr1
	s_and_saveexec_b64 s[58:59], vcc
	s_cbranch_execz .LBB43_48
; %bb.41:                               ;   in Loop: Header=BB43_9 Depth=3
	s_mov_b64 s[62:63], 0
                                        ; implicit-def: $sgpr60_sgpr61
                                        ; implicit-def: $sgpr66_sgpr67
                                        ; implicit-def: $sgpr64_sgpr65
	s_branch .LBB43_43
.LBB43_42:                              ;   in Loop: Header=BB43_43 Depth=4
	s_or_b64 exec, exec, s[68:69]
	s_and_b64 s[68:69], exec, s[66:67]
	s_or_b64 s[62:63], s[68:69], s[62:63]
	s_andn2_b64 s[60:61], s[60:61], exec
	s_and_b64 s[68:69], s[64:65], exec
	s_or_b64 s[60:61], s[60:61], s[68:69]
	s_andn2_b64 exec, exec, s[62:63]
	s_cbranch_execz .LBB43_45
.LBB43_43:                              ;   Parent Loop BB43_3 Depth=1
                                        ;     Parent Loop BB43_5 Depth=2
                                        ;       Parent Loop BB43_9 Depth=3
                                        ; =>      This Inner Loop Header: Depth=4
	v_add_u32_e32 v2, v14, v15
	v_ashrrev_i32_e32 v3, 31, v2
	v_lshlrev_b64 v[0:1], 2, v[2:3]
	v_mov_b32_e32 v4, s13
	v_add_co_u32_e32 v0, vcc, s12, v0
	v_addc_co_u32_e32 v1, vcc, v4, v1, vcc
	global_load_dword v0, v[0:1], off
	s_or_b64 s[64:65], s[64:65], exec
	s_or_b64 s[66:67], s[66:67], exec
	s_waitcnt vmcnt(0)
	v_subrev_u32_e32 v0, s72, v0
	v_cmp_ne_u32_e32 vcc, v0, v6
	s_and_saveexec_b64 s[68:69], vcc
	s_cbranch_execz .LBB43_42
; %bb.44:                               ;   in Loop: Header=BB43_43 Depth=4
	v_add_u32_e32 v15, 1, v15
	v_cmp_ge_i32_e32 vcc, v15, v37
	s_andn2_b64 s[66:67], s[66:67], exec
	s_and_b64 s[76:77], vcc, exec
	s_andn2_b64 s[64:65], s[64:65], exec
	s_or_b64 s[66:67], s[66:67], s[76:77]
	s_branch .LBB43_42
.LBB43_45:                              ;   in Loop: Header=BB43_9 Depth=3
	s_or_b64 exec, exec, s[62:63]
	s_mov_b64 s[62:63], s[54:55]
                                        ; implicit-def: $vgpr0_vgpr1
	s_and_saveexec_b64 s[64:65], s[60:61]
	s_xor_b64 s[60:61], exec, s[64:65]
	s_cbranch_execz .LBB43_47
; %bb.46:                               ;   in Loop: Header=BB43_9 Depth=3
	v_lshlrev_b64 v[0:1], 4, v[2:3]
	v_mov_b32_e32 v2, s43
	v_add_co_u32_e32 v0, vcc, s42, v0
	v_addc_co_u32_e32 v1, vcc, v2, v1, vcc
	s_or_b64 s[62:63], s[54:55], exec
	global_store_dwordx2 v[0:1], v[16:17], off
.LBB43_47:                              ;   in Loop: Header=BB43_9 Depth=3
	s_or_b64 exec, exec, s[60:61]
	s_andn2_b64 s[60:61], s[54:55], exec
	s_and_b64 s[62:63], s[62:63], exec
	s_or_b64 s[60:61], s[60:61], s[62:63]
.LBB43_48:                              ;   in Loop: Header=BB43_9 Depth=3
	s_or_b64 exec, exec, s[58:59]
	s_andn2_b64 s[54:55], s[54:55], exec
	s_and_b64 s[58:59], s[60:61], exec
	s_or_b64 s[54:55], s[54:55], s[58:59]
.LBB43_49:                              ;   in Loop: Header=BB43_9 Depth=3
	s_or_b64 exec, exec, s[56:57]
	s_and_b64 s[54:55], s[54:55], exec
                                        ; implicit-def: $vgpr16_vgpr17
                                        ; implicit-def: $vgpr12_vgpr13
	s_andn2_saveexec_b64 s[6:7], s[6:7]
	s_cbranch_execz .LBB43_36
.LBB43_50:                              ;   in Loop: Header=BB43_9 Depth=3
	v_cmp_lt_i32_e32 vcc, v4, v32
	s_mov_b64 s[58:59], s[54:55]
                                        ; implicit-def: $vgpr0_vgpr1
	s_and_saveexec_b64 s[56:57], vcc
	s_cbranch_execz .LBB43_58
; %bb.51:                               ;   in Loop: Header=BB43_9 Depth=3
	s_mov_b64 s[60:61], 0
                                        ; implicit-def: $sgpr58_sgpr59
                                        ; implicit-def: $sgpr64_sgpr65
                                        ; implicit-def: $sgpr62_sgpr63
	s_branch .LBB43_53
.LBB43_52:                              ;   in Loop: Header=BB43_53 Depth=4
	s_or_b64 exec, exec, s[66:67]
	s_and_b64 s[66:67], exec, s[64:65]
	s_or_b64 s[60:61], s[66:67], s[60:61]
	s_andn2_b64 s[58:59], s[58:59], exec
	s_and_b64 s[66:67], s[62:63], exec
	s_or_b64 s[58:59], s[58:59], s[66:67]
	s_andn2_b64 exec, exec, s[60:61]
	s_cbranch_execz .LBB43_55
.LBB43_53:                              ;   Parent Loop BB43_3 Depth=1
                                        ;     Parent Loop BB43_5 Depth=2
                                        ;       Parent Loop BB43_9 Depth=3
                                        ; =>      This Inner Loop Header: Depth=4
	v_add_u32_e32 v2, v9, v4
	v_ashrrev_i32_e32 v3, 31, v2
	v_lshlrev_b64 v[0:1], 2, v[2:3]
	v_mov_b32_e32 v8, s21
	v_add_co_u32_e32 v0, vcc, s20, v0
	v_addc_co_u32_e32 v1, vcc, v8, v1, vcc
	global_load_dword v0, v[0:1], off
	s_or_b64 s[62:63], s[62:63], exec
	s_or_b64 s[64:65], s[64:65], exec
	s_waitcnt vmcnt(0)
	v_subrev_u32_e32 v0, s71, v0
	v_cmp_ne_u32_e32 vcc, v0, v12
	s_and_saveexec_b64 s[66:67], vcc
	s_cbranch_execz .LBB43_52
; %bb.54:                               ;   in Loop: Header=BB43_53 Depth=4
	v_add_u32_e32 v4, 1, v4
	v_cmp_ge_i32_e32 vcc, v4, v32
	s_andn2_b64 s[64:65], s[64:65], exec
	s_and_b64 s[68:69], vcc, exec
	s_andn2_b64 s[62:63], s[62:63], exec
	s_or_b64 s[64:65], s[64:65], s[68:69]
	s_branch .LBB43_52
.LBB43_55:                              ;   in Loop: Header=BB43_9 Depth=3
	s_or_b64 exec, exec, s[60:61]
	s_mov_b64 s[60:61], s[54:55]
                                        ; implicit-def: $vgpr0_vgpr1
	s_and_saveexec_b64 s[62:63], s[58:59]
	s_xor_b64 s[58:59], exec, s[62:63]
	s_cbranch_execz .LBB43_57
; %bb.56:                               ;   in Loop: Header=BB43_9 Depth=3
	v_lshlrev_b64 v[0:1], 4, v[2:3]
	v_mov_b32_e32 v2, s41
	v_add_co_u32_e32 v0, vcc, s40, v0
	v_addc_co_u32_e32 v1, vcc, v2, v1, vcc
	s_or_b64 s[60:61], s[54:55], exec
	global_store_dwordx2 v[0:1], v[16:17], off
.LBB43_57:                              ;   in Loop: Header=BB43_9 Depth=3
	s_or_b64 exec, exec, s[58:59]
	s_andn2_b64 s[58:59], s[54:55], exec
	s_and_b64 s[60:61], s[60:61], exec
	s_or_b64 s[58:59], s[58:59], s[60:61]
.LBB43_58:                              ;   in Loop: Header=BB43_9 Depth=3
	s_or_b64 exec, exec, s[56:57]
	s_andn2_b64 s[54:55], s[54:55], exec
	s_and_b64 s[56:57], s[58:59], exec
	s_or_b64 s[54:55], s[54:55], s[56:57]
	s_or_b64 exec, exec, s[6:7]
	s_and_b64 exec, exec, s[54:55]
	s_cbranch_execz .LBB43_8
.LBB43_59:                              ;   in Loop: Header=BB43_9 Depth=3
	global_store_dwordx2 v[0:1], v[10:11], off offset:8
	s_branch .LBB43_8
.LBB43_60:                              ;   in Loop: Header=BB43_3 Depth=1
	s_and_saveexec_b64 s[4:5], s[0:1]
	s_cbranch_execz .LBB43_2
; %bb.61:                               ;   in Loop: Header=BB43_3 Depth=1
	s_mov_b64 s[6:7], 0
	v_mov_b32_e32 v0, v24
	s_branch .LBB43_63
.LBB43_62:                              ;   in Loop: Header=BB43_63 Depth=2
	s_or_b64 exec, exec, s[46:47]
	v_add_u32_e32 v0, 0x200, v0
	v_cmp_le_u32_e32 vcc, s73, v0
	s_or_b64 s[6:7], vcc, s[6:7]
	s_andn2_b64 exec, exec, s[6:7]
	s_cbranch_execz .LBB43_2
.LBB43_63:                              ;   Parent Loop BB43_3 Depth=1
                                        ; =>  This Loop Header: Depth=2
                                        ;       Child Loop BB43_66 Depth 3
                                        ;       Child Loop BB43_69 Depth 3
	v_cmp_gt_i32_e32 vcc, s35, v0
	s_and_saveexec_b64 s[46:47], vcc
	s_cbranch_execz .LBB43_62
; %bb.64:                               ;   in Loop: Header=BB43_63 Depth=2
	v_ashrrev_i32_e32 v1, 31, v0
	v_lshlrev_b64 v[2:3], 2, v[0:1]
	v_mov_b32_e32 v4, s17
	v_add_co_u32_e32 v6, vcc, s16, v2
	v_addc_co_u32_e32 v7, vcc, v4, v3, vcc
	global_load_dword v4, v[6:7], off
	v_mov_b32_e32 v7, s19
	v_add_co_u32_e32 v6, vcc, s18, v2
	v_addc_co_u32_e32 v7, vcc, v7, v3, vcc
	global_load_dword v7, v[6:7], off
	s_waitcnt vmcnt(1)
	v_add_u32_e32 v6, v26, v4
	s_waitcnt vmcnt(0)
	v_subrev_u32_e32 v4, s71, v7
	v_cmp_lt_i32_e32 vcc, v6, v4
	s_and_saveexec_b64 s[48:49], vcc
	s_cbranch_execz .LBB43_67
; %bb.65:                               ;   in Loop: Header=BB43_63 Depth=2
	v_ashrrev_i32_e32 v7, 31, v6
	v_lshlrev_b64 v[9:10], 4, v[6:7]
	v_mov_b32_e32 v8, s23
	v_add_co_u32_e32 v7, vcc, s22, v9
	v_addc_co_u32_e32 v8, vcc, v8, v10, vcc
	v_mov_b32_e32 v11, s41
	v_add_co_u32_e32 v9, vcc, s40, v9
	v_addc_co_u32_e32 v10, vcc, v11, v10, vcc
	s_mov_b64 s[50:51], 0
.LBB43_66:                              ;   Parent Loop BB43_3 Depth=1
                                        ;     Parent Loop BB43_63 Depth=2
                                        ; =>    This Inner Loop Header: Depth=3
	global_load_dwordx4 v[11:14], v[9:10], off
	v_add_co_u32_e32 v9, vcc, 32, v9
	v_add_u32_e32 v6, 2, v6
	v_addc_co_u32_e32 v10, vcc, 0, v10, vcc
	v_cmp_ge_i32_e32 vcc, v6, v4
	s_or_b64 s[50:51], vcc, s[50:51]
	s_waitcnt vmcnt(0)
	global_store_dwordx4 v[7:8], v[11:14], off
	v_add_co_u32_e32 v7, vcc, 32, v7
	v_addc_co_u32_e32 v8, vcc, 0, v8, vcc
	s_andn2_b64 exec, exec, s[50:51]
	s_cbranch_execnz .LBB43_66
.LBB43_67:                              ;   in Loop: Header=BB43_63 Depth=2
	s_or_b64 exec, exec, s[48:49]
	v_mov_b32_e32 v4, s9
	v_add_co_u32_e32 v6, vcc, s8, v2
	v_addc_co_u32_e32 v7, vcc, v4, v3, vcc
	global_load_dword v4, v[6:7], off
	v_mov_b32_e32 v6, s11
	v_add_co_u32_e32 v2, vcc, s10, v2
	v_addc_co_u32_e32 v3, vcc, v6, v3, vcc
	global_load_dword v3, v[2:3], off
	s_waitcnt vmcnt(1)
	v_add_u32_e32 v2, v27, v4
	s_waitcnt vmcnt(0)
	v_subrev_u32_e32 v8, s72, v3
	v_cmp_lt_i32_e32 vcc, v2, v8
	s_and_saveexec_b64 s[48:49], vcc
	s_cbranch_execz .LBB43_70
; %bb.68:                               ;   in Loop: Header=BB43_63 Depth=2
	v_ashrrev_i32_e32 v3, 31, v2
	v_lshlrev_b64 v[6:7], 4, v[2:3]
	v_mov_b32_e32 v4, s15
	v_add_co_u32_e32 v3, vcc, s14, v6
	v_addc_co_u32_e32 v4, vcc, v4, v7, vcc
	v_mov_b32_e32 v9, s43
	v_add_co_u32_e32 v6, vcc, s42, v6
	v_addc_co_u32_e32 v7, vcc, v9, v7, vcc
	s_mov_b64 s[50:51], 0
.LBB43_69:                              ;   Parent Loop BB43_3 Depth=1
                                        ;     Parent Loop BB43_63 Depth=2
                                        ; =>    This Inner Loop Header: Depth=3
	global_load_dwordx4 v[9:12], v[6:7], off
	v_add_co_u32_e32 v6, vcc, 32, v6
	v_add_u32_e32 v2, 2, v2
	v_addc_co_u32_e32 v7, vcc, 0, v7, vcc
	v_cmp_ge_i32_e32 vcc, v2, v8
	s_or_b64 s[50:51], vcc, s[50:51]
	s_waitcnt vmcnt(0)
	global_store_dwordx4 v[3:4], v[9:12], off
	v_add_co_u32_e32 v3, vcc, 32, v3
	v_addc_co_u32_e32 v4, vcc, 0, v4, vcc
	s_andn2_b64 exec, exec, s[50:51]
	s_cbranch_execnz .LBB43_69
.LBB43_70:                              ;   in Loop: Header=BB43_63 Depth=2
	s_or_b64 exec, exec, s[48:49]
	s_and_b64 exec, exec, s[2:3]
	s_cbranch_execz .LBB43_62
; %bb.71:                               ;   in Loop: Header=BB43_63 Depth=2
	v_lshlrev_b64 v[6:7], 4, v[0:1]
	v_mov_b32_e32 v2, s39
	v_add_co_u32_e32 v1, vcc, s38, v6
	v_addc_co_u32_e32 v2, vcc, v2, v7, vcc
	global_load_dwordx4 v[1:4], v[1:2], off
	v_mov_b32_e32 v8, s37
	v_add_co_u32_e32 v6, vcc, s36, v6
	v_addc_co_u32_e32 v7, vcc, v8, v7, vcc
	s_waitcnt vmcnt(0)
	global_store_dwordx4 v[6:7], v[1:4], off
	s_branch .LBB43_62
.LBB43_72:
	s_endpgm
	.section	.rodata,"a",@progbits
	.p2align	6, 0x0
	.amdhsa_kernel _ZN9rocsparseL14kernel_freerunILi1024ELi2E21rocsparse_complex_numIdEiiEEvT3_S3_T2_PKS4_S6_PKS3_PKT1_21rocsparse_index_base_S6_S6_S8_PS9_SD_SC_S6_S6_S8_SD_SD_SC_SD_SD_
		.amdhsa_group_segment_fixed_size 0
		.amdhsa_private_segment_fixed_size 0
		.amdhsa_kernarg_size 168
		.amdhsa_user_sgpr_count 6
		.amdhsa_user_sgpr_private_segment_buffer 1
		.amdhsa_user_sgpr_dispatch_ptr 0
		.amdhsa_user_sgpr_queue_ptr 0
		.amdhsa_user_sgpr_kernarg_segment_ptr 1
		.amdhsa_user_sgpr_dispatch_id 0
		.amdhsa_user_sgpr_flat_scratch_init 0
		.amdhsa_user_sgpr_private_segment_size 0
		.amdhsa_uses_dynamic_stack 0
		.amdhsa_system_sgpr_private_segment_wavefront_offset 0
		.amdhsa_system_sgpr_workgroup_id_x 1
		.amdhsa_system_sgpr_workgroup_id_y 0
		.amdhsa_system_sgpr_workgroup_id_z 0
		.amdhsa_system_sgpr_workgroup_info 0
		.amdhsa_system_vgpr_workitem_id 0
		.amdhsa_next_free_vgpr 46
		.amdhsa_next_free_sgpr 78
		.amdhsa_reserve_vcc 1
		.amdhsa_reserve_flat_scratch 0
		.amdhsa_float_round_mode_32 0
		.amdhsa_float_round_mode_16_64 0
		.amdhsa_float_denorm_mode_32 3
		.amdhsa_float_denorm_mode_16_64 3
		.amdhsa_dx10_clamp 1
		.amdhsa_ieee_mode 1
		.amdhsa_fp16_overflow 0
		.amdhsa_exception_fp_ieee_invalid_op 0
		.amdhsa_exception_fp_denorm_src 0
		.amdhsa_exception_fp_ieee_div_zero 0
		.amdhsa_exception_fp_ieee_overflow 0
		.amdhsa_exception_fp_ieee_underflow 0
		.amdhsa_exception_fp_ieee_inexact 0
		.amdhsa_exception_int_div_zero 0
	.end_amdhsa_kernel
	.section	.text._ZN9rocsparseL14kernel_freerunILi1024ELi2E21rocsparse_complex_numIdEiiEEvT3_S3_T2_PKS4_S6_PKS3_PKT1_21rocsparse_index_base_S6_S6_S8_PS9_SD_SC_S6_S6_S8_SD_SD_SC_SD_SD_,"axG",@progbits,_ZN9rocsparseL14kernel_freerunILi1024ELi2E21rocsparse_complex_numIdEiiEEvT3_S3_T2_PKS4_S6_PKS3_PKT1_21rocsparse_index_base_S6_S6_S8_PS9_SD_SC_S6_S6_S8_SD_SD_SC_SD_SD_,comdat
.Lfunc_end43:
	.size	_ZN9rocsparseL14kernel_freerunILi1024ELi2E21rocsparse_complex_numIdEiiEEvT3_S3_T2_PKS4_S6_PKS3_PKT1_21rocsparse_index_base_S6_S6_S8_PS9_SD_SC_S6_S6_S8_SD_SD_SC_SD_SD_, .Lfunc_end43-_ZN9rocsparseL14kernel_freerunILi1024ELi2E21rocsparse_complex_numIdEiiEEvT3_S3_T2_PKS4_S6_PKS3_PKT1_21rocsparse_index_base_S6_S6_S8_PS9_SD_SC_S6_S6_S8_SD_SD_SC_SD_SD_
                                        ; -- End function
	.set _ZN9rocsparseL14kernel_freerunILi1024ELi2E21rocsparse_complex_numIdEiiEEvT3_S3_T2_PKS4_S6_PKS3_PKT1_21rocsparse_index_base_S6_S6_S8_PS9_SD_SC_S6_S6_S8_SD_SD_SC_SD_SD_.num_vgpr, 46
	.set _ZN9rocsparseL14kernel_freerunILi1024ELi2E21rocsparse_complex_numIdEiiEEvT3_S3_T2_PKS4_S6_PKS3_PKT1_21rocsparse_index_base_S6_S6_S8_PS9_SD_SC_S6_S6_S8_SD_SD_SC_SD_SD_.num_agpr, 0
	.set _ZN9rocsparseL14kernel_freerunILi1024ELi2E21rocsparse_complex_numIdEiiEEvT3_S3_T2_PKS4_S6_PKS3_PKT1_21rocsparse_index_base_S6_S6_S8_PS9_SD_SC_S6_S6_S8_SD_SD_SC_SD_SD_.numbered_sgpr, 78
	.set _ZN9rocsparseL14kernel_freerunILi1024ELi2E21rocsparse_complex_numIdEiiEEvT3_S3_T2_PKS4_S6_PKS3_PKT1_21rocsparse_index_base_S6_S6_S8_PS9_SD_SC_S6_S6_S8_SD_SD_SC_SD_SD_.num_named_barrier, 0
	.set _ZN9rocsparseL14kernel_freerunILi1024ELi2E21rocsparse_complex_numIdEiiEEvT3_S3_T2_PKS4_S6_PKS3_PKT1_21rocsparse_index_base_S6_S6_S8_PS9_SD_SC_S6_S6_S8_SD_SD_SC_SD_SD_.private_seg_size, 0
	.set _ZN9rocsparseL14kernel_freerunILi1024ELi2E21rocsparse_complex_numIdEiiEEvT3_S3_T2_PKS4_S6_PKS3_PKT1_21rocsparse_index_base_S6_S6_S8_PS9_SD_SC_S6_S6_S8_SD_SD_SC_SD_SD_.uses_vcc, 1
	.set _ZN9rocsparseL14kernel_freerunILi1024ELi2E21rocsparse_complex_numIdEiiEEvT3_S3_T2_PKS4_S6_PKS3_PKT1_21rocsparse_index_base_S6_S6_S8_PS9_SD_SC_S6_S6_S8_SD_SD_SC_SD_SD_.uses_flat_scratch, 0
	.set _ZN9rocsparseL14kernel_freerunILi1024ELi2E21rocsparse_complex_numIdEiiEEvT3_S3_T2_PKS4_S6_PKS3_PKT1_21rocsparse_index_base_S6_S6_S8_PS9_SD_SC_S6_S6_S8_SD_SD_SC_SD_SD_.has_dyn_sized_stack, 0
	.set _ZN9rocsparseL14kernel_freerunILi1024ELi2E21rocsparse_complex_numIdEiiEEvT3_S3_T2_PKS4_S6_PKS3_PKT1_21rocsparse_index_base_S6_S6_S8_PS9_SD_SC_S6_S6_S8_SD_SD_SC_SD_SD_.has_recursion, 0
	.set _ZN9rocsparseL14kernel_freerunILi1024ELi2E21rocsparse_complex_numIdEiiEEvT3_S3_T2_PKS4_S6_PKS3_PKT1_21rocsparse_index_base_S6_S6_S8_PS9_SD_SC_S6_S6_S8_SD_SD_SC_SD_SD_.has_indirect_call, 0
	.section	.AMDGPU.csdata,"",@progbits
; Kernel info:
; codeLenInByte = 3436
; TotalNumSgprs: 82
; NumVgprs: 46
; ScratchSize: 0
; MemoryBound: 1
; FloatMode: 240
; IeeeMode: 1
; LDSByteSize: 0 bytes/workgroup (compile time only)
; SGPRBlocks: 10
; VGPRBlocks: 11
; NumSGPRsForWavesPerEU: 82
; NumVGPRsForWavesPerEU: 46
; Occupancy: 5
; WaveLimiterHint : 1
; COMPUTE_PGM_RSRC2:SCRATCH_EN: 0
; COMPUTE_PGM_RSRC2:USER_SGPR: 6
; COMPUTE_PGM_RSRC2:TRAP_HANDLER: 0
; COMPUTE_PGM_RSRC2:TGID_X_EN: 1
; COMPUTE_PGM_RSRC2:TGID_Y_EN: 0
; COMPUTE_PGM_RSRC2:TGID_Z_EN: 0
; COMPUTE_PGM_RSRC2:TIDIG_COMP_CNT: 0
	.section	.text._ZN9rocsparseL14kernel_freerunILi1024ELi4E21rocsparse_complex_numIdEiiEEvT3_S3_T2_PKS4_S6_PKS3_PKT1_21rocsparse_index_base_S6_S6_S8_PS9_SD_SC_S6_S6_S8_SD_SD_SC_SD_SD_,"axG",@progbits,_ZN9rocsparseL14kernel_freerunILi1024ELi4E21rocsparse_complex_numIdEiiEEvT3_S3_T2_PKS4_S6_PKS3_PKT1_21rocsparse_index_base_S6_S6_S8_PS9_SD_SC_S6_S6_S8_SD_SD_SC_SD_SD_,comdat
	.globl	_ZN9rocsparseL14kernel_freerunILi1024ELi4E21rocsparse_complex_numIdEiiEEvT3_S3_T2_PKS4_S6_PKS3_PKT1_21rocsparse_index_base_S6_S6_S8_PS9_SD_SC_S6_S6_S8_SD_SD_SC_SD_SD_ ; -- Begin function _ZN9rocsparseL14kernel_freerunILi1024ELi4E21rocsparse_complex_numIdEiiEEvT3_S3_T2_PKS4_S6_PKS3_PKT1_21rocsparse_index_base_S6_S6_S8_PS9_SD_SC_S6_S6_S8_SD_SD_SC_SD_SD_
	.p2align	8
	.type	_ZN9rocsparseL14kernel_freerunILi1024ELi4E21rocsparse_complex_numIdEiiEEvT3_S3_T2_PKS4_S6_PKS3_PKT1_21rocsparse_index_base_S6_S6_S8_PS9_SD_SC_S6_S6_S8_SD_SD_SC_SD_SD_,@function
_ZN9rocsparseL14kernel_freerunILi1024ELi4E21rocsparse_complex_numIdEiiEEvT3_S3_T2_PKS4_S6_PKS3_PKT1_21rocsparse_index_base_S6_S6_S8_PS9_SD_SC_S6_S6_S8_SD_SD_SC_SD_SD_: ; @_ZN9rocsparseL14kernel_freerunILi1024ELi4E21rocsparse_complex_numIdEiiEEvT3_S3_T2_PKS4_S6_PKS3_PKT1_21rocsparse_index_base_S6_S6_S8_PS9_SD_SC_S6_S6_S8_SD_SD_SC_SD_SD_
; %bb.0:
	s_load_dwordx2 s[34:35], s[4:5], 0x0
	v_lshrrev_b32_e32 v1, 2, v0
	s_lshl_b32 s71, s6, 10
	v_or_b32_e32 v24, s71, v1
	s_mov_b32 s33, 0
	s_waitcnt lgkmcnt(0)
	s_cmp_gt_i32 s34, 0
	v_cmp_gt_i32_e32 vcc, s35, v24
	s_cselect_b64 s[0:1], -1, 0
	s_and_b64 s[0:1], vcc, s[0:1]
	s_and_saveexec_b64 s[2:3], s[0:1]
	s_cbranch_execz .LBB44_72
; %bb.1:
	s_load_dwordx4 s[36:39], s[4:5], 0x98
	s_load_dwordx8 s[8:15], s[4:5], 0x68
	s_load_dwordx8 s[16:23], s[4:5], 0x38
	;; [unrolled: 1-line block ×3, first 2 shown]
	s_load_dword s68, s[4:5], 0x30
	s_load_dwordx2 s[40:41], s[4:5], 0x58
	s_load_dword s69, s[4:5], 0x60
	s_load_dwordx2 s[42:43], s[4:5], 0x88
	s_load_dword s70, s[4:5], 0x90
	v_and_b32_e32 v0, 3, v0
	s_addk_i32 s71, 0x400
	s_mov_b32 s44, 0
	s_waitcnt lgkmcnt(0)
	v_subrev_u32_e32 v25, s68, v0
	v_cmp_gt_u32_e64 s[0:1], s71, v24
	v_subrev_u32_e32 v26, s69, v0
	v_subrev_u32_e32 v27, s70, v0
	v_cmp_eq_u32_e64 s[2:3], 0, v0
	v_mov_b32_e32 v5, 0
	s_brev_b32 s45, 8
	v_mov_b32_e32 v28, 0x260
	s_movk_i32 s72, 0x1f8
	v_mov_b32_e32 v29, 0x100
	v_mov_b32_e32 v30, 0xffffff80
	s_branch .LBB44_3
.LBB44_2:                               ;   in Loop: Header=BB44_3 Depth=1
	s_or_b64 exec, exec, s[4:5]
	s_add_i32 s33, s33, 1
	s_cmp_eq_u32 s33, s34
	s_cbranch_scc1 .LBB44_72
.LBB44_3:                               ; =>This Loop Header: Depth=1
                                        ;     Child Loop BB44_5 Depth 2
                                        ;       Child Loop BB44_9 Depth 3
                                        ;         Child Loop BB44_13 Depth 4
                                        ;         Child Loop BB44_43 Depth 4
	;; [unrolled: 1-line block ×3, first 2 shown]
                                        ;     Child Loop BB44_63 Depth 2
                                        ;       Child Loop BB44_66 Depth 3
                                        ;       Child Loop BB44_69 Depth 3
	s_mov_b32 s73, 0
	s_branch .LBB44_5
.LBB44_4:                               ;   in Loop: Header=BB44_5 Depth=2
	s_or_b64 exec, exec, s[46:47]
	s_add_i32 s73, s73, 1
	s_cmp_eq_u32 s73, 4
	s_cbranch_scc1 .LBB44_60
.LBB44_5:                               ;   Parent Loop BB44_3 Depth=1
                                        ; =>  This Loop Header: Depth=2
                                        ;       Child Loop BB44_9 Depth 3
                                        ;         Child Loop BB44_13 Depth 4
                                        ;         Child Loop BB44_43 Depth 4
	;; [unrolled: 1-line block ×3, first 2 shown]
	v_lshl_add_u32 v6, s73, 8, v24
	v_cmp_gt_i32_e32 vcc, s35, v6
	s_and_saveexec_b64 s[46:47], vcc
	s_cbranch_execz .LBB44_4
; %bb.6:                                ;   in Loop: Header=BB44_5 Depth=2
	v_ashrrev_i32_e32 v7, 31, v6
	v_lshlrev_b64 v[0:1], 2, v[6:7]
	v_mov_b32_e32 v3, s25
	v_add_co_u32_e32 v2, vcc, s24, v0
	v_addc_co_u32_e32 v3, vcc, v3, v1, vcc
	global_load_dword v4, v[2:3], off
	v_mov_b32_e32 v3, s27
	v_add_co_u32_e32 v2, vcc, s26, v0
	v_addc_co_u32_e32 v3, vcc, v3, v1, vcc
	global_load_dword v2, v[2:3], off
	s_waitcnt vmcnt(1)
	v_add_u32_e32 v7, v25, v4
	s_waitcnt vmcnt(0)
	v_subrev_u32_e32 v31, s68, v2
	v_cmp_lt_i32_e32 vcc, v7, v31
	s_and_b64 exec, exec, vcc
	s_cbranch_execz .LBB44_4
; %bb.7:                                ;   in Loop: Header=BB44_5 Depth=2
	v_mov_b32_e32 v3, s19
	v_add_co_u32_e32 v2, vcc, s18, v0
	v_addc_co_u32_e32 v3, vcc, v3, v1, vcc
	v_mov_b32_e32 v4, s17
	v_add_co_u32_e32 v0, vcc, s16, v0
	v_addc_co_u32_e32 v1, vcc, v4, v1, vcc
	global_load_dword v0, v[0:1], off
	s_nop 0
	global_load_dword v1, v[2:3], off
	v_mov_b32_e32 v4, s21
	v_mov_b32_e32 v8, s23
	s_mov_b64 s[48:49], 0
	s_waitcnt vmcnt(1)
	v_subrev_u32_e32 v9, s69, v0
	v_ashrrev_i32_e32 v10, 31, v9
	s_waitcnt vmcnt(0)
	v_sub_u32_e32 v32, v1, v0
	v_lshlrev_b64 v[0:1], 2, v[9:10]
	v_lshlrev_b64 v[2:3], 4, v[9:10]
	v_add_co_u32_e32 v33, vcc, s20, v0
	v_addc_co_u32_e32 v34, vcc, v4, v1, vcc
	v_add_co_u32_e32 v35, vcc, s22, v2
	v_cmp_lt_i32_e64 s[4:5], 0, v32
	v_addc_co_u32_e32 v36, vcc, v8, v3, vcc
	s_branch .LBB44_9
.LBB44_8:                               ;   in Loop: Header=BB44_9 Depth=3
	s_or_b64 exec, exec, s[50:51]
	v_add_u32_e32 v7, 4, v7
	v_cmp_ge_i32_e32 vcc, v7, v31
	s_or_b64 s[48:49], vcc, s[48:49]
	s_andn2_b64 exec, exec, s[48:49]
	s_cbranch_execz .LBB44_4
.LBB44_9:                               ;   Parent Loop BB44_3 Depth=1
                                        ;     Parent Loop BB44_5 Depth=2
                                        ; =>    This Loop Header: Depth=3
                                        ;         Child Loop BB44_13 Depth 4
                                        ;         Child Loop BB44_43 Depth 4
	;; [unrolled: 1-line block ×3, first 2 shown]
	v_ashrrev_i32_e32 v8, 31, v7
	v_lshlrev_b64 v[0:1], 2, v[7:8]
	v_mov_b32_e32 v2, s29
	v_add_co_u32_e32 v0, vcc, s28, v0
	v_addc_co_u32_e32 v1, vcc, v2, v1, vcc
	global_load_dword v0, v[0:1], off
	v_mov_b32_e32 v3, s9
	v_mov_b32_e32 v4, s11
	s_waitcnt vmcnt(0)
	v_subrev_u32_e32 v12, s68, v0
	v_ashrrev_i32_e32 v13, 31, v12
	v_lshlrev_b64 v[0:1], 2, v[12:13]
	v_add_co_u32_e32 v2, vcc, s8, v0
	v_addc_co_u32_e32 v3, vcc, v3, v1, vcc
	v_add_co_u32_e32 v0, vcc, s10, v0
	v_addc_co_u32_e32 v1, vcc, v4, v1, vcc
	global_load_dword v10, v[2:3], off
	global_load_dword v11, v[0:1], off
	v_mov_b32_e32 v4, 0
	v_mov_b32_e32 v0, 0
	;; [unrolled: 1-line block ×6, first 2 shown]
	s_waitcnt vmcnt(1)
	v_subrev_u32_e32 v14, s70, v10
	s_waitcnt vmcnt(0)
	v_sub_u32_e32 v37, v11, v10
	s_and_saveexec_b64 s[6:7], s[4:5]
	s_cbranch_execz .LBB44_17
; %bb.10:                               ;   in Loop: Header=BB44_9 Depth=3
	v_ashrrev_i32_e32 v15, 31, v14
	v_lshlrev_b64 v[0:1], 2, v[14:15]
	v_mov_b32_e32 v2, s13
	v_add_co_u32_e32 v10, vcc, s12, v0
	v_addc_co_u32_e32 v11, vcc, v2, v1, vcc
	v_lshlrev_b64 v[0:1], 4, v[14:15]
	v_mov_b32_e32 v2, s15
	v_add_co_u32_e32 v17, vcc, s14, v0
	v_addc_co_u32_e32 v18, vcc, v2, v1, vcc
	v_mov_b32_e32 v0, 0
	v_mov_b32_e32 v15, 0
	;; [unrolled: 1-line block ×4, first 2 shown]
	s_mov_b64 s[50:51], 0
	v_mov_b32_e32 v3, 0
	v_mov_b32_e32 v4, v15
                                        ; implicit-def: $sgpr52_sgpr53
	s_branch .LBB44_13
.LBB44_11:                              ;   in Loop: Header=BB44_13 Depth=4
	s_or_b64 exec, exec, s[56:57]
	v_cmp_le_i32_e32 vcc, v19, v20
	v_addc_co_u32_e32 v4, vcc, 0, v4, vcc
	v_cmp_ge_i32_e32 vcc, v19, v20
	v_addc_co_u32_e32 v15, vcc, 0, v15, vcc
	v_cmp_ge_i32_e32 vcc, v4, v32
	s_andn2_b64 s[52:53], s[52:53], exec
	s_and_b64 s[56:57], vcc, exec
	s_or_b64 s[52:53], s[52:53], s[56:57]
.LBB44_12:                              ;   in Loop: Header=BB44_13 Depth=4
	s_or_b64 exec, exec, s[54:55]
	s_and_b64 s[54:55], exec, s[52:53]
	s_or_b64 s[50:51], s[54:55], s[50:51]
	s_andn2_b64 exec, exec, s[50:51]
	s_cbranch_execz .LBB44_16
.LBB44_13:                              ;   Parent Loop BB44_3 Depth=1
                                        ;     Parent Loop BB44_5 Depth=2
                                        ;       Parent Loop BB44_9 Depth=3
                                        ; =>      This Inner Loop Header: Depth=4
	v_cmp_lt_i32_e32 vcc, v15, v37
	s_or_b64 s[52:53], s[52:53], exec
	s_and_saveexec_b64 s[54:55], vcc
	s_cbranch_execz .LBB44_12
; %bb.14:                               ;   in Loop: Header=BB44_13 Depth=4
	v_lshlrev_b64 v[19:20], 2, v[4:5]
	v_mov_b32_e32 v16, v5
	v_add_co_u32_e32 v19, vcc, v33, v19
	v_addc_co_u32_e32 v20, vcc, v34, v20, vcc
	global_load_dword v21, v[19:20], off
	v_lshlrev_b64 v[19:20], 2, v[15:16]
	v_add_co_u32_e32 v19, vcc, v10, v19
	v_addc_co_u32_e32 v20, vcc, v11, v20, vcc
	global_load_dword v20, v[19:20], off
	s_waitcnt vmcnt(1)
	v_subrev_u32_e32 v19, s69, v21
	s_waitcnt vmcnt(0)
	v_subrev_u32_e32 v20, s70, v20
	v_cmp_eq_u32_e32 vcc, v19, v20
	s_and_saveexec_b64 s[56:57], vcc
	s_cbranch_execz .LBB44_11
; %bb.15:                               ;   in Loop: Header=BB44_13 Depth=4
	v_lshlrev_b64 v[21:22], 4, v[4:5]
	v_add_co_u32_e32 v21, vcc, v35, v21
	v_addc_co_u32_e32 v22, vcc, v36, v22, vcc
	global_load_dwordx4 v[38:41], v[21:22], off
	v_lshlrev_b64 v[21:22], 4, v[15:16]
	v_add_co_u32_e32 v21, vcc, v17, v21
	v_addc_co_u32_e32 v22, vcc, v18, v22, vcc
	global_load_dwordx4 v[42:45], v[21:22], off
	s_waitcnt vmcnt(0)
	v_fma_f64 v[0:1], v[38:39], v[42:43], v[0:1]
	v_fma_f64 v[2:3], v[40:41], v[42:43], v[2:3]
	v_fma_f64 v[0:1], -v[40:41], v[44:45], v[0:1]
	v_fma_f64 v[2:3], v[38:39], v[44:45], v[2:3]
	s_branch .LBB44_11
.LBB44_16:                              ;   in Loop: Header=BB44_9 Depth=3
	s_or_b64 exec, exec, s[50:51]
.LBB44_17:                              ;   in Loop: Header=BB44_9 Depth=3
	s_or_b64 exec, exec, s[6:7]
	v_lshlrev_b64 v[10:11], 4, v[7:8]
	v_mov_b32_e32 v8, s31
	v_add_co_u32_e32 v10, vcc, s30, v10
	v_addc_co_u32_e32 v11, vcc, v8, v11, vcc
	global_load_dwordx4 v[16:19], v[10:11], off
	v_cmp_le_i32_e64 s[6:7], v6, v12
	v_cmp_gt_i32_e32 vcc, v6, v12
	s_waitcnt vmcnt(0)
	v_add_f64 v[16:17], v[16:17], -v[0:1]
	v_add_f64 v[10:11], v[18:19], -v[2:3]
	s_and_saveexec_b64 s[50:51], vcc
	s_cbranch_execz .LBB44_27
; %bb.18:                               ;   in Loop: Header=BB44_9 Depth=3
	v_lshlrev_b64 v[0:1], 4, v[12:13]
	v_mov_b32_e32 v2, s37
	v_add_co_u32_e32 v0, vcc, s36, v0
	v_addc_co_u32_e32 v1, vcc, v2, v1, vcc
	global_load_dwordx4 v[0:3], v[0:1], off
                                        ; implicit-def: $vgpr22_vgpr23
	s_waitcnt vmcnt(0)
	v_cmp_gt_f64_e32 vcc, 0, v[0:1]
	v_xor_b32_e32 v8, 0x80000000, v1
	v_xor_b32_e32 v20, 0x80000000, v3
	v_mov_b32_e32 v18, v0
	v_cndmask_b32_e32 v19, v1, v8, vcc
	v_cmp_gt_f64_e32 vcc, 0, v[2:3]
	v_cndmask_b32_e32 v21, v3, v20, vcc
	v_mov_b32_e32 v20, v2
	v_cmp_ngt_f64_e32 vcc, v[18:19], v[20:21]
	s_and_saveexec_b64 s[52:53], vcc
	s_xor_b64 s[52:53], exec, s[52:53]
	s_cbranch_execz .LBB44_22
; %bb.19:                               ;   in Loop: Header=BB44_9 Depth=3
	v_cmp_neq_f64_e32 vcc, 0, v[2:3]
	v_mov_b32_e32 v22, 0
	v_mov_b32_e32 v23, 0
	s_and_saveexec_b64 s[54:55], vcc
	s_cbranch_execz .LBB44_21
; %bb.20:                               ;   in Loop: Header=BB44_9 Depth=3
	v_div_scale_f64 v[22:23], s[56:57], v[20:21], v[20:21], v[18:19]
	v_rcp_f64_e32 v[38:39], v[22:23]
	v_fma_f64 v[40:41], -v[22:23], v[38:39], 1.0
	v_fma_f64 v[38:39], v[38:39], v[40:41], v[38:39]
	v_div_scale_f64 v[40:41], vcc, v[18:19], v[20:21], v[18:19]
	v_fma_f64 v[42:43], -v[22:23], v[38:39], 1.0
	v_fma_f64 v[38:39], v[38:39], v[42:43], v[38:39]
	v_mul_f64 v[42:43], v[40:41], v[38:39]
	v_fma_f64 v[22:23], -v[22:23], v[42:43], v[40:41]
	v_div_fmas_f64 v[22:23], v[22:23], v[38:39], v[42:43]
	v_div_fixup_f64 v[18:19], v[22:23], v[20:21], v[18:19]
	v_fma_f64 v[18:19], v[18:19], v[18:19], 1.0
	v_cmp_gt_f64_e32 vcc, s[44:45], v[18:19]
	v_cndmask_b32_e32 v8, 0, v29, vcc
	v_ldexp_f64 v[18:19], v[18:19], v8
	v_cndmask_b32_e32 v8, 0, v30, vcc
	v_rsq_f64_e32 v[22:23], v[18:19]
	v_cmp_class_f64_e32 vcc, v[18:19], v28
	v_mul_f64 v[38:39], v[18:19], v[22:23]
	v_mul_f64 v[22:23], v[22:23], 0.5
	v_fma_f64 v[40:41], -v[22:23], v[38:39], 0.5
	v_fma_f64 v[38:39], v[38:39], v[40:41], v[38:39]
	v_fma_f64 v[22:23], v[22:23], v[40:41], v[22:23]
	v_fma_f64 v[40:41], -v[38:39], v[38:39], v[18:19]
	v_fma_f64 v[38:39], v[40:41], v[22:23], v[38:39]
	v_fma_f64 v[40:41], -v[38:39], v[38:39], v[18:19]
	v_fma_f64 v[22:23], v[40:41], v[22:23], v[38:39]
	v_ldexp_f64 v[22:23], v[22:23], v8
	v_cndmask_b32_e32 v19, v23, v19, vcc
	v_cndmask_b32_e32 v18, v22, v18, vcc
	v_mul_f64 v[22:23], v[20:21], v[18:19]
.LBB44_21:                              ;   in Loop: Header=BB44_9 Depth=3
	s_or_b64 exec, exec, s[54:55]
                                        ; implicit-def: $vgpr18_vgpr19
                                        ; implicit-def: $vgpr20_vgpr21
.LBB44_22:                              ;   in Loop: Header=BB44_9 Depth=3
	s_andn2_saveexec_b64 s[52:53], s[52:53]
	s_cbranch_execz .LBB44_24
; %bb.23:                               ;   in Loop: Header=BB44_9 Depth=3
	v_div_scale_f64 v[22:23], s[54:55], v[18:19], v[18:19], v[20:21]
	v_rcp_f64_e32 v[38:39], v[22:23]
	v_fma_f64 v[40:41], -v[22:23], v[38:39], 1.0
	v_fma_f64 v[38:39], v[38:39], v[40:41], v[38:39]
	v_div_scale_f64 v[40:41], vcc, v[20:21], v[18:19], v[20:21]
	v_fma_f64 v[42:43], -v[22:23], v[38:39], 1.0
	v_fma_f64 v[38:39], v[38:39], v[42:43], v[38:39]
	v_mul_f64 v[42:43], v[40:41], v[38:39]
	v_fma_f64 v[22:23], -v[22:23], v[42:43], v[40:41]
	v_div_fmas_f64 v[22:23], v[22:23], v[38:39], v[42:43]
	v_div_fixup_f64 v[20:21], v[22:23], v[18:19], v[20:21]
	v_fma_f64 v[20:21], v[20:21], v[20:21], 1.0
	v_cmp_gt_f64_e32 vcc, s[44:45], v[20:21]
	v_cndmask_b32_e32 v8, 0, v29, vcc
	v_ldexp_f64 v[20:21], v[20:21], v8
	v_cndmask_b32_e32 v8, 0, v30, vcc
	v_rsq_f64_e32 v[22:23], v[20:21]
	v_cmp_class_f64_e32 vcc, v[20:21], v28
	v_mul_f64 v[38:39], v[20:21], v[22:23]
	v_mul_f64 v[22:23], v[22:23], 0.5
	v_fma_f64 v[40:41], -v[22:23], v[38:39], 0.5
	v_fma_f64 v[38:39], v[38:39], v[40:41], v[38:39]
	v_fma_f64 v[22:23], v[22:23], v[40:41], v[22:23]
	v_fma_f64 v[40:41], -v[38:39], v[38:39], v[20:21]
	v_fma_f64 v[38:39], v[40:41], v[22:23], v[38:39]
	v_fma_f64 v[40:41], -v[38:39], v[38:39], v[20:21]
	v_fma_f64 v[22:23], v[40:41], v[22:23], v[38:39]
	v_ldexp_f64 v[22:23], v[22:23], v8
	v_cndmask_b32_e32 v21, v23, v21, vcc
	v_cndmask_b32_e32 v20, v22, v20, vcc
	v_mul_f64 v[22:23], v[18:19], v[20:21]
.LBB44_24:                              ;   in Loop: Header=BB44_9 Depth=3
	s_or_b64 exec, exec, s[52:53]
	v_cmp_lt_f64_e32 vcc, 0, v[22:23]
	v_mov_b32_e32 v18, 0
	v_mov_b32_e32 v20, 0
	v_mov_b32_e32 v19, 0
	v_mov_b32_e32 v21, 0
	s_and_saveexec_b64 s[52:53], vcc
	s_cbranch_execz .LBB44_26
; %bb.25:                               ;   in Loop: Header=BB44_9 Depth=3
	v_mul_f64 v[18:19], v[2:3], v[2:3]
	v_fma_f64 v[18:19], v[0:1], v[0:1], v[18:19]
	v_div_scale_f64 v[20:21], s[54:55], v[18:19], v[18:19], 1.0
	v_rcp_f64_e32 v[22:23], v[20:21]
	v_fma_f64 v[38:39], -v[20:21], v[22:23], 1.0
	v_fma_f64 v[22:23], v[22:23], v[38:39], v[22:23]
	v_div_scale_f64 v[38:39], vcc, 1.0, v[18:19], 1.0
	v_fma_f64 v[40:41], -v[20:21], v[22:23], 1.0
	v_fma_f64 v[22:23], v[22:23], v[40:41], v[22:23]
	v_mul_f64 v[40:41], v[38:39], v[22:23]
	v_fma_f64 v[20:21], -v[20:21], v[40:41], v[38:39]
	v_div_fmas_f64 v[20:21], v[20:21], v[22:23], v[40:41]
	v_mul_f64 v[22:23], v[10:11], v[2:3]
	v_mul_f64 v[2:3], v[2:3], -v[16:17]
	v_fma_f64 v[16:17], v[16:17], v[0:1], v[22:23]
	v_fma_f64 v[0:1], v[10:11], v[0:1], v[2:3]
	v_div_fixup_f64 v[20:21], v[20:21], v[18:19], 1.0
	v_mul_f64 v[18:19], v[16:17], v[20:21]
	v_mul_f64 v[20:21], v[0:1], v[20:21]
.LBB44_26:                              ;   in Loop: Header=BB44_9 Depth=3
	s_or_b64 exec, exec, s[52:53]
	v_mov_b32_e32 v16, v18
	v_mov_b32_e32 v10, v20
	;; [unrolled: 1-line block ×4, first 2 shown]
.LBB44_27:                              ;   in Loop: Header=BB44_9 Depth=3
	s_or_b64 exec, exec, s[50:51]
	v_cmp_gt_f64_e32 vcc, 0, v[16:17]
	v_xor_b32_e32 v0, 0x80000000, v17
	v_xor_b32_e32 v2, 0x80000000, v11
                                        ; implicit-def: $vgpr18_vgpr19
	v_cndmask_b32_e32 v1, v17, v0, vcc
	v_cmp_gt_f64_e32 vcc, 0, v[10:11]
	v_mov_b32_e32 v0, v16
	v_cndmask_b32_e32 v3, v11, v2, vcc
	v_mov_b32_e32 v2, v10
	v_cmp_ngt_f64_e32 vcc, v[0:1], v[2:3]
	s_and_saveexec_b64 s[50:51], vcc
	s_xor_b64 s[50:51], exec, s[50:51]
	s_cbranch_execnz .LBB44_30
; %bb.28:                               ;   in Loop: Header=BB44_9 Depth=3
	s_andn2_saveexec_b64 s[50:51], s[50:51]
	s_cbranch_execnz .LBB44_33
.LBB44_29:                              ;   in Loop: Header=BB44_9 Depth=3
	s_or_b64 exec, exec, s[50:51]
	v_cmp_class_f64_e64 s[52:53], v[18:19], s72
	s_and_saveexec_b64 s[50:51], s[52:53]
	s_cbranch_execz .LBB44_8
	s_branch .LBB44_34
.LBB44_30:                              ;   in Loop: Header=BB44_9 Depth=3
	v_cmp_neq_f64_e32 vcc, 0, v[10:11]
	v_mov_b32_e32 v18, 0
	v_mov_b32_e32 v19, 0
	s_and_saveexec_b64 s[52:53], vcc
	s_cbranch_execz .LBB44_32
; %bb.31:                               ;   in Loop: Header=BB44_9 Depth=3
	v_div_scale_f64 v[18:19], s[54:55], v[2:3], v[2:3], v[0:1]
	v_rcp_f64_e32 v[20:21], v[18:19]
	v_fma_f64 v[22:23], -v[18:19], v[20:21], 1.0
	v_fma_f64 v[20:21], v[20:21], v[22:23], v[20:21]
	v_div_scale_f64 v[22:23], vcc, v[0:1], v[2:3], v[0:1]
	v_fma_f64 v[38:39], -v[18:19], v[20:21], 1.0
	v_fma_f64 v[20:21], v[20:21], v[38:39], v[20:21]
	v_mul_f64 v[38:39], v[22:23], v[20:21]
	v_fma_f64 v[18:19], -v[18:19], v[38:39], v[22:23]
	v_div_fmas_f64 v[18:19], v[18:19], v[20:21], v[38:39]
	v_div_fixup_f64 v[0:1], v[18:19], v[2:3], v[0:1]
	v_fma_f64 v[0:1], v[0:1], v[0:1], 1.0
	v_cmp_gt_f64_e32 vcc, s[44:45], v[0:1]
	v_cndmask_b32_e32 v8, 0, v29, vcc
	v_ldexp_f64 v[0:1], v[0:1], v8
	v_cndmask_b32_e32 v8, 0, v30, vcc
	v_rsq_f64_e32 v[18:19], v[0:1]
	v_cmp_class_f64_e32 vcc, v[0:1], v28
	v_mul_f64 v[20:21], v[0:1], v[18:19]
	v_mul_f64 v[18:19], v[18:19], 0.5
	v_fma_f64 v[22:23], -v[18:19], v[20:21], 0.5
	v_fma_f64 v[20:21], v[20:21], v[22:23], v[20:21]
	v_fma_f64 v[18:19], v[18:19], v[22:23], v[18:19]
	v_fma_f64 v[22:23], -v[20:21], v[20:21], v[0:1]
	v_fma_f64 v[20:21], v[22:23], v[18:19], v[20:21]
	v_fma_f64 v[22:23], -v[20:21], v[20:21], v[0:1]
	v_fma_f64 v[18:19], v[22:23], v[18:19], v[20:21]
	v_ldexp_f64 v[18:19], v[18:19], v8
	v_cndmask_b32_e32 v1, v19, v1, vcc
	v_cndmask_b32_e32 v0, v18, v0, vcc
	v_mul_f64 v[18:19], v[2:3], v[0:1]
.LBB44_32:                              ;   in Loop: Header=BB44_9 Depth=3
	s_or_b64 exec, exec, s[52:53]
                                        ; implicit-def: $vgpr0_vgpr1
                                        ; implicit-def: $vgpr2_vgpr3
	s_andn2_saveexec_b64 s[50:51], s[50:51]
	s_cbranch_execz .LBB44_29
.LBB44_33:                              ;   in Loop: Header=BB44_9 Depth=3
	v_div_scale_f64 v[18:19], s[52:53], v[0:1], v[0:1], v[2:3]
	v_rcp_f64_e32 v[20:21], v[18:19]
	v_fma_f64 v[22:23], -v[18:19], v[20:21], 1.0
	v_fma_f64 v[20:21], v[20:21], v[22:23], v[20:21]
	v_div_scale_f64 v[22:23], vcc, v[2:3], v[0:1], v[2:3]
	v_fma_f64 v[38:39], -v[18:19], v[20:21], 1.0
	v_fma_f64 v[20:21], v[20:21], v[38:39], v[20:21]
	v_mul_f64 v[38:39], v[22:23], v[20:21]
	v_fma_f64 v[18:19], -v[18:19], v[38:39], v[22:23]
	v_div_fmas_f64 v[18:19], v[18:19], v[20:21], v[38:39]
	v_div_fixup_f64 v[2:3], v[18:19], v[0:1], v[2:3]
	v_fma_f64 v[2:3], v[2:3], v[2:3], 1.0
	v_cmp_gt_f64_e32 vcc, s[44:45], v[2:3]
	v_cndmask_b32_e32 v8, 0, v29, vcc
	v_ldexp_f64 v[2:3], v[2:3], v8
	v_cndmask_b32_e32 v8, 0, v30, vcc
	v_rsq_f64_e32 v[18:19], v[2:3]
	v_cmp_class_f64_e32 vcc, v[2:3], v28
	v_mul_f64 v[20:21], v[2:3], v[18:19]
	v_mul_f64 v[18:19], v[18:19], 0.5
	v_fma_f64 v[22:23], -v[18:19], v[20:21], 0.5
	v_fma_f64 v[20:21], v[20:21], v[22:23], v[20:21]
	v_fma_f64 v[18:19], v[18:19], v[22:23], v[18:19]
	v_fma_f64 v[22:23], -v[20:21], v[20:21], v[2:3]
	v_fma_f64 v[20:21], v[22:23], v[18:19], v[20:21]
	v_fma_f64 v[22:23], -v[20:21], v[20:21], v[2:3]
	v_fma_f64 v[18:19], v[22:23], v[18:19], v[20:21]
	v_ldexp_f64 v[18:19], v[18:19], v8
	v_cndmask_b32_e32 v3, v19, v3, vcc
	v_cndmask_b32_e32 v2, v18, v2, vcc
	v_mul_f64 v[18:19], v[0:1], v[2:3]
	s_or_b64 exec, exec, s[50:51]
	v_cmp_class_f64_e64 s[52:53], v[18:19], s72
	s_and_saveexec_b64 s[50:51], s[52:53]
	s_cbranch_execz .LBB44_8
.LBB44_34:                              ;   in Loop: Header=BB44_9 Depth=3
	s_mov_b64 s[52:53], 0
                                        ; implicit-def: $vgpr0_vgpr1
	s_and_saveexec_b64 s[54:55], s[6:7]
	s_xor_b64 s[6:7], exec, s[54:55]
	s_cbranch_execnz .LBB44_37
; %bb.35:                               ;   in Loop: Header=BB44_9 Depth=3
	s_andn2_saveexec_b64 s[6:7], s[6:7]
	s_cbranch_execnz .LBB44_50
.LBB44_36:                              ;   in Loop: Header=BB44_9 Depth=3
	s_or_b64 exec, exec, s[6:7]
	s_and_b64 exec, exec, s[52:53]
	s_cbranch_execz .LBB44_8
	s_branch .LBB44_59
.LBB44_37:                              ;   in Loop: Header=BB44_9 Depth=3
	v_cmp_ge_i32_e32 vcc, v6, v12
                                        ; implicit-def: $vgpr0_vgpr1
	s_and_saveexec_b64 s[54:55], vcc
	s_xor_b64 s[54:55], exec, s[54:55]
	s_cbranch_execz .LBB44_39
; %bb.38:                               ;   in Loop: Header=BB44_9 Depth=3
	v_lshlrev_b64 v[0:1], 4, v[12:13]
	v_mov_b32_e32 v2, s39
	v_add_co_u32_e32 v0, vcc, s38, v0
	v_addc_co_u32_e32 v1, vcc, v2, v1, vcc
	s_mov_b64 s[52:53], exec
	global_store_dwordx2 v[0:1], v[16:17], off
                                        ; implicit-def: $vgpr15
                                        ; implicit-def: $vgpr37
                                        ; implicit-def: $vgpr16_vgpr17
                                        ; implicit-def: $vgpr14
.LBB44_39:                              ;   in Loop: Header=BB44_9 Depth=3
	s_andn2_saveexec_b64 s[54:55], s[54:55]
	s_cbranch_execz .LBB44_49
; %bb.40:                               ;   in Loop: Header=BB44_9 Depth=3
	v_cmp_lt_i32_e32 vcc, v15, v37
	s_mov_b64 s[58:59], s[52:53]
                                        ; implicit-def: $vgpr0_vgpr1
	s_and_saveexec_b64 s[56:57], vcc
	s_cbranch_execz .LBB44_48
; %bb.41:                               ;   in Loop: Header=BB44_9 Depth=3
	s_mov_b64 s[60:61], 0
                                        ; implicit-def: $sgpr58_sgpr59
                                        ; implicit-def: $sgpr64_sgpr65
                                        ; implicit-def: $sgpr62_sgpr63
	s_branch .LBB44_43
.LBB44_42:                              ;   in Loop: Header=BB44_43 Depth=4
	s_or_b64 exec, exec, s[66:67]
	s_and_b64 s[66:67], exec, s[64:65]
	s_or_b64 s[60:61], s[66:67], s[60:61]
	s_andn2_b64 s[58:59], s[58:59], exec
	s_and_b64 s[66:67], s[62:63], exec
	s_or_b64 s[58:59], s[58:59], s[66:67]
	s_andn2_b64 exec, exec, s[60:61]
	s_cbranch_execz .LBB44_45
.LBB44_43:                              ;   Parent Loop BB44_3 Depth=1
                                        ;     Parent Loop BB44_5 Depth=2
                                        ;       Parent Loop BB44_9 Depth=3
                                        ; =>      This Inner Loop Header: Depth=4
	v_add_u32_e32 v2, v14, v15
	v_ashrrev_i32_e32 v3, 31, v2
	v_lshlrev_b64 v[0:1], 2, v[2:3]
	v_mov_b32_e32 v4, s13
	v_add_co_u32_e32 v0, vcc, s12, v0
	v_addc_co_u32_e32 v1, vcc, v4, v1, vcc
	global_load_dword v0, v[0:1], off
	s_or_b64 s[62:63], s[62:63], exec
	s_or_b64 s[64:65], s[64:65], exec
	s_waitcnt vmcnt(0)
	v_subrev_u32_e32 v0, s70, v0
	v_cmp_ne_u32_e32 vcc, v0, v6
	s_and_saveexec_b64 s[66:67], vcc
	s_cbranch_execz .LBB44_42
; %bb.44:                               ;   in Loop: Header=BB44_43 Depth=4
	v_add_u32_e32 v15, 1, v15
	v_cmp_ge_i32_e32 vcc, v15, v37
	s_andn2_b64 s[64:65], s[64:65], exec
	s_and_b64 s[74:75], vcc, exec
	s_andn2_b64 s[62:63], s[62:63], exec
	s_or_b64 s[64:65], s[64:65], s[74:75]
	s_branch .LBB44_42
.LBB44_45:                              ;   in Loop: Header=BB44_9 Depth=3
	s_or_b64 exec, exec, s[60:61]
	s_mov_b64 s[60:61], s[52:53]
                                        ; implicit-def: $vgpr0_vgpr1
	s_and_saveexec_b64 s[62:63], s[58:59]
	s_xor_b64 s[58:59], exec, s[62:63]
	s_cbranch_execz .LBB44_47
; %bb.46:                               ;   in Loop: Header=BB44_9 Depth=3
	v_lshlrev_b64 v[0:1], 4, v[2:3]
	v_mov_b32_e32 v2, s43
	v_add_co_u32_e32 v0, vcc, s42, v0
	v_addc_co_u32_e32 v1, vcc, v2, v1, vcc
	s_or_b64 s[60:61], s[52:53], exec
	global_store_dwordx2 v[0:1], v[16:17], off
.LBB44_47:                              ;   in Loop: Header=BB44_9 Depth=3
	s_or_b64 exec, exec, s[58:59]
	s_andn2_b64 s[58:59], s[52:53], exec
	s_and_b64 s[60:61], s[60:61], exec
	s_or_b64 s[58:59], s[58:59], s[60:61]
.LBB44_48:                              ;   in Loop: Header=BB44_9 Depth=3
	s_or_b64 exec, exec, s[56:57]
	s_andn2_b64 s[52:53], s[52:53], exec
	s_and_b64 s[56:57], s[58:59], exec
	s_or_b64 s[52:53], s[52:53], s[56:57]
.LBB44_49:                              ;   in Loop: Header=BB44_9 Depth=3
	s_or_b64 exec, exec, s[54:55]
	s_and_b64 s[52:53], s[52:53], exec
                                        ; implicit-def: $vgpr16_vgpr17
                                        ; implicit-def: $vgpr12_vgpr13
	s_andn2_saveexec_b64 s[6:7], s[6:7]
	s_cbranch_execz .LBB44_36
.LBB44_50:                              ;   in Loop: Header=BB44_9 Depth=3
	v_cmp_lt_i32_e32 vcc, v4, v32
	s_mov_b64 s[56:57], s[52:53]
                                        ; implicit-def: $vgpr0_vgpr1
	s_and_saveexec_b64 s[54:55], vcc
	s_cbranch_execz .LBB44_58
; %bb.51:                               ;   in Loop: Header=BB44_9 Depth=3
	s_mov_b64 s[58:59], 0
                                        ; implicit-def: $sgpr56_sgpr57
                                        ; implicit-def: $sgpr62_sgpr63
                                        ; implicit-def: $sgpr60_sgpr61
	s_branch .LBB44_53
.LBB44_52:                              ;   in Loop: Header=BB44_53 Depth=4
	s_or_b64 exec, exec, s[64:65]
	s_and_b64 s[64:65], exec, s[62:63]
	s_or_b64 s[58:59], s[64:65], s[58:59]
	s_andn2_b64 s[56:57], s[56:57], exec
	s_and_b64 s[64:65], s[60:61], exec
	s_or_b64 s[56:57], s[56:57], s[64:65]
	s_andn2_b64 exec, exec, s[58:59]
	s_cbranch_execz .LBB44_55
.LBB44_53:                              ;   Parent Loop BB44_3 Depth=1
                                        ;     Parent Loop BB44_5 Depth=2
                                        ;       Parent Loop BB44_9 Depth=3
                                        ; =>      This Inner Loop Header: Depth=4
	v_add_u32_e32 v2, v9, v4
	v_ashrrev_i32_e32 v3, 31, v2
	v_lshlrev_b64 v[0:1], 2, v[2:3]
	v_mov_b32_e32 v8, s21
	v_add_co_u32_e32 v0, vcc, s20, v0
	v_addc_co_u32_e32 v1, vcc, v8, v1, vcc
	global_load_dword v0, v[0:1], off
	s_or_b64 s[60:61], s[60:61], exec
	s_or_b64 s[62:63], s[62:63], exec
	s_waitcnt vmcnt(0)
	v_subrev_u32_e32 v0, s69, v0
	v_cmp_ne_u32_e32 vcc, v0, v12
	s_and_saveexec_b64 s[64:65], vcc
	s_cbranch_execz .LBB44_52
; %bb.54:                               ;   in Loop: Header=BB44_53 Depth=4
	v_add_u32_e32 v4, 1, v4
	v_cmp_ge_i32_e32 vcc, v4, v32
	s_andn2_b64 s[62:63], s[62:63], exec
	s_and_b64 s[66:67], vcc, exec
	s_andn2_b64 s[60:61], s[60:61], exec
	s_or_b64 s[62:63], s[62:63], s[66:67]
	s_branch .LBB44_52
.LBB44_55:                              ;   in Loop: Header=BB44_9 Depth=3
	s_or_b64 exec, exec, s[58:59]
	s_mov_b64 s[58:59], s[52:53]
                                        ; implicit-def: $vgpr0_vgpr1
	s_and_saveexec_b64 s[60:61], s[56:57]
	s_xor_b64 s[56:57], exec, s[60:61]
	s_cbranch_execz .LBB44_57
; %bb.56:                               ;   in Loop: Header=BB44_9 Depth=3
	v_lshlrev_b64 v[0:1], 4, v[2:3]
	v_mov_b32_e32 v2, s41
	v_add_co_u32_e32 v0, vcc, s40, v0
	v_addc_co_u32_e32 v1, vcc, v2, v1, vcc
	s_or_b64 s[58:59], s[52:53], exec
	global_store_dwordx2 v[0:1], v[16:17], off
.LBB44_57:                              ;   in Loop: Header=BB44_9 Depth=3
	s_or_b64 exec, exec, s[56:57]
	s_andn2_b64 s[56:57], s[52:53], exec
	s_and_b64 s[58:59], s[58:59], exec
	s_or_b64 s[56:57], s[56:57], s[58:59]
.LBB44_58:                              ;   in Loop: Header=BB44_9 Depth=3
	s_or_b64 exec, exec, s[54:55]
	s_andn2_b64 s[52:53], s[52:53], exec
	s_and_b64 s[54:55], s[56:57], exec
	s_or_b64 s[52:53], s[52:53], s[54:55]
	s_or_b64 exec, exec, s[6:7]
	s_and_b64 exec, exec, s[52:53]
	s_cbranch_execz .LBB44_8
.LBB44_59:                              ;   in Loop: Header=BB44_9 Depth=3
	global_store_dwordx2 v[0:1], v[10:11], off offset:8
	s_branch .LBB44_8
.LBB44_60:                              ;   in Loop: Header=BB44_3 Depth=1
	s_and_saveexec_b64 s[4:5], s[0:1]
	s_cbranch_execz .LBB44_2
; %bb.61:                               ;   in Loop: Header=BB44_3 Depth=1
	s_mov_b64 s[6:7], 0
	v_mov_b32_e32 v0, v24
	s_branch .LBB44_63
.LBB44_62:                              ;   in Loop: Header=BB44_63 Depth=2
	s_or_b64 exec, exec, s[46:47]
	v_add_u32_e32 v0, 0x100, v0
	v_cmp_le_u32_e32 vcc, s71, v0
	s_or_b64 s[6:7], vcc, s[6:7]
	s_andn2_b64 exec, exec, s[6:7]
	s_cbranch_execz .LBB44_2
.LBB44_63:                              ;   Parent Loop BB44_3 Depth=1
                                        ; =>  This Loop Header: Depth=2
                                        ;       Child Loop BB44_66 Depth 3
                                        ;       Child Loop BB44_69 Depth 3
	v_cmp_gt_i32_e32 vcc, s35, v0
	s_and_saveexec_b64 s[46:47], vcc
	s_cbranch_execz .LBB44_62
; %bb.64:                               ;   in Loop: Header=BB44_63 Depth=2
	v_ashrrev_i32_e32 v1, 31, v0
	v_lshlrev_b64 v[2:3], 2, v[0:1]
	v_mov_b32_e32 v4, s17
	v_add_co_u32_e32 v6, vcc, s16, v2
	v_addc_co_u32_e32 v7, vcc, v4, v3, vcc
	global_load_dword v4, v[6:7], off
	v_mov_b32_e32 v7, s19
	v_add_co_u32_e32 v6, vcc, s18, v2
	v_addc_co_u32_e32 v7, vcc, v7, v3, vcc
	global_load_dword v7, v[6:7], off
	s_waitcnt vmcnt(1)
	v_add_u32_e32 v6, v26, v4
	s_waitcnt vmcnt(0)
	v_subrev_u32_e32 v4, s69, v7
	v_cmp_lt_i32_e32 vcc, v6, v4
	s_and_saveexec_b64 s[48:49], vcc
	s_cbranch_execz .LBB44_67
; %bb.65:                               ;   in Loop: Header=BB44_63 Depth=2
	v_ashrrev_i32_e32 v7, 31, v6
	v_lshlrev_b64 v[9:10], 4, v[6:7]
	v_mov_b32_e32 v8, s23
	v_add_co_u32_e32 v7, vcc, s22, v9
	v_addc_co_u32_e32 v8, vcc, v8, v10, vcc
	v_mov_b32_e32 v11, s41
	v_add_co_u32_e32 v9, vcc, s40, v9
	v_addc_co_u32_e32 v10, vcc, v11, v10, vcc
	s_mov_b64 s[50:51], 0
.LBB44_66:                              ;   Parent Loop BB44_3 Depth=1
                                        ;     Parent Loop BB44_63 Depth=2
                                        ; =>    This Inner Loop Header: Depth=3
	global_load_dwordx4 v[11:14], v[9:10], off
	v_add_co_u32_e32 v9, vcc, 64, v9
	v_add_u32_e32 v6, 4, v6
	v_addc_co_u32_e32 v10, vcc, 0, v10, vcc
	v_cmp_ge_i32_e32 vcc, v6, v4
	s_or_b64 s[50:51], vcc, s[50:51]
	s_waitcnt vmcnt(0)
	global_store_dwordx4 v[7:8], v[11:14], off
	v_add_co_u32_e32 v7, vcc, 64, v7
	v_addc_co_u32_e32 v8, vcc, 0, v8, vcc
	s_andn2_b64 exec, exec, s[50:51]
	s_cbranch_execnz .LBB44_66
.LBB44_67:                              ;   in Loop: Header=BB44_63 Depth=2
	s_or_b64 exec, exec, s[48:49]
	v_mov_b32_e32 v4, s9
	v_add_co_u32_e32 v6, vcc, s8, v2
	v_addc_co_u32_e32 v7, vcc, v4, v3, vcc
	global_load_dword v4, v[6:7], off
	v_mov_b32_e32 v6, s11
	v_add_co_u32_e32 v2, vcc, s10, v2
	v_addc_co_u32_e32 v3, vcc, v6, v3, vcc
	global_load_dword v3, v[2:3], off
	s_waitcnt vmcnt(1)
	v_add_u32_e32 v2, v27, v4
	s_waitcnt vmcnt(0)
	v_subrev_u32_e32 v8, s70, v3
	v_cmp_lt_i32_e32 vcc, v2, v8
	s_and_saveexec_b64 s[48:49], vcc
	s_cbranch_execz .LBB44_70
; %bb.68:                               ;   in Loop: Header=BB44_63 Depth=2
	v_ashrrev_i32_e32 v3, 31, v2
	v_lshlrev_b64 v[6:7], 4, v[2:3]
	v_mov_b32_e32 v4, s15
	v_add_co_u32_e32 v3, vcc, s14, v6
	v_addc_co_u32_e32 v4, vcc, v4, v7, vcc
	v_mov_b32_e32 v9, s43
	v_add_co_u32_e32 v6, vcc, s42, v6
	v_addc_co_u32_e32 v7, vcc, v9, v7, vcc
	s_mov_b64 s[50:51], 0
.LBB44_69:                              ;   Parent Loop BB44_3 Depth=1
                                        ;     Parent Loop BB44_63 Depth=2
                                        ; =>    This Inner Loop Header: Depth=3
	global_load_dwordx4 v[9:12], v[6:7], off
	v_add_co_u32_e32 v6, vcc, 64, v6
	v_add_u32_e32 v2, 4, v2
	v_addc_co_u32_e32 v7, vcc, 0, v7, vcc
	v_cmp_ge_i32_e32 vcc, v2, v8
	s_or_b64 s[50:51], vcc, s[50:51]
	s_waitcnt vmcnt(0)
	global_store_dwordx4 v[3:4], v[9:12], off
	v_add_co_u32_e32 v3, vcc, 64, v3
	v_addc_co_u32_e32 v4, vcc, 0, v4, vcc
	s_andn2_b64 exec, exec, s[50:51]
	s_cbranch_execnz .LBB44_69
.LBB44_70:                              ;   in Loop: Header=BB44_63 Depth=2
	s_or_b64 exec, exec, s[48:49]
	s_and_b64 exec, exec, s[2:3]
	s_cbranch_execz .LBB44_62
; %bb.71:                               ;   in Loop: Header=BB44_63 Depth=2
	v_lshlrev_b64 v[6:7], 4, v[0:1]
	v_mov_b32_e32 v2, s39
	v_add_co_u32_e32 v1, vcc, s38, v6
	v_addc_co_u32_e32 v2, vcc, v2, v7, vcc
	global_load_dwordx4 v[1:4], v[1:2], off
	v_mov_b32_e32 v8, s37
	v_add_co_u32_e32 v6, vcc, s36, v6
	v_addc_co_u32_e32 v7, vcc, v8, v7, vcc
	s_waitcnt vmcnt(0)
	global_store_dwordx4 v[6:7], v[1:4], off
	s_branch .LBB44_62
.LBB44_72:
	s_endpgm
	.section	.rodata,"a",@progbits
	.p2align	6, 0x0
	.amdhsa_kernel _ZN9rocsparseL14kernel_freerunILi1024ELi4E21rocsparse_complex_numIdEiiEEvT3_S3_T2_PKS4_S6_PKS3_PKT1_21rocsparse_index_base_S6_S6_S8_PS9_SD_SC_S6_S6_S8_SD_SD_SC_SD_SD_
		.amdhsa_group_segment_fixed_size 0
		.amdhsa_private_segment_fixed_size 0
		.amdhsa_kernarg_size 168
		.amdhsa_user_sgpr_count 6
		.amdhsa_user_sgpr_private_segment_buffer 1
		.amdhsa_user_sgpr_dispatch_ptr 0
		.amdhsa_user_sgpr_queue_ptr 0
		.amdhsa_user_sgpr_kernarg_segment_ptr 1
		.amdhsa_user_sgpr_dispatch_id 0
		.amdhsa_user_sgpr_flat_scratch_init 0
		.amdhsa_user_sgpr_private_segment_size 0
		.amdhsa_uses_dynamic_stack 0
		.amdhsa_system_sgpr_private_segment_wavefront_offset 0
		.amdhsa_system_sgpr_workgroup_id_x 1
		.amdhsa_system_sgpr_workgroup_id_y 0
		.amdhsa_system_sgpr_workgroup_id_z 0
		.amdhsa_system_sgpr_workgroup_info 0
		.amdhsa_system_vgpr_workitem_id 0
		.amdhsa_next_free_vgpr 46
		.amdhsa_next_free_sgpr 76
		.amdhsa_reserve_vcc 1
		.amdhsa_reserve_flat_scratch 0
		.amdhsa_float_round_mode_32 0
		.amdhsa_float_round_mode_16_64 0
		.amdhsa_float_denorm_mode_32 3
		.amdhsa_float_denorm_mode_16_64 3
		.amdhsa_dx10_clamp 1
		.amdhsa_ieee_mode 1
		.amdhsa_fp16_overflow 0
		.amdhsa_exception_fp_ieee_invalid_op 0
		.amdhsa_exception_fp_denorm_src 0
		.amdhsa_exception_fp_ieee_div_zero 0
		.amdhsa_exception_fp_ieee_overflow 0
		.amdhsa_exception_fp_ieee_underflow 0
		.amdhsa_exception_fp_ieee_inexact 0
		.amdhsa_exception_int_div_zero 0
	.end_amdhsa_kernel
	.section	.text._ZN9rocsparseL14kernel_freerunILi1024ELi4E21rocsparse_complex_numIdEiiEEvT3_S3_T2_PKS4_S6_PKS3_PKT1_21rocsparse_index_base_S6_S6_S8_PS9_SD_SC_S6_S6_S8_SD_SD_SC_SD_SD_,"axG",@progbits,_ZN9rocsparseL14kernel_freerunILi1024ELi4E21rocsparse_complex_numIdEiiEEvT3_S3_T2_PKS4_S6_PKS3_PKT1_21rocsparse_index_base_S6_S6_S8_PS9_SD_SC_S6_S6_S8_SD_SD_SC_SD_SD_,comdat
.Lfunc_end44:
	.size	_ZN9rocsparseL14kernel_freerunILi1024ELi4E21rocsparse_complex_numIdEiiEEvT3_S3_T2_PKS4_S6_PKS3_PKT1_21rocsparse_index_base_S6_S6_S8_PS9_SD_SC_S6_S6_S8_SD_SD_SC_SD_SD_, .Lfunc_end44-_ZN9rocsparseL14kernel_freerunILi1024ELi4E21rocsparse_complex_numIdEiiEEvT3_S3_T2_PKS4_S6_PKS3_PKT1_21rocsparse_index_base_S6_S6_S8_PS9_SD_SC_S6_S6_S8_SD_SD_SC_SD_SD_
                                        ; -- End function
	.set _ZN9rocsparseL14kernel_freerunILi1024ELi4E21rocsparse_complex_numIdEiiEEvT3_S3_T2_PKS4_S6_PKS3_PKT1_21rocsparse_index_base_S6_S6_S8_PS9_SD_SC_S6_S6_S8_SD_SD_SC_SD_SD_.num_vgpr, 46
	.set _ZN9rocsparseL14kernel_freerunILi1024ELi4E21rocsparse_complex_numIdEiiEEvT3_S3_T2_PKS4_S6_PKS3_PKT1_21rocsparse_index_base_S6_S6_S8_PS9_SD_SC_S6_S6_S8_SD_SD_SC_SD_SD_.num_agpr, 0
	.set _ZN9rocsparseL14kernel_freerunILi1024ELi4E21rocsparse_complex_numIdEiiEEvT3_S3_T2_PKS4_S6_PKS3_PKT1_21rocsparse_index_base_S6_S6_S8_PS9_SD_SC_S6_S6_S8_SD_SD_SC_SD_SD_.numbered_sgpr, 76
	.set _ZN9rocsparseL14kernel_freerunILi1024ELi4E21rocsparse_complex_numIdEiiEEvT3_S3_T2_PKS4_S6_PKS3_PKT1_21rocsparse_index_base_S6_S6_S8_PS9_SD_SC_S6_S6_S8_SD_SD_SC_SD_SD_.num_named_barrier, 0
	.set _ZN9rocsparseL14kernel_freerunILi1024ELi4E21rocsparse_complex_numIdEiiEEvT3_S3_T2_PKS4_S6_PKS3_PKT1_21rocsparse_index_base_S6_S6_S8_PS9_SD_SC_S6_S6_S8_SD_SD_SC_SD_SD_.private_seg_size, 0
	.set _ZN9rocsparseL14kernel_freerunILi1024ELi4E21rocsparse_complex_numIdEiiEEvT3_S3_T2_PKS4_S6_PKS3_PKT1_21rocsparse_index_base_S6_S6_S8_PS9_SD_SC_S6_S6_S8_SD_SD_SC_SD_SD_.uses_vcc, 1
	.set _ZN9rocsparseL14kernel_freerunILi1024ELi4E21rocsparse_complex_numIdEiiEEvT3_S3_T2_PKS4_S6_PKS3_PKT1_21rocsparse_index_base_S6_S6_S8_PS9_SD_SC_S6_S6_S8_SD_SD_SC_SD_SD_.uses_flat_scratch, 0
	.set _ZN9rocsparseL14kernel_freerunILi1024ELi4E21rocsparse_complex_numIdEiiEEvT3_S3_T2_PKS4_S6_PKS3_PKT1_21rocsparse_index_base_S6_S6_S8_PS9_SD_SC_S6_S6_S8_SD_SD_SC_SD_SD_.has_dyn_sized_stack, 0
	.set _ZN9rocsparseL14kernel_freerunILi1024ELi4E21rocsparse_complex_numIdEiiEEvT3_S3_T2_PKS4_S6_PKS3_PKT1_21rocsparse_index_base_S6_S6_S8_PS9_SD_SC_S6_S6_S8_SD_SD_SC_SD_SD_.has_recursion, 0
	.set _ZN9rocsparseL14kernel_freerunILi1024ELi4E21rocsparse_complex_numIdEiiEEvT3_S3_T2_PKS4_S6_PKS3_PKT1_21rocsparse_index_base_S6_S6_S8_PS9_SD_SC_S6_S6_S8_SD_SD_SC_SD_SD_.has_indirect_call, 0
	.section	.AMDGPU.csdata,"",@progbits
; Kernel info:
; codeLenInByte = 3428
; TotalNumSgprs: 80
; NumVgprs: 46
; ScratchSize: 0
; MemoryBound: 1
; FloatMode: 240
; IeeeMode: 1
; LDSByteSize: 0 bytes/workgroup (compile time only)
; SGPRBlocks: 9
; VGPRBlocks: 11
; NumSGPRsForWavesPerEU: 80
; NumVGPRsForWavesPerEU: 46
; Occupancy: 5
; WaveLimiterHint : 1
; COMPUTE_PGM_RSRC2:SCRATCH_EN: 0
; COMPUTE_PGM_RSRC2:USER_SGPR: 6
; COMPUTE_PGM_RSRC2:TRAP_HANDLER: 0
; COMPUTE_PGM_RSRC2:TGID_X_EN: 1
; COMPUTE_PGM_RSRC2:TGID_Y_EN: 0
; COMPUTE_PGM_RSRC2:TGID_Z_EN: 0
; COMPUTE_PGM_RSRC2:TIDIG_COMP_CNT: 0
	.section	.text._ZN9rocsparseL14kernel_freerunILi1024ELi8E21rocsparse_complex_numIdEiiEEvT3_S3_T2_PKS4_S6_PKS3_PKT1_21rocsparse_index_base_S6_S6_S8_PS9_SD_SC_S6_S6_S8_SD_SD_SC_SD_SD_,"axG",@progbits,_ZN9rocsparseL14kernel_freerunILi1024ELi8E21rocsparse_complex_numIdEiiEEvT3_S3_T2_PKS4_S6_PKS3_PKT1_21rocsparse_index_base_S6_S6_S8_PS9_SD_SC_S6_S6_S8_SD_SD_SC_SD_SD_,comdat
	.globl	_ZN9rocsparseL14kernel_freerunILi1024ELi8E21rocsparse_complex_numIdEiiEEvT3_S3_T2_PKS4_S6_PKS3_PKT1_21rocsparse_index_base_S6_S6_S8_PS9_SD_SC_S6_S6_S8_SD_SD_SC_SD_SD_ ; -- Begin function _ZN9rocsparseL14kernel_freerunILi1024ELi8E21rocsparse_complex_numIdEiiEEvT3_S3_T2_PKS4_S6_PKS3_PKT1_21rocsparse_index_base_S6_S6_S8_PS9_SD_SC_S6_S6_S8_SD_SD_SC_SD_SD_
	.p2align	8
	.type	_ZN9rocsparseL14kernel_freerunILi1024ELi8E21rocsparse_complex_numIdEiiEEvT3_S3_T2_PKS4_S6_PKS3_PKT1_21rocsparse_index_base_S6_S6_S8_PS9_SD_SC_S6_S6_S8_SD_SD_SC_SD_SD_,@function
_ZN9rocsparseL14kernel_freerunILi1024ELi8E21rocsparse_complex_numIdEiiEEvT3_S3_T2_PKS4_S6_PKS3_PKT1_21rocsparse_index_base_S6_S6_S8_PS9_SD_SC_S6_S6_S8_SD_SD_SC_SD_SD_: ; @_ZN9rocsparseL14kernel_freerunILi1024ELi8E21rocsparse_complex_numIdEiiEEvT3_S3_T2_PKS4_S6_PKS3_PKT1_21rocsparse_index_base_S6_S6_S8_PS9_SD_SC_S6_S6_S8_SD_SD_SC_SD_SD_
; %bb.0:
	s_load_dwordx2 s[34:35], s[4:5], 0x0
	v_lshrrev_b32_e32 v1, 3, v0
	s_lshl_b32 s71, s6, 10
	v_or_b32_e32 v24, s71, v1
	s_mov_b32 s33, 0
	s_waitcnt lgkmcnt(0)
	s_cmp_gt_i32 s34, 0
	v_cmp_gt_i32_e32 vcc, s35, v24
	s_cselect_b64 s[0:1], -1, 0
	s_and_b64 s[0:1], vcc, s[0:1]
	s_and_saveexec_b64 s[2:3], s[0:1]
	s_cbranch_execz .LBB45_72
; %bb.1:
	s_load_dwordx4 s[36:39], s[4:5], 0x98
	s_load_dwordx8 s[8:15], s[4:5], 0x68
	s_load_dwordx8 s[16:23], s[4:5], 0x38
	;; [unrolled: 1-line block ×3, first 2 shown]
	s_load_dword s68, s[4:5], 0x30
	s_load_dwordx2 s[40:41], s[4:5], 0x58
	s_load_dword s69, s[4:5], 0x60
	s_load_dwordx2 s[42:43], s[4:5], 0x88
	s_load_dword s70, s[4:5], 0x90
	v_and_b32_e32 v0, 7, v0
	s_addk_i32 s71, 0x400
	s_mov_b32 s44, 0
	s_waitcnt lgkmcnt(0)
	v_subrev_u32_e32 v25, s68, v0
	v_cmp_gt_u32_e64 s[0:1], s71, v24
	v_subrev_u32_e32 v26, s69, v0
	v_subrev_u32_e32 v27, s70, v0
	v_cmp_eq_u32_e64 s[2:3], 0, v0
	v_mov_b32_e32 v5, 0
	s_brev_b32 s45, 8
	v_mov_b32_e32 v28, 0x260
	s_movk_i32 s72, 0x1f8
	v_mov_b32_e32 v29, 0x100
	v_mov_b32_e32 v30, 0xffffff80
	s_branch .LBB45_3
.LBB45_2:                               ;   in Loop: Header=BB45_3 Depth=1
	s_or_b64 exec, exec, s[4:5]
	s_add_i32 s33, s33, 1
	s_cmp_eq_u32 s33, s34
	s_cbranch_scc1 .LBB45_72
.LBB45_3:                               ; =>This Loop Header: Depth=1
                                        ;     Child Loop BB45_5 Depth 2
                                        ;       Child Loop BB45_9 Depth 3
                                        ;         Child Loop BB45_13 Depth 4
                                        ;         Child Loop BB45_43 Depth 4
	;; [unrolled: 1-line block ×3, first 2 shown]
                                        ;     Child Loop BB45_63 Depth 2
                                        ;       Child Loop BB45_66 Depth 3
                                        ;       Child Loop BB45_69 Depth 3
	s_mov_b32 s73, 0
	s_branch .LBB45_5
.LBB45_4:                               ;   in Loop: Header=BB45_5 Depth=2
	s_or_b64 exec, exec, s[46:47]
	s_add_i32 s73, s73, 1
	s_cmp_eq_u32 s73, 8
	s_cbranch_scc1 .LBB45_60
.LBB45_5:                               ;   Parent Loop BB45_3 Depth=1
                                        ; =>  This Loop Header: Depth=2
                                        ;       Child Loop BB45_9 Depth 3
                                        ;         Child Loop BB45_13 Depth 4
                                        ;         Child Loop BB45_43 Depth 4
	;; [unrolled: 1-line block ×3, first 2 shown]
	v_lshl_add_u32 v6, s73, 7, v24
	v_cmp_gt_i32_e32 vcc, s35, v6
	s_and_saveexec_b64 s[46:47], vcc
	s_cbranch_execz .LBB45_4
; %bb.6:                                ;   in Loop: Header=BB45_5 Depth=2
	v_ashrrev_i32_e32 v7, 31, v6
	v_lshlrev_b64 v[0:1], 2, v[6:7]
	v_mov_b32_e32 v3, s25
	v_add_co_u32_e32 v2, vcc, s24, v0
	v_addc_co_u32_e32 v3, vcc, v3, v1, vcc
	global_load_dword v4, v[2:3], off
	v_mov_b32_e32 v3, s27
	v_add_co_u32_e32 v2, vcc, s26, v0
	v_addc_co_u32_e32 v3, vcc, v3, v1, vcc
	global_load_dword v2, v[2:3], off
	s_waitcnt vmcnt(1)
	v_add_u32_e32 v7, v25, v4
	s_waitcnt vmcnt(0)
	v_subrev_u32_e32 v31, s68, v2
	v_cmp_lt_i32_e32 vcc, v7, v31
	s_and_b64 exec, exec, vcc
	s_cbranch_execz .LBB45_4
; %bb.7:                                ;   in Loop: Header=BB45_5 Depth=2
	v_mov_b32_e32 v3, s19
	v_add_co_u32_e32 v2, vcc, s18, v0
	v_addc_co_u32_e32 v3, vcc, v3, v1, vcc
	v_mov_b32_e32 v4, s17
	v_add_co_u32_e32 v0, vcc, s16, v0
	v_addc_co_u32_e32 v1, vcc, v4, v1, vcc
	global_load_dword v0, v[0:1], off
	s_nop 0
	global_load_dword v1, v[2:3], off
	v_mov_b32_e32 v4, s21
	v_mov_b32_e32 v8, s23
	s_mov_b64 s[48:49], 0
	s_waitcnt vmcnt(1)
	v_subrev_u32_e32 v9, s69, v0
	v_ashrrev_i32_e32 v10, 31, v9
	s_waitcnt vmcnt(0)
	v_sub_u32_e32 v32, v1, v0
	v_lshlrev_b64 v[0:1], 2, v[9:10]
	v_lshlrev_b64 v[2:3], 4, v[9:10]
	v_add_co_u32_e32 v33, vcc, s20, v0
	v_addc_co_u32_e32 v34, vcc, v4, v1, vcc
	v_add_co_u32_e32 v35, vcc, s22, v2
	v_cmp_lt_i32_e64 s[4:5], 0, v32
	v_addc_co_u32_e32 v36, vcc, v8, v3, vcc
	s_branch .LBB45_9
.LBB45_8:                               ;   in Loop: Header=BB45_9 Depth=3
	s_or_b64 exec, exec, s[50:51]
	v_add_u32_e32 v7, 8, v7
	v_cmp_ge_i32_e32 vcc, v7, v31
	s_or_b64 s[48:49], vcc, s[48:49]
	s_andn2_b64 exec, exec, s[48:49]
	s_cbranch_execz .LBB45_4
.LBB45_9:                               ;   Parent Loop BB45_3 Depth=1
                                        ;     Parent Loop BB45_5 Depth=2
                                        ; =>    This Loop Header: Depth=3
                                        ;         Child Loop BB45_13 Depth 4
                                        ;         Child Loop BB45_43 Depth 4
	;; [unrolled: 1-line block ×3, first 2 shown]
	v_ashrrev_i32_e32 v8, 31, v7
	v_lshlrev_b64 v[0:1], 2, v[7:8]
	v_mov_b32_e32 v2, s29
	v_add_co_u32_e32 v0, vcc, s28, v0
	v_addc_co_u32_e32 v1, vcc, v2, v1, vcc
	global_load_dword v0, v[0:1], off
	v_mov_b32_e32 v3, s9
	v_mov_b32_e32 v4, s11
	s_waitcnt vmcnt(0)
	v_subrev_u32_e32 v12, s68, v0
	v_ashrrev_i32_e32 v13, 31, v12
	v_lshlrev_b64 v[0:1], 2, v[12:13]
	v_add_co_u32_e32 v2, vcc, s8, v0
	v_addc_co_u32_e32 v3, vcc, v3, v1, vcc
	v_add_co_u32_e32 v0, vcc, s10, v0
	v_addc_co_u32_e32 v1, vcc, v4, v1, vcc
	global_load_dword v10, v[2:3], off
	global_load_dword v11, v[0:1], off
	v_mov_b32_e32 v4, 0
	v_mov_b32_e32 v0, 0
	;; [unrolled: 1-line block ×6, first 2 shown]
	s_waitcnt vmcnt(1)
	v_subrev_u32_e32 v14, s70, v10
	s_waitcnt vmcnt(0)
	v_sub_u32_e32 v37, v11, v10
	s_and_saveexec_b64 s[6:7], s[4:5]
	s_cbranch_execz .LBB45_17
; %bb.10:                               ;   in Loop: Header=BB45_9 Depth=3
	v_ashrrev_i32_e32 v15, 31, v14
	v_lshlrev_b64 v[0:1], 2, v[14:15]
	v_mov_b32_e32 v2, s13
	v_add_co_u32_e32 v10, vcc, s12, v0
	v_addc_co_u32_e32 v11, vcc, v2, v1, vcc
	v_lshlrev_b64 v[0:1], 4, v[14:15]
	v_mov_b32_e32 v2, s15
	v_add_co_u32_e32 v17, vcc, s14, v0
	v_addc_co_u32_e32 v18, vcc, v2, v1, vcc
	v_mov_b32_e32 v0, 0
	v_mov_b32_e32 v15, 0
	;; [unrolled: 1-line block ×4, first 2 shown]
	s_mov_b64 s[50:51], 0
	v_mov_b32_e32 v3, 0
	v_mov_b32_e32 v4, v15
                                        ; implicit-def: $sgpr52_sgpr53
	s_branch .LBB45_13
.LBB45_11:                              ;   in Loop: Header=BB45_13 Depth=4
	s_or_b64 exec, exec, s[56:57]
	v_cmp_le_i32_e32 vcc, v19, v20
	v_addc_co_u32_e32 v4, vcc, 0, v4, vcc
	v_cmp_ge_i32_e32 vcc, v19, v20
	v_addc_co_u32_e32 v15, vcc, 0, v15, vcc
	v_cmp_ge_i32_e32 vcc, v4, v32
	s_andn2_b64 s[52:53], s[52:53], exec
	s_and_b64 s[56:57], vcc, exec
	s_or_b64 s[52:53], s[52:53], s[56:57]
.LBB45_12:                              ;   in Loop: Header=BB45_13 Depth=4
	s_or_b64 exec, exec, s[54:55]
	s_and_b64 s[54:55], exec, s[52:53]
	s_or_b64 s[50:51], s[54:55], s[50:51]
	s_andn2_b64 exec, exec, s[50:51]
	s_cbranch_execz .LBB45_16
.LBB45_13:                              ;   Parent Loop BB45_3 Depth=1
                                        ;     Parent Loop BB45_5 Depth=2
                                        ;       Parent Loop BB45_9 Depth=3
                                        ; =>      This Inner Loop Header: Depth=4
	v_cmp_lt_i32_e32 vcc, v15, v37
	s_or_b64 s[52:53], s[52:53], exec
	s_and_saveexec_b64 s[54:55], vcc
	s_cbranch_execz .LBB45_12
; %bb.14:                               ;   in Loop: Header=BB45_13 Depth=4
	v_lshlrev_b64 v[19:20], 2, v[4:5]
	v_mov_b32_e32 v16, v5
	v_add_co_u32_e32 v19, vcc, v33, v19
	v_addc_co_u32_e32 v20, vcc, v34, v20, vcc
	global_load_dword v21, v[19:20], off
	v_lshlrev_b64 v[19:20], 2, v[15:16]
	v_add_co_u32_e32 v19, vcc, v10, v19
	v_addc_co_u32_e32 v20, vcc, v11, v20, vcc
	global_load_dword v20, v[19:20], off
	s_waitcnt vmcnt(1)
	v_subrev_u32_e32 v19, s69, v21
	s_waitcnt vmcnt(0)
	v_subrev_u32_e32 v20, s70, v20
	v_cmp_eq_u32_e32 vcc, v19, v20
	s_and_saveexec_b64 s[56:57], vcc
	s_cbranch_execz .LBB45_11
; %bb.15:                               ;   in Loop: Header=BB45_13 Depth=4
	v_lshlrev_b64 v[21:22], 4, v[4:5]
	v_add_co_u32_e32 v21, vcc, v35, v21
	v_addc_co_u32_e32 v22, vcc, v36, v22, vcc
	global_load_dwordx4 v[38:41], v[21:22], off
	v_lshlrev_b64 v[21:22], 4, v[15:16]
	v_add_co_u32_e32 v21, vcc, v17, v21
	v_addc_co_u32_e32 v22, vcc, v18, v22, vcc
	global_load_dwordx4 v[42:45], v[21:22], off
	s_waitcnt vmcnt(0)
	v_fma_f64 v[0:1], v[38:39], v[42:43], v[0:1]
	v_fma_f64 v[2:3], v[40:41], v[42:43], v[2:3]
	v_fma_f64 v[0:1], -v[40:41], v[44:45], v[0:1]
	v_fma_f64 v[2:3], v[38:39], v[44:45], v[2:3]
	s_branch .LBB45_11
.LBB45_16:                              ;   in Loop: Header=BB45_9 Depth=3
	s_or_b64 exec, exec, s[50:51]
.LBB45_17:                              ;   in Loop: Header=BB45_9 Depth=3
	s_or_b64 exec, exec, s[6:7]
	v_lshlrev_b64 v[10:11], 4, v[7:8]
	v_mov_b32_e32 v8, s31
	v_add_co_u32_e32 v10, vcc, s30, v10
	v_addc_co_u32_e32 v11, vcc, v8, v11, vcc
	global_load_dwordx4 v[16:19], v[10:11], off
	v_cmp_le_i32_e64 s[6:7], v6, v12
	v_cmp_gt_i32_e32 vcc, v6, v12
	s_waitcnt vmcnt(0)
	v_add_f64 v[16:17], v[16:17], -v[0:1]
	v_add_f64 v[10:11], v[18:19], -v[2:3]
	s_and_saveexec_b64 s[50:51], vcc
	s_cbranch_execz .LBB45_27
; %bb.18:                               ;   in Loop: Header=BB45_9 Depth=3
	v_lshlrev_b64 v[0:1], 4, v[12:13]
	v_mov_b32_e32 v2, s37
	v_add_co_u32_e32 v0, vcc, s36, v0
	v_addc_co_u32_e32 v1, vcc, v2, v1, vcc
	global_load_dwordx4 v[0:3], v[0:1], off
                                        ; implicit-def: $vgpr22_vgpr23
	s_waitcnt vmcnt(0)
	v_cmp_gt_f64_e32 vcc, 0, v[0:1]
	v_xor_b32_e32 v8, 0x80000000, v1
	v_xor_b32_e32 v20, 0x80000000, v3
	v_mov_b32_e32 v18, v0
	v_cndmask_b32_e32 v19, v1, v8, vcc
	v_cmp_gt_f64_e32 vcc, 0, v[2:3]
	v_cndmask_b32_e32 v21, v3, v20, vcc
	v_mov_b32_e32 v20, v2
	v_cmp_ngt_f64_e32 vcc, v[18:19], v[20:21]
	s_and_saveexec_b64 s[52:53], vcc
	s_xor_b64 s[52:53], exec, s[52:53]
	s_cbranch_execz .LBB45_22
; %bb.19:                               ;   in Loop: Header=BB45_9 Depth=3
	v_cmp_neq_f64_e32 vcc, 0, v[2:3]
	v_mov_b32_e32 v22, 0
	v_mov_b32_e32 v23, 0
	s_and_saveexec_b64 s[54:55], vcc
	s_cbranch_execz .LBB45_21
; %bb.20:                               ;   in Loop: Header=BB45_9 Depth=3
	v_div_scale_f64 v[22:23], s[56:57], v[20:21], v[20:21], v[18:19]
	v_rcp_f64_e32 v[38:39], v[22:23]
	v_fma_f64 v[40:41], -v[22:23], v[38:39], 1.0
	v_fma_f64 v[38:39], v[38:39], v[40:41], v[38:39]
	v_div_scale_f64 v[40:41], vcc, v[18:19], v[20:21], v[18:19]
	v_fma_f64 v[42:43], -v[22:23], v[38:39], 1.0
	v_fma_f64 v[38:39], v[38:39], v[42:43], v[38:39]
	v_mul_f64 v[42:43], v[40:41], v[38:39]
	v_fma_f64 v[22:23], -v[22:23], v[42:43], v[40:41]
	v_div_fmas_f64 v[22:23], v[22:23], v[38:39], v[42:43]
	v_div_fixup_f64 v[18:19], v[22:23], v[20:21], v[18:19]
	v_fma_f64 v[18:19], v[18:19], v[18:19], 1.0
	v_cmp_gt_f64_e32 vcc, s[44:45], v[18:19]
	v_cndmask_b32_e32 v8, 0, v29, vcc
	v_ldexp_f64 v[18:19], v[18:19], v8
	v_cndmask_b32_e32 v8, 0, v30, vcc
	v_rsq_f64_e32 v[22:23], v[18:19]
	v_cmp_class_f64_e32 vcc, v[18:19], v28
	v_mul_f64 v[38:39], v[18:19], v[22:23]
	v_mul_f64 v[22:23], v[22:23], 0.5
	v_fma_f64 v[40:41], -v[22:23], v[38:39], 0.5
	v_fma_f64 v[38:39], v[38:39], v[40:41], v[38:39]
	v_fma_f64 v[22:23], v[22:23], v[40:41], v[22:23]
	v_fma_f64 v[40:41], -v[38:39], v[38:39], v[18:19]
	v_fma_f64 v[38:39], v[40:41], v[22:23], v[38:39]
	v_fma_f64 v[40:41], -v[38:39], v[38:39], v[18:19]
	v_fma_f64 v[22:23], v[40:41], v[22:23], v[38:39]
	v_ldexp_f64 v[22:23], v[22:23], v8
	v_cndmask_b32_e32 v19, v23, v19, vcc
	v_cndmask_b32_e32 v18, v22, v18, vcc
	v_mul_f64 v[22:23], v[20:21], v[18:19]
.LBB45_21:                              ;   in Loop: Header=BB45_9 Depth=3
	s_or_b64 exec, exec, s[54:55]
                                        ; implicit-def: $vgpr18_vgpr19
                                        ; implicit-def: $vgpr20_vgpr21
.LBB45_22:                              ;   in Loop: Header=BB45_9 Depth=3
	s_andn2_saveexec_b64 s[52:53], s[52:53]
	s_cbranch_execz .LBB45_24
; %bb.23:                               ;   in Loop: Header=BB45_9 Depth=3
	v_div_scale_f64 v[22:23], s[54:55], v[18:19], v[18:19], v[20:21]
	v_rcp_f64_e32 v[38:39], v[22:23]
	v_fma_f64 v[40:41], -v[22:23], v[38:39], 1.0
	v_fma_f64 v[38:39], v[38:39], v[40:41], v[38:39]
	v_div_scale_f64 v[40:41], vcc, v[20:21], v[18:19], v[20:21]
	v_fma_f64 v[42:43], -v[22:23], v[38:39], 1.0
	v_fma_f64 v[38:39], v[38:39], v[42:43], v[38:39]
	v_mul_f64 v[42:43], v[40:41], v[38:39]
	v_fma_f64 v[22:23], -v[22:23], v[42:43], v[40:41]
	v_div_fmas_f64 v[22:23], v[22:23], v[38:39], v[42:43]
	v_div_fixup_f64 v[20:21], v[22:23], v[18:19], v[20:21]
	v_fma_f64 v[20:21], v[20:21], v[20:21], 1.0
	v_cmp_gt_f64_e32 vcc, s[44:45], v[20:21]
	v_cndmask_b32_e32 v8, 0, v29, vcc
	v_ldexp_f64 v[20:21], v[20:21], v8
	v_cndmask_b32_e32 v8, 0, v30, vcc
	v_rsq_f64_e32 v[22:23], v[20:21]
	v_cmp_class_f64_e32 vcc, v[20:21], v28
	v_mul_f64 v[38:39], v[20:21], v[22:23]
	v_mul_f64 v[22:23], v[22:23], 0.5
	v_fma_f64 v[40:41], -v[22:23], v[38:39], 0.5
	v_fma_f64 v[38:39], v[38:39], v[40:41], v[38:39]
	v_fma_f64 v[22:23], v[22:23], v[40:41], v[22:23]
	v_fma_f64 v[40:41], -v[38:39], v[38:39], v[20:21]
	v_fma_f64 v[38:39], v[40:41], v[22:23], v[38:39]
	v_fma_f64 v[40:41], -v[38:39], v[38:39], v[20:21]
	v_fma_f64 v[22:23], v[40:41], v[22:23], v[38:39]
	v_ldexp_f64 v[22:23], v[22:23], v8
	v_cndmask_b32_e32 v21, v23, v21, vcc
	v_cndmask_b32_e32 v20, v22, v20, vcc
	v_mul_f64 v[22:23], v[18:19], v[20:21]
.LBB45_24:                              ;   in Loop: Header=BB45_9 Depth=3
	s_or_b64 exec, exec, s[52:53]
	v_cmp_lt_f64_e32 vcc, 0, v[22:23]
	v_mov_b32_e32 v18, 0
	v_mov_b32_e32 v20, 0
	;; [unrolled: 1-line block ×4, first 2 shown]
	s_and_saveexec_b64 s[52:53], vcc
	s_cbranch_execz .LBB45_26
; %bb.25:                               ;   in Loop: Header=BB45_9 Depth=3
	v_mul_f64 v[18:19], v[2:3], v[2:3]
	v_fma_f64 v[18:19], v[0:1], v[0:1], v[18:19]
	v_div_scale_f64 v[20:21], s[54:55], v[18:19], v[18:19], 1.0
	v_rcp_f64_e32 v[22:23], v[20:21]
	v_fma_f64 v[38:39], -v[20:21], v[22:23], 1.0
	v_fma_f64 v[22:23], v[22:23], v[38:39], v[22:23]
	v_div_scale_f64 v[38:39], vcc, 1.0, v[18:19], 1.0
	v_fma_f64 v[40:41], -v[20:21], v[22:23], 1.0
	v_fma_f64 v[22:23], v[22:23], v[40:41], v[22:23]
	v_mul_f64 v[40:41], v[38:39], v[22:23]
	v_fma_f64 v[20:21], -v[20:21], v[40:41], v[38:39]
	v_div_fmas_f64 v[20:21], v[20:21], v[22:23], v[40:41]
	v_mul_f64 v[22:23], v[10:11], v[2:3]
	v_mul_f64 v[2:3], v[2:3], -v[16:17]
	v_fma_f64 v[16:17], v[16:17], v[0:1], v[22:23]
	v_fma_f64 v[0:1], v[10:11], v[0:1], v[2:3]
	v_div_fixup_f64 v[20:21], v[20:21], v[18:19], 1.0
	v_mul_f64 v[18:19], v[16:17], v[20:21]
	v_mul_f64 v[20:21], v[0:1], v[20:21]
.LBB45_26:                              ;   in Loop: Header=BB45_9 Depth=3
	s_or_b64 exec, exec, s[52:53]
	v_mov_b32_e32 v16, v18
	v_mov_b32_e32 v10, v20
	;; [unrolled: 1-line block ×4, first 2 shown]
.LBB45_27:                              ;   in Loop: Header=BB45_9 Depth=3
	s_or_b64 exec, exec, s[50:51]
	v_cmp_gt_f64_e32 vcc, 0, v[16:17]
	v_xor_b32_e32 v0, 0x80000000, v17
	v_xor_b32_e32 v2, 0x80000000, v11
                                        ; implicit-def: $vgpr18_vgpr19
	v_cndmask_b32_e32 v1, v17, v0, vcc
	v_cmp_gt_f64_e32 vcc, 0, v[10:11]
	v_mov_b32_e32 v0, v16
	v_cndmask_b32_e32 v3, v11, v2, vcc
	v_mov_b32_e32 v2, v10
	v_cmp_ngt_f64_e32 vcc, v[0:1], v[2:3]
	s_and_saveexec_b64 s[50:51], vcc
	s_xor_b64 s[50:51], exec, s[50:51]
	s_cbranch_execnz .LBB45_30
; %bb.28:                               ;   in Loop: Header=BB45_9 Depth=3
	s_andn2_saveexec_b64 s[50:51], s[50:51]
	s_cbranch_execnz .LBB45_33
.LBB45_29:                              ;   in Loop: Header=BB45_9 Depth=3
	s_or_b64 exec, exec, s[50:51]
	v_cmp_class_f64_e64 s[52:53], v[18:19], s72
	s_and_saveexec_b64 s[50:51], s[52:53]
	s_cbranch_execz .LBB45_8
	s_branch .LBB45_34
.LBB45_30:                              ;   in Loop: Header=BB45_9 Depth=3
	v_cmp_neq_f64_e32 vcc, 0, v[10:11]
	v_mov_b32_e32 v18, 0
	v_mov_b32_e32 v19, 0
	s_and_saveexec_b64 s[52:53], vcc
	s_cbranch_execz .LBB45_32
; %bb.31:                               ;   in Loop: Header=BB45_9 Depth=3
	v_div_scale_f64 v[18:19], s[54:55], v[2:3], v[2:3], v[0:1]
	v_rcp_f64_e32 v[20:21], v[18:19]
	v_fma_f64 v[22:23], -v[18:19], v[20:21], 1.0
	v_fma_f64 v[20:21], v[20:21], v[22:23], v[20:21]
	v_div_scale_f64 v[22:23], vcc, v[0:1], v[2:3], v[0:1]
	v_fma_f64 v[38:39], -v[18:19], v[20:21], 1.0
	v_fma_f64 v[20:21], v[20:21], v[38:39], v[20:21]
	v_mul_f64 v[38:39], v[22:23], v[20:21]
	v_fma_f64 v[18:19], -v[18:19], v[38:39], v[22:23]
	v_div_fmas_f64 v[18:19], v[18:19], v[20:21], v[38:39]
	v_div_fixup_f64 v[0:1], v[18:19], v[2:3], v[0:1]
	v_fma_f64 v[0:1], v[0:1], v[0:1], 1.0
	v_cmp_gt_f64_e32 vcc, s[44:45], v[0:1]
	v_cndmask_b32_e32 v8, 0, v29, vcc
	v_ldexp_f64 v[0:1], v[0:1], v8
	v_cndmask_b32_e32 v8, 0, v30, vcc
	v_rsq_f64_e32 v[18:19], v[0:1]
	v_cmp_class_f64_e32 vcc, v[0:1], v28
	v_mul_f64 v[20:21], v[0:1], v[18:19]
	v_mul_f64 v[18:19], v[18:19], 0.5
	v_fma_f64 v[22:23], -v[18:19], v[20:21], 0.5
	v_fma_f64 v[20:21], v[20:21], v[22:23], v[20:21]
	v_fma_f64 v[18:19], v[18:19], v[22:23], v[18:19]
	v_fma_f64 v[22:23], -v[20:21], v[20:21], v[0:1]
	v_fma_f64 v[20:21], v[22:23], v[18:19], v[20:21]
	v_fma_f64 v[22:23], -v[20:21], v[20:21], v[0:1]
	v_fma_f64 v[18:19], v[22:23], v[18:19], v[20:21]
	v_ldexp_f64 v[18:19], v[18:19], v8
	v_cndmask_b32_e32 v1, v19, v1, vcc
	v_cndmask_b32_e32 v0, v18, v0, vcc
	v_mul_f64 v[18:19], v[2:3], v[0:1]
.LBB45_32:                              ;   in Loop: Header=BB45_9 Depth=3
	s_or_b64 exec, exec, s[52:53]
                                        ; implicit-def: $vgpr0_vgpr1
                                        ; implicit-def: $vgpr2_vgpr3
	s_andn2_saveexec_b64 s[50:51], s[50:51]
	s_cbranch_execz .LBB45_29
.LBB45_33:                              ;   in Loop: Header=BB45_9 Depth=3
	v_div_scale_f64 v[18:19], s[52:53], v[0:1], v[0:1], v[2:3]
	v_rcp_f64_e32 v[20:21], v[18:19]
	v_fma_f64 v[22:23], -v[18:19], v[20:21], 1.0
	v_fma_f64 v[20:21], v[20:21], v[22:23], v[20:21]
	v_div_scale_f64 v[22:23], vcc, v[2:3], v[0:1], v[2:3]
	v_fma_f64 v[38:39], -v[18:19], v[20:21], 1.0
	v_fma_f64 v[20:21], v[20:21], v[38:39], v[20:21]
	v_mul_f64 v[38:39], v[22:23], v[20:21]
	v_fma_f64 v[18:19], -v[18:19], v[38:39], v[22:23]
	v_div_fmas_f64 v[18:19], v[18:19], v[20:21], v[38:39]
	v_div_fixup_f64 v[2:3], v[18:19], v[0:1], v[2:3]
	v_fma_f64 v[2:3], v[2:3], v[2:3], 1.0
	v_cmp_gt_f64_e32 vcc, s[44:45], v[2:3]
	v_cndmask_b32_e32 v8, 0, v29, vcc
	v_ldexp_f64 v[2:3], v[2:3], v8
	v_cndmask_b32_e32 v8, 0, v30, vcc
	v_rsq_f64_e32 v[18:19], v[2:3]
	v_cmp_class_f64_e32 vcc, v[2:3], v28
	v_mul_f64 v[20:21], v[2:3], v[18:19]
	v_mul_f64 v[18:19], v[18:19], 0.5
	v_fma_f64 v[22:23], -v[18:19], v[20:21], 0.5
	v_fma_f64 v[20:21], v[20:21], v[22:23], v[20:21]
	v_fma_f64 v[18:19], v[18:19], v[22:23], v[18:19]
	v_fma_f64 v[22:23], -v[20:21], v[20:21], v[2:3]
	v_fma_f64 v[20:21], v[22:23], v[18:19], v[20:21]
	v_fma_f64 v[22:23], -v[20:21], v[20:21], v[2:3]
	v_fma_f64 v[18:19], v[22:23], v[18:19], v[20:21]
	v_ldexp_f64 v[18:19], v[18:19], v8
	v_cndmask_b32_e32 v3, v19, v3, vcc
	v_cndmask_b32_e32 v2, v18, v2, vcc
	v_mul_f64 v[18:19], v[0:1], v[2:3]
	s_or_b64 exec, exec, s[50:51]
	v_cmp_class_f64_e64 s[52:53], v[18:19], s72
	s_and_saveexec_b64 s[50:51], s[52:53]
	s_cbranch_execz .LBB45_8
.LBB45_34:                              ;   in Loop: Header=BB45_9 Depth=3
	s_mov_b64 s[52:53], 0
                                        ; implicit-def: $vgpr0_vgpr1
	s_and_saveexec_b64 s[54:55], s[6:7]
	s_xor_b64 s[6:7], exec, s[54:55]
	s_cbranch_execnz .LBB45_37
; %bb.35:                               ;   in Loop: Header=BB45_9 Depth=3
	s_andn2_saveexec_b64 s[6:7], s[6:7]
	s_cbranch_execnz .LBB45_50
.LBB45_36:                              ;   in Loop: Header=BB45_9 Depth=3
	s_or_b64 exec, exec, s[6:7]
	s_and_b64 exec, exec, s[52:53]
	s_cbranch_execz .LBB45_8
	s_branch .LBB45_59
.LBB45_37:                              ;   in Loop: Header=BB45_9 Depth=3
	v_cmp_ge_i32_e32 vcc, v6, v12
                                        ; implicit-def: $vgpr0_vgpr1
	s_and_saveexec_b64 s[54:55], vcc
	s_xor_b64 s[54:55], exec, s[54:55]
	s_cbranch_execz .LBB45_39
; %bb.38:                               ;   in Loop: Header=BB45_9 Depth=3
	v_lshlrev_b64 v[0:1], 4, v[12:13]
	v_mov_b32_e32 v2, s39
	v_add_co_u32_e32 v0, vcc, s38, v0
	v_addc_co_u32_e32 v1, vcc, v2, v1, vcc
	s_mov_b64 s[52:53], exec
	global_store_dwordx2 v[0:1], v[16:17], off
                                        ; implicit-def: $vgpr15
                                        ; implicit-def: $vgpr37
                                        ; implicit-def: $vgpr16_vgpr17
                                        ; implicit-def: $vgpr14
.LBB45_39:                              ;   in Loop: Header=BB45_9 Depth=3
	s_andn2_saveexec_b64 s[54:55], s[54:55]
	s_cbranch_execz .LBB45_49
; %bb.40:                               ;   in Loop: Header=BB45_9 Depth=3
	v_cmp_lt_i32_e32 vcc, v15, v37
	s_mov_b64 s[58:59], s[52:53]
                                        ; implicit-def: $vgpr0_vgpr1
	s_and_saveexec_b64 s[56:57], vcc
	s_cbranch_execz .LBB45_48
; %bb.41:                               ;   in Loop: Header=BB45_9 Depth=3
	s_mov_b64 s[60:61], 0
                                        ; implicit-def: $sgpr58_sgpr59
                                        ; implicit-def: $sgpr64_sgpr65
                                        ; implicit-def: $sgpr62_sgpr63
	s_branch .LBB45_43
.LBB45_42:                              ;   in Loop: Header=BB45_43 Depth=4
	s_or_b64 exec, exec, s[66:67]
	s_and_b64 s[66:67], exec, s[64:65]
	s_or_b64 s[60:61], s[66:67], s[60:61]
	s_andn2_b64 s[58:59], s[58:59], exec
	s_and_b64 s[66:67], s[62:63], exec
	s_or_b64 s[58:59], s[58:59], s[66:67]
	s_andn2_b64 exec, exec, s[60:61]
	s_cbranch_execz .LBB45_45
.LBB45_43:                              ;   Parent Loop BB45_3 Depth=1
                                        ;     Parent Loop BB45_5 Depth=2
                                        ;       Parent Loop BB45_9 Depth=3
                                        ; =>      This Inner Loop Header: Depth=4
	v_add_u32_e32 v2, v14, v15
	v_ashrrev_i32_e32 v3, 31, v2
	v_lshlrev_b64 v[0:1], 2, v[2:3]
	v_mov_b32_e32 v4, s13
	v_add_co_u32_e32 v0, vcc, s12, v0
	v_addc_co_u32_e32 v1, vcc, v4, v1, vcc
	global_load_dword v0, v[0:1], off
	s_or_b64 s[62:63], s[62:63], exec
	s_or_b64 s[64:65], s[64:65], exec
	s_waitcnt vmcnt(0)
	v_subrev_u32_e32 v0, s70, v0
	v_cmp_ne_u32_e32 vcc, v0, v6
	s_and_saveexec_b64 s[66:67], vcc
	s_cbranch_execz .LBB45_42
; %bb.44:                               ;   in Loop: Header=BB45_43 Depth=4
	v_add_u32_e32 v15, 1, v15
	v_cmp_ge_i32_e32 vcc, v15, v37
	s_andn2_b64 s[64:65], s[64:65], exec
	s_and_b64 s[74:75], vcc, exec
	s_andn2_b64 s[62:63], s[62:63], exec
	s_or_b64 s[64:65], s[64:65], s[74:75]
	s_branch .LBB45_42
.LBB45_45:                              ;   in Loop: Header=BB45_9 Depth=3
	s_or_b64 exec, exec, s[60:61]
	s_mov_b64 s[60:61], s[52:53]
                                        ; implicit-def: $vgpr0_vgpr1
	s_and_saveexec_b64 s[62:63], s[58:59]
	s_xor_b64 s[58:59], exec, s[62:63]
	s_cbranch_execz .LBB45_47
; %bb.46:                               ;   in Loop: Header=BB45_9 Depth=3
	v_lshlrev_b64 v[0:1], 4, v[2:3]
	v_mov_b32_e32 v2, s43
	v_add_co_u32_e32 v0, vcc, s42, v0
	v_addc_co_u32_e32 v1, vcc, v2, v1, vcc
	s_or_b64 s[60:61], s[52:53], exec
	global_store_dwordx2 v[0:1], v[16:17], off
.LBB45_47:                              ;   in Loop: Header=BB45_9 Depth=3
	s_or_b64 exec, exec, s[58:59]
	s_andn2_b64 s[58:59], s[52:53], exec
	s_and_b64 s[60:61], s[60:61], exec
	s_or_b64 s[58:59], s[58:59], s[60:61]
.LBB45_48:                              ;   in Loop: Header=BB45_9 Depth=3
	s_or_b64 exec, exec, s[56:57]
	s_andn2_b64 s[52:53], s[52:53], exec
	s_and_b64 s[56:57], s[58:59], exec
	s_or_b64 s[52:53], s[52:53], s[56:57]
.LBB45_49:                              ;   in Loop: Header=BB45_9 Depth=3
	s_or_b64 exec, exec, s[54:55]
	s_and_b64 s[52:53], s[52:53], exec
                                        ; implicit-def: $vgpr16_vgpr17
                                        ; implicit-def: $vgpr12_vgpr13
	s_andn2_saveexec_b64 s[6:7], s[6:7]
	s_cbranch_execz .LBB45_36
.LBB45_50:                              ;   in Loop: Header=BB45_9 Depth=3
	v_cmp_lt_i32_e32 vcc, v4, v32
	s_mov_b64 s[56:57], s[52:53]
                                        ; implicit-def: $vgpr0_vgpr1
	s_and_saveexec_b64 s[54:55], vcc
	s_cbranch_execz .LBB45_58
; %bb.51:                               ;   in Loop: Header=BB45_9 Depth=3
	s_mov_b64 s[58:59], 0
                                        ; implicit-def: $sgpr56_sgpr57
                                        ; implicit-def: $sgpr62_sgpr63
                                        ; implicit-def: $sgpr60_sgpr61
	s_branch .LBB45_53
.LBB45_52:                              ;   in Loop: Header=BB45_53 Depth=4
	s_or_b64 exec, exec, s[64:65]
	s_and_b64 s[64:65], exec, s[62:63]
	s_or_b64 s[58:59], s[64:65], s[58:59]
	s_andn2_b64 s[56:57], s[56:57], exec
	s_and_b64 s[64:65], s[60:61], exec
	s_or_b64 s[56:57], s[56:57], s[64:65]
	s_andn2_b64 exec, exec, s[58:59]
	s_cbranch_execz .LBB45_55
.LBB45_53:                              ;   Parent Loop BB45_3 Depth=1
                                        ;     Parent Loop BB45_5 Depth=2
                                        ;       Parent Loop BB45_9 Depth=3
                                        ; =>      This Inner Loop Header: Depth=4
	v_add_u32_e32 v2, v9, v4
	v_ashrrev_i32_e32 v3, 31, v2
	v_lshlrev_b64 v[0:1], 2, v[2:3]
	v_mov_b32_e32 v8, s21
	v_add_co_u32_e32 v0, vcc, s20, v0
	v_addc_co_u32_e32 v1, vcc, v8, v1, vcc
	global_load_dword v0, v[0:1], off
	s_or_b64 s[60:61], s[60:61], exec
	s_or_b64 s[62:63], s[62:63], exec
	s_waitcnt vmcnt(0)
	v_subrev_u32_e32 v0, s69, v0
	v_cmp_ne_u32_e32 vcc, v0, v12
	s_and_saveexec_b64 s[64:65], vcc
	s_cbranch_execz .LBB45_52
; %bb.54:                               ;   in Loop: Header=BB45_53 Depth=4
	v_add_u32_e32 v4, 1, v4
	v_cmp_ge_i32_e32 vcc, v4, v32
	s_andn2_b64 s[62:63], s[62:63], exec
	s_and_b64 s[66:67], vcc, exec
	s_andn2_b64 s[60:61], s[60:61], exec
	s_or_b64 s[62:63], s[62:63], s[66:67]
	s_branch .LBB45_52
.LBB45_55:                              ;   in Loop: Header=BB45_9 Depth=3
	s_or_b64 exec, exec, s[58:59]
	s_mov_b64 s[58:59], s[52:53]
                                        ; implicit-def: $vgpr0_vgpr1
	s_and_saveexec_b64 s[60:61], s[56:57]
	s_xor_b64 s[56:57], exec, s[60:61]
	s_cbranch_execz .LBB45_57
; %bb.56:                               ;   in Loop: Header=BB45_9 Depth=3
	v_lshlrev_b64 v[0:1], 4, v[2:3]
	v_mov_b32_e32 v2, s41
	v_add_co_u32_e32 v0, vcc, s40, v0
	v_addc_co_u32_e32 v1, vcc, v2, v1, vcc
	s_or_b64 s[58:59], s[52:53], exec
	global_store_dwordx2 v[0:1], v[16:17], off
.LBB45_57:                              ;   in Loop: Header=BB45_9 Depth=3
	s_or_b64 exec, exec, s[56:57]
	s_andn2_b64 s[56:57], s[52:53], exec
	s_and_b64 s[58:59], s[58:59], exec
	s_or_b64 s[56:57], s[56:57], s[58:59]
.LBB45_58:                              ;   in Loop: Header=BB45_9 Depth=3
	s_or_b64 exec, exec, s[54:55]
	s_andn2_b64 s[52:53], s[52:53], exec
	s_and_b64 s[54:55], s[56:57], exec
	s_or_b64 s[52:53], s[52:53], s[54:55]
	s_or_b64 exec, exec, s[6:7]
	s_and_b64 exec, exec, s[52:53]
	s_cbranch_execz .LBB45_8
.LBB45_59:                              ;   in Loop: Header=BB45_9 Depth=3
	global_store_dwordx2 v[0:1], v[10:11], off offset:8
	s_branch .LBB45_8
.LBB45_60:                              ;   in Loop: Header=BB45_3 Depth=1
	s_and_saveexec_b64 s[4:5], s[0:1]
	s_cbranch_execz .LBB45_2
; %bb.61:                               ;   in Loop: Header=BB45_3 Depth=1
	s_mov_b64 s[6:7], 0
	v_mov_b32_e32 v0, v24
	s_branch .LBB45_63
.LBB45_62:                              ;   in Loop: Header=BB45_63 Depth=2
	s_or_b64 exec, exec, s[46:47]
	v_add_u32_e32 v0, 0x80, v0
	v_cmp_le_u32_e32 vcc, s71, v0
	s_or_b64 s[6:7], vcc, s[6:7]
	s_andn2_b64 exec, exec, s[6:7]
	s_cbranch_execz .LBB45_2
.LBB45_63:                              ;   Parent Loop BB45_3 Depth=1
                                        ; =>  This Loop Header: Depth=2
                                        ;       Child Loop BB45_66 Depth 3
                                        ;       Child Loop BB45_69 Depth 3
	v_cmp_gt_i32_e32 vcc, s35, v0
	s_and_saveexec_b64 s[46:47], vcc
	s_cbranch_execz .LBB45_62
; %bb.64:                               ;   in Loop: Header=BB45_63 Depth=2
	v_ashrrev_i32_e32 v1, 31, v0
	v_lshlrev_b64 v[2:3], 2, v[0:1]
	v_mov_b32_e32 v4, s17
	v_add_co_u32_e32 v6, vcc, s16, v2
	v_addc_co_u32_e32 v7, vcc, v4, v3, vcc
	global_load_dword v4, v[6:7], off
	v_mov_b32_e32 v7, s19
	v_add_co_u32_e32 v6, vcc, s18, v2
	v_addc_co_u32_e32 v7, vcc, v7, v3, vcc
	global_load_dword v7, v[6:7], off
	s_waitcnt vmcnt(1)
	v_add_u32_e32 v6, v26, v4
	s_waitcnt vmcnt(0)
	v_subrev_u32_e32 v4, s69, v7
	v_cmp_lt_i32_e32 vcc, v6, v4
	s_and_saveexec_b64 s[48:49], vcc
	s_cbranch_execz .LBB45_67
; %bb.65:                               ;   in Loop: Header=BB45_63 Depth=2
	v_ashrrev_i32_e32 v7, 31, v6
	v_lshlrev_b64 v[9:10], 4, v[6:7]
	v_mov_b32_e32 v8, s23
	v_add_co_u32_e32 v7, vcc, s22, v9
	v_addc_co_u32_e32 v8, vcc, v8, v10, vcc
	v_mov_b32_e32 v11, s41
	v_add_co_u32_e32 v9, vcc, s40, v9
	v_addc_co_u32_e32 v10, vcc, v11, v10, vcc
	s_mov_b64 s[50:51], 0
.LBB45_66:                              ;   Parent Loop BB45_3 Depth=1
                                        ;     Parent Loop BB45_63 Depth=2
                                        ; =>    This Inner Loop Header: Depth=3
	global_load_dwordx4 v[11:14], v[9:10], off
	v_add_u32_e32 v6, 8, v6
	v_cmp_ge_i32_e32 vcc, v6, v4
	s_or_b64 s[50:51], vcc, s[50:51]
	s_waitcnt vmcnt(0)
	global_store_dwordx4 v[7:8], v[11:14], off
	v_add_co_u32_e32 v7, vcc, 0x80, v7
	v_addc_co_u32_e32 v8, vcc, 0, v8, vcc
	v_add_co_u32_e32 v9, vcc, 0x80, v9
	v_addc_co_u32_e32 v10, vcc, 0, v10, vcc
	s_andn2_b64 exec, exec, s[50:51]
	s_cbranch_execnz .LBB45_66
.LBB45_67:                              ;   in Loop: Header=BB45_63 Depth=2
	s_or_b64 exec, exec, s[48:49]
	v_mov_b32_e32 v4, s9
	v_add_co_u32_e32 v6, vcc, s8, v2
	v_addc_co_u32_e32 v7, vcc, v4, v3, vcc
	global_load_dword v4, v[6:7], off
	v_mov_b32_e32 v6, s11
	v_add_co_u32_e32 v2, vcc, s10, v2
	v_addc_co_u32_e32 v3, vcc, v6, v3, vcc
	global_load_dword v3, v[2:3], off
	s_waitcnt vmcnt(1)
	v_add_u32_e32 v2, v27, v4
	s_waitcnt vmcnt(0)
	v_subrev_u32_e32 v8, s70, v3
	v_cmp_lt_i32_e32 vcc, v2, v8
	s_and_saveexec_b64 s[48:49], vcc
	s_cbranch_execz .LBB45_70
; %bb.68:                               ;   in Loop: Header=BB45_63 Depth=2
	v_ashrrev_i32_e32 v3, 31, v2
	v_lshlrev_b64 v[6:7], 4, v[2:3]
	v_mov_b32_e32 v4, s15
	v_add_co_u32_e32 v3, vcc, s14, v6
	v_addc_co_u32_e32 v4, vcc, v4, v7, vcc
	v_mov_b32_e32 v9, s43
	v_add_co_u32_e32 v6, vcc, s42, v6
	v_addc_co_u32_e32 v7, vcc, v9, v7, vcc
	s_mov_b64 s[50:51], 0
.LBB45_69:                              ;   Parent Loop BB45_3 Depth=1
                                        ;     Parent Loop BB45_63 Depth=2
                                        ; =>    This Inner Loop Header: Depth=3
	global_load_dwordx4 v[9:12], v[6:7], off
	v_add_u32_e32 v2, 8, v2
	v_cmp_ge_i32_e32 vcc, v2, v8
	s_or_b64 s[50:51], vcc, s[50:51]
	s_waitcnt vmcnt(0)
	global_store_dwordx4 v[3:4], v[9:12], off
	v_add_co_u32_e32 v3, vcc, 0x80, v3
	v_addc_co_u32_e32 v4, vcc, 0, v4, vcc
	v_add_co_u32_e32 v6, vcc, 0x80, v6
	v_addc_co_u32_e32 v7, vcc, 0, v7, vcc
	s_andn2_b64 exec, exec, s[50:51]
	s_cbranch_execnz .LBB45_69
.LBB45_70:                              ;   in Loop: Header=BB45_63 Depth=2
	s_or_b64 exec, exec, s[48:49]
	s_and_b64 exec, exec, s[2:3]
	s_cbranch_execz .LBB45_62
; %bb.71:                               ;   in Loop: Header=BB45_63 Depth=2
	v_lshlrev_b64 v[6:7], 4, v[0:1]
	v_mov_b32_e32 v2, s39
	v_add_co_u32_e32 v1, vcc, s38, v6
	v_addc_co_u32_e32 v2, vcc, v2, v7, vcc
	global_load_dwordx4 v[1:4], v[1:2], off
	v_mov_b32_e32 v8, s37
	v_add_co_u32_e32 v6, vcc, s36, v6
	v_addc_co_u32_e32 v7, vcc, v8, v7, vcc
	s_waitcnt vmcnt(0)
	global_store_dwordx4 v[6:7], v[1:4], off
	s_branch .LBB45_62
.LBB45_72:
	s_endpgm
	.section	.rodata,"a",@progbits
	.p2align	6, 0x0
	.amdhsa_kernel _ZN9rocsparseL14kernel_freerunILi1024ELi8E21rocsparse_complex_numIdEiiEEvT3_S3_T2_PKS4_S6_PKS3_PKT1_21rocsparse_index_base_S6_S6_S8_PS9_SD_SC_S6_S6_S8_SD_SD_SC_SD_SD_
		.amdhsa_group_segment_fixed_size 0
		.amdhsa_private_segment_fixed_size 0
		.amdhsa_kernarg_size 168
		.amdhsa_user_sgpr_count 6
		.amdhsa_user_sgpr_private_segment_buffer 1
		.amdhsa_user_sgpr_dispatch_ptr 0
		.amdhsa_user_sgpr_queue_ptr 0
		.amdhsa_user_sgpr_kernarg_segment_ptr 1
		.amdhsa_user_sgpr_dispatch_id 0
		.amdhsa_user_sgpr_flat_scratch_init 0
		.amdhsa_user_sgpr_private_segment_size 0
		.amdhsa_uses_dynamic_stack 0
		.amdhsa_system_sgpr_private_segment_wavefront_offset 0
		.amdhsa_system_sgpr_workgroup_id_x 1
		.amdhsa_system_sgpr_workgroup_id_y 0
		.amdhsa_system_sgpr_workgroup_id_z 0
		.amdhsa_system_sgpr_workgroup_info 0
		.amdhsa_system_vgpr_workitem_id 0
		.amdhsa_next_free_vgpr 46
		.amdhsa_next_free_sgpr 76
		.amdhsa_reserve_vcc 1
		.amdhsa_reserve_flat_scratch 0
		.amdhsa_float_round_mode_32 0
		.amdhsa_float_round_mode_16_64 0
		.amdhsa_float_denorm_mode_32 3
		.amdhsa_float_denorm_mode_16_64 3
		.amdhsa_dx10_clamp 1
		.amdhsa_ieee_mode 1
		.amdhsa_fp16_overflow 0
		.amdhsa_exception_fp_ieee_invalid_op 0
		.amdhsa_exception_fp_denorm_src 0
		.amdhsa_exception_fp_ieee_div_zero 0
		.amdhsa_exception_fp_ieee_overflow 0
		.amdhsa_exception_fp_ieee_underflow 0
		.amdhsa_exception_fp_ieee_inexact 0
		.amdhsa_exception_int_div_zero 0
	.end_amdhsa_kernel
	.section	.text._ZN9rocsparseL14kernel_freerunILi1024ELi8E21rocsparse_complex_numIdEiiEEvT3_S3_T2_PKS4_S6_PKS3_PKT1_21rocsparse_index_base_S6_S6_S8_PS9_SD_SC_S6_S6_S8_SD_SD_SC_SD_SD_,"axG",@progbits,_ZN9rocsparseL14kernel_freerunILi1024ELi8E21rocsparse_complex_numIdEiiEEvT3_S3_T2_PKS4_S6_PKS3_PKT1_21rocsparse_index_base_S6_S6_S8_PS9_SD_SC_S6_S6_S8_SD_SD_SC_SD_SD_,comdat
.Lfunc_end45:
	.size	_ZN9rocsparseL14kernel_freerunILi1024ELi8E21rocsparse_complex_numIdEiiEEvT3_S3_T2_PKS4_S6_PKS3_PKT1_21rocsparse_index_base_S6_S6_S8_PS9_SD_SC_S6_S6_S8_SD_SD_SC_SD_SD_, .Lfunc_end45-_ZN9rocsparseL14kernel_freerunILi1024ELi8E21rocsparse_complex_numIdEiiEEvT3_S3_T2_PKS4_S6_PKS3_PKT1_21rocsparse_index_base_S6_S6_S8_PS9_SD_SC_S6_S6_S8_SD_SD_SC_SD_SD_
                                        ; -- End function
	.set _ZN9rocsparseL14kernel_freerunILi1024ELi8E21rocsparse_complex_numIdEiiEEvT3_S3_T2_PKS4_S6_PKS3_PKT1_21rocsparse_index_base_S6_S6_S8_PS9_SD_SC_S6_S6_S8_SD_SD_SC_SD_SD_.num_vgpr, 46
	.set _ZN9rocsparseL14kernel_freerunILi1024ELi8E21rocsparse_complex_numIdEiiEEvT3_S3_T2_PKS4_S6_PKS3_PKT1_21rocsparse_index_base_S6_S6_S8_PS9_SD_SC_S6_S6_S8_SD_SD_SC_SD_SD_.num_agpr, 0
	.set _ZN9rocsparseL14kernel_freerunILi1024ELi8E21rocsparse_complex_numIdEiiEEvT3_S3_T2_PKS4_S6_PKS3_PKT1_21rocsparse_index_base_S6_S6_S8_PS9_SD_SC_S6_S6_S8_SD_SD_SC_SD_SD_.numbered_sgpr, 76
	.set _ZN9rocsparseL14kernel_freerunILi1024ELi8E21rocsparse_complex_numIdEiiEEvT3_S3_T2_PKS4_S6_PKS3_PKT1_21rocsparse_index_base_S6_S6_S8_PS9_SD_SC_S6_S6_S8_SD_SD_SC_SD_SD_.num_named_barrier, 0
	.set _ZN9rocsparseL14kernel_freerunILi1024ELi8E21rocsparse_complex_numIdEiiEEvT3_S3_T2_PKS4_S6_PKS3_PKT1_21rocsparse_index_base_S6_S6_S8_PS9_SD_SC_S6_S6_S8_SD_SD_SC_SD_SD_.private_seg_size, 0
	.set _ZN9rocsparseL14kernel_freerunILi1024ELi8E21rocsparse_complex_numIdEiiEEvT3_S3_T2_PKS4_S6_PKS3_PKT1_21rocsparse_index_base_S6_S6_S8_PS9_SD_SC_S6_S6_S8_SD_SD_SC_SD_SD_.uses_vcc, 1
	.set _ZN9rocsparseL14kernel_freerunILi1024ELi8E21rocsparse_complex_numIdEiiEEvT3_S3_T2_PKS4_S6_PKS3_PKT1_21rocsparse_index_base_S6_S6_S8_PS9_SD_SC_S6_S6_S8_SD_SD_SC_SD_SD_.uses_flat_scratch, 0
	.set _ZN9rocsparseL14kernel_freerunILi1024ELi8E21rocsparse_complex_numIdEiiEEvT3_S3_T2_PKS4_S6_PKS3_PKT1_21rocsparse_index_base_S6_S6_S8_PS9_SD_SC_S6_S6_S8_SD_SD_SC_SD_SD_.has_dyn_sized_stack, 0
	.set _ZN9rocsparseL14kernel_freerunILi1024ELi8E21rocsparse_complex_numIdEiiEEvT3_S3_T2_PKS4_S6_PKS3_PKT1_21rocsparse_index_base_S6_S6_S8_PS9_SD_SC_S6_S6_S8_SD_SD_SC_SD_SD_.has_recursion, 0
	.set _ZN9rocsparseL14kernel_freerunILi1024ELi8E21rocsparse_complex_numIdEiiEEvT3_S3_T2_PKS4_S6_PKS3_PKT1_21rocsparse_index_base_S6_S6_S8_PS9_SD_SC_S6_S6_S8_SD_SD_SC_SD_SD_.has_indirect_call, 0
	.section	.AMDGPU.csdata,"",@progbits
; Kernel info:
; codeLenInByte = 3444
; TotalNumSgprs: 80
; NumVgprs: 46
; ScratchSize: 0
; MemoryBound: 1
; FloatMode: 240
; IeeeMode: 1
; LDSByteSize: 0 bytes/workgroup (compile time only)
; SGPRBlocks: 9
; VGPRBlocks: 11
; NumSGPRsForWavesPerEU: 80
; NumVGPRsForWavesPerEU: 46
; Occupancy: 5
; WaveLimiterHint : 1
; COMPUTE_PGM_RSRC2:SCRATCH_EN: 0
; COMPUTE_PGM_RSRC2:USER_SGPR: 6
; COMPUTE_PGM_RSRC2:TRAP_HANDLER: 0
; COMPUTE_PGM_RSRC2:TGID_X_EN: 1
; COMPUTE_PGM_RSRC2:TGID_Y_EN: 0
; COMPUTE_PGM_RSRC2:TGID_Z_EN: 0
; COMPUTE_PGM_RSRC2:TIDIG_COMP_CNT: 0
	.section	.text._ZN9rocsparseL14kernel_freerunILi1024ELi16E21rocsparse_complex_numIdEiiEEvT3_S3_T2_PKS4_S6_PKS3_PKT1_21rocsparse_index_base_S6_S6_S8_PS9_SD_SC_S6_S6_S8_SD_SD_SC_SD_SD_,"axG",@progbits,_ZN9rocsparseL14kernel_freerunILi1024ELi16E21rocsparse_complex_numIdEiiEEvT3_S3_T2_PKS4_S6_PKS3_PKT1_21rocsparse_index_base_S6_S6_S8_PS9_SD_SC_S6_S6_S8_SD_SD_SC_SD_SD_,comdat
	.globl	_ZN9rocsparseL14kernel_freerunILi1024ELi16E21rocsparse_complex_numIdEiiEEvT3_S3_T2_PKS4_S6_PKS3_PKT1_21rocsparse_index_base_S6_S6_S8_PS9_SD_SC_S6_S6_S8_SD_SD_SC_SD_SD_ ; -- Begin function _ZN9rocsparseL14kernel_freerunILi1024ELi16E21rocsparse_complex_numIdEiiEEvT3_S3_T2_PKS4_S6_PKS3_PKT1_21rocsparse_index_base_S6_S6_S8_PS9_SD_SC_S6_S6_S8_SD_SD_SC_SD_SD_
	.p2align	8
	.type	_ZN9rocsparseL14kernel_freerunILi1024ELi16E21rocsparse_complex_numIdEiiEEvT3_S3_T2_PKS4_S6_PKS3_PKT1_21rocsparse_index_base_S6_S6_S8_PS9_SD_SC_S6_S6_S8_SD_SD_SC_SD_SD_,@function
_ZN9rocsparseL14kernel_freerunILi1024ELi16E21rocsparse_complex_numIdEiiEEvT3_S3_T2_PKS4_S6_PKS3_PKT1_21rocsparse_index_base_S6_S6_S8_PS9_SD_SC_S6_S6_S8_SD_SD_SC_SD_SD_: ; @_ZN9rocsparseL14kernel_freerunILi1024ELi16E21rocsparse_complex_numIdEiiEEvT3_S3_T2_PKS4_S6_PKS3_PKT1_21rocsparse_index_base_S6_S6_S8_PS9_SD_SC_S6_S6_S8_SD_SD_SC_SD_SD_
; %bb.0:
	s_load_dwordx2 s[34:35], s[4:5], 0x0
	v_lshrrev_b32_e32 v1, 4, v0
	s_lshl_b32 s71, s6, 10
	v_or_b32_e32 v24, s71, v1
	s_mov_b32 s33, 0
	s_waitcnt lgkmcnt(0)
	s_cmp_gt_i32 s34, 0
	v_cmp_gt_i32_e32 vcc, s35, v24
	s_cselect_b64 s[0:1], -1, 0
	s_and_b64 s[0:1], vcc, s[0:1]
	s_and_saveexec_b64 s[2:3], s[0:1]
	s_cbranch_execz .LBB46_72
; %bb.1:
	s_load_dwordx4 s[36:39], s[4:5], 0x98
	s_load_dwordx8 s[8:15], s[4:5], 0x68
	s_load_dwordx8 s[16:23], s[4:5], 0x38
	;; [unrolled: 1-line block ×3, first 2 shown]
	s_load_dword s68, s[4:5], 0x30
	s_load_dwordx2 s[40:41], s[4:5], 0x58
	s_load_dword s69, s[4:5], 0x60
	s_load_dwordx2 s[42:43], s[4:5], 0x88
	s_load_dword s70, s[4:5], 0x90
	v_and_b32_e32 v0, 15, v0
	s_addk_i32 s71, 0x400
	s_mov_b32 s44, 0
	s_waitcnt lgkmcnt(0)
	v_subrev_u32_e32 v25, s68, v0
	v_cmp_gt_u32_e64 s[0:1], s71, v24
	v_subrev_u32_e32 v26, s69, v0
	v_subrev_u32_e32 v27, s70, v0
	v_cmp_eq_u32_e64 s[2:3], 0, v0
	v_mov_b32_e32 v5, 0
	s_brev_b32 s45, 8
	v_mov_b32_e32 v28, 0x260
	s_movk_i32 s72, 0x1f8
	v_mov_b32_e32 v29, 0x100
	v_mov_b32_e32 v30, 0xffffff80
	s_branch .LBB46_3
.LBB46_2:                               ;   in Loop: Header=BB46_3 Depth=1
	s_or_b64 exec, exec, s[4:5]
	s_add_i32 s33, s33, 1
	s_cmp_eq_u32 s33, s34
	s_cbranch_scc1 .LBB46_72
.LBB46_3:                               ; =>This Loop Header: Depth=1
                                        ;     Child Loop BB46_5 Depth 2
                                        ;       Child Loop BB46_9 Depth 3
                                        ;         Child Loop BB46_13 Depth 4
                                        ;         Child Loop BB46_43 Depth 4
                                        ;         Child Loop BB46_53 Depth 4
                                        ;     Child Loop BB46_63 Depth 2
                                        ;       Child Loop BB46_66 Depth 3
                                        ;       Child Loop BB46_69 Depth 3
	s_mov_b32 s73, 0
	s_branch .LBB46_5
.LBB46_4:                               ;   in Loop: Header=BB46_5 Depth=2
	s_or_b64 exec, exec, s[46:47]
	s_add_i32 s73, s73, 1
	s_cmp_eq_u32 s73, 16
	s_cbranch_scc1 .LBB46_60
.LBB46_5:                               ;   Parent Loop BB46_3 Depth=1
                                        ; =>  This Loop Header: Depth=2
                                        ;       Child Loop BB46_9 Depth 3
                                        ;         Child Loop BB46_13 Depth 4
                                        ;         Child Loop BB46_43 Depth 4
	;; [unrolled: 1-line block ×3, first 2 shown]
	v_lshl_add_u32 v6, s73, 6, v24
	v_cmp_gt_i32_e32 vcc, s35, v6
	s_and_saveexec_b64 s[46:47], vcc
	s_cbranch_execz .LBB46_4
; %bb.6:                                ;   in Loop: Header=BB46_5 Depth=2
	v_ashrrev_i32_e32 v7, 31, v6
	v_lshlrev_b64 v[0:1], 2, v[6:7]
	v_mov_b32_e32 v3, s25
	v_add_co_u32_e32 v2, vcc, s24, v0
	v_addc_co_u32_e32 v3, vcc, v3, v1, vcc
	global_load_dword v4, v[2:3], off
	v_mov_b32_e32 v3, s27
	v_add_co_u32_e32 v2, vcc, s26, v0
	v_addc_co_u32_e32 v3, vcc, v3, v1, vcc
	global_load_dword v2, v[2:3], off
	s_waitcnt vmcnt(1)
	v_add_u32_e32 v7, v25, v4
	s_waitcnt vmcnt(0)
	v_subrev_u32_e32 v31, s68, v2
	v_cmp_lt_i32_e32 vcc, v7, v31
	s_and_b64 exec, exec, vcc
	s_cbranch_execz .LBB46_4
; %bb.7:                                ;   in Loop: Header=BB46_5 Depth=2
	v_mov_b32_e32 v3, s19
	v_add_co_u32_e32 v2, vcc, s18, v0
	v_addc_co_u32_e32 v3, vcc, v3, v1, vcc
	v_mov_b32_e32 v4, s17
	v_add_co_u32_e32 v0, vcc, s16, v0
	v_addc_co_u32_e32 v1, vcc, v4, v1, vcc
	global_load_dword v0, v[0:1], off
	s_nop 0
	global_load_dword v1, v[2:3], off
	v_mov_b32_e32 v4, s21
	v_mov_b32_e32 v8, s23
	s_mov_b64 s[48:49], 0
	s_waitcnt vmcnt(1)
	v_subrev_u32_e32 v9, s69, v0
	v_ashrrev_i32_e32 v10, 31, v9
	s_waitcnt vmcnt(0)
	v_sub_u32_e32 v32, v1, v0
	v_lshlrev_b64 v[0:1], 2, v[9:10]
	v_lshlrev_b64 v[2:3], 4, v[9:10]
	v_add_co_u32_e32 v33, vcc, s20, v0
	v_addc_co_u32_e32 v34, vcc, v4, v1, vcc
	v_add_co_u32_e32 v35, vcc, s22, v2
	v_cmp_lt_i32_e64 s[4:5], 0, v32
	v_addc_co_u32_e32 v36, vcc, v8, v3, vcc
	s_branch .LBB46_9
.LBB46_8:                               ;   in Loop: Header=BB46_9 Depth=3
	s_or_b64 exec, exec, s[50:51]
	v_add_u32_e32 v7, 16, v7
	v_cmp_ge_i32_e32 vcc, v7, v31
	s_or_b64 s[48:49], vcc, s[48:49]
	s_andn2_b64 exec, exec, s[48:49]
	s_cbranch_execz .LBB46_4
.LBB46_9:                               ;   Parent Loop BB46_3 Depth=1
                                        ;     Parent Loop BB46_5 Depth=2
                                        ; =>    This Loop Header: Depth=3
                                        ;         Child Loop BB46_13 Depth 4
                                        ;         Child Loop BB46_43 Depth 4
	;; [unrolled: 1-line block ×3, first 2 shown]
	v_ashrrev_i32_e32 v8, 31, v7
	v_lshlrev_b64 v[0:1], 2, v[7:8]
	v_mov_b32_e32 v2, s29
	v_add_co_u32_e32 v0, vcc, s28, v0
	v_addc_co_u32_e32 v1, vcc, v2, v1, vcc
	global_load_dword v0, v[0:1], off
	v_mov_b32_e32 v3, s9
	v_mov_b32_e32 v4, s11
	s_waitcnt vmcnt(0)
	v_subrev_u32_e32 v12, s68, v0
	v_ashrrev_i32_e32 v13, 31, v12
	v_lshlrev_b64 v[0:1], 2, v[12:13]
	v_add_co_u32_e32 v2, vcc, s8, v0
	v_addc_co_u32_e32 v3, vcc, v3, v1, vcc
	v_add_co_u32_e32 v0, vcc, s10, v0
	v_addc_co_u32_e32 v1, vcc, v4, v1, vcc
	global_load_dword v10, v[2:3], off
	global_load_dword v11, v[0:1], off
	v_mov_b32_e32 v4, 0
	v_mov_b32_e32 v0, 0
	;; [unrolled: 1-line block ×6, first 2 shown]
	s_waitcnt vmcnt(1)
	v_subrev_u32_e32 v14, s70, v10
	s_waitcnt vmcnt(0)
	v_sub_u32_e32 v37, v11, v10
	s_and_saveexec_b64 s[6:7], s[4:5]
	s_cbranch_execz .LBB46_17
; %bb.10:                               ;   in Loop: Header=BB46_9 Depth=3
	v_ashrrev_i32_e32 v15, 31, v14
	v_lshlrev_b64 v[0:1], 2, v[14:15]
	v_mov_b32_e32 v2, s13
	v_add_co_u32_e32 v10, vcc, s12, v0
	v_addc_co_u32_e32 v11, vcc, v2, v1, vcc
	v_lshlrev_b64 v[0:1], 4, v[14:15]
	v_mov_b32_e32 v2, s15
	v_add_co_u32_e32 v17, vcc, s14, v0
	v_addc_co_u32_e32 v18, vcc, v2, v1, vcc
	v_mov_b32_e32 v0, 0
	v_mov_b32_e32 v15, 0
	;; [unrolled: 1-line block ×4, first 2 shown]
	s_mov_b64 s[50:51], 0
	v_mov_b32_e32 v3, 0
	v_mov_b32_e32 v4, v15
                                        ; implicit-def: $sgpr52_sgpr53
	s_branch .LBB46_13
.LBB46_11:                              ;   in Loop: Header=BB46_13 Depth=4
	s_or_b64 exec, exec, s[56:57]
	v_cmp_le_i32_e32 vcc, v19, v20
	v_addc_co_u32_e32 v4, vcc, 0, v4, vcc
	v_cmp_ge_i32_e32 vcc, v19, v20
	v_addc_co_u32_e32 v15, vcc, 0, v15, vcc
	v_cmp_ge_i32_e32 vcc, v4, v32
	s_andn2_b64 s[52:53], s[52:53], exec
	s_and_b64 s[56:57], vcc, exec
	s_or_b64 s[52:53], s[52:53], s[56:57]
.LBB46_12:                              ;   in Loop: Header=BB46_13 Depth=4
	s_or_b64 exec, exec, s[54:55]
	s_and_b64 s[54:55], exec, s[52:53]
	s_or_b64 s[50:51], s[54:55], s[50:51]
	s_andn2_b64 exec, exec, s[50:51]
	s_cbranch_execz .LBB46_16
.LBB46_13:                              ;   Parent Loop BB46_3 Depth=1
                                        ;     Parent Loop BB46_5 Depth=2
                                        ;       Parent Loop BB46_9 Depth=3
                                        ; =>      This Inner Loop Header: Depth=4
	v_cmp_lt_i32_e32 vcc, v15, v37
	s_or_b64 s[52:53], s[52:53], exec
	s_and_saveexec_b64 s[54:55], vcc
	s_cbranch_execz .LBB46_12
; %bb.14:                               ;   in Loop: Header=BB46_13 Depth=4
	v_lshlrev_b64 v[19:20], 2, v[4:5]
	v_mov_b32_e32 v16, v5
	v_add_co_u32_e32 v19, vcc, v33, v19
	v_addc_co_u32_e32 v20, vcc, v34, v20, vcc
	global_load_dword v21, v[19:20], off
	v_lshlrev_b64 v[19:20], 2, v[15:16]
	v_add_co_u32_e32 v19, vcc, v10, v19
	v_addc_co_u32_e32 v20, vcc, v11, v20, vcc
	global_load_dword v20, v[19:20], off
	s_waitcnt vmcnt(1)
	v_subrev_u32_e32 v19, s69, v21
	s_waitcnt vmcnt(0)
	v_subrev_u32_e32 v20, s70, v20
	v_cmp_eq_u32_e32 vcc, v19, v20
	s_and_saveexec_b64 s[56:57], vcc
	s_cbranch_execz .LBB46_11
; %bb.15:                               ;   in Loop: Header=BB46_13 Depth=4
	v_lshlrev_b64 v[21:22], 4, v[4:5]
	v_add_co_u32_e32 v21, vcc, v35, v21
	v_addc_co_u32_e32 v22, vcc, v36, v22, vcc
	global_load_dwordx4 v[38:41], v[21:22], off
	v_lshlrev_b64 v[21:22], 4, v[15:16]
	v_add_co_u32_e32 v21, vcc, v17, v21
	v_addc_co_u32_e32 v22, vcc, v18, v22, vcc
	global_load_dwordx4 v[42:45], v[21:22], off
	s_waitcnt vmcnt(0)
	v_fma_f64 v[0:1], v[38:39], v[42:43], v[0:1]
	v_fma_f64 v[2:3], v[40:41], v[42:43], v[2:3]
	v_fma_f64 v[0:1], -v[40:41], v[44:45], v[0:1]
	v_fma_f64 v[2:3], v[38:39], v[44:45], v[2:3]
	s_branch .LBB46_11
.LBB46_16:                              ;   in Loop: Header=BB46_9 Depth=3
	s_or_b64 exec, exec, s[50:51]
.LBB46_17:                              ;   in Loop: Header=BB46_9 Depth=3
	s_or_b64 exec, exec, s[6:7]
	v_lshlrev_b64 v[10:11], 4, v[7:8]
	v_mov_b32_e32 v8, s31
	v_add_co_u32_e32 v10, vcc, s30, v10
	v_addc_co_u32_e32 v11, vcc, v8, v11, vcc
	global_load_dwordx4 v[16:19], v[10:11], off
	v_cmp_le_i32_e64 s[6:7], v6, v12
	v_cmp_gt_i32_e32 vcc, v6, v12
	s_waitcnt vmcnt(0)
	v_add_f64 v[16:17], v[16:17], -v[0:1]
	v_add_f64 v[10:11], v[18:19], -v[2:3]
	s_and_saveexec_b64 s[50:51], vcc
	s_cbranch_execz .LBB46_27
; %bb.18:                               ;   in Loop: Header=BB46_9 Depth=3
	v_lshlrev_b64 v[0:1], 4, v[12:13]
	v_mov_b32_e32 v2, s37
	v_add_co_u32_e32 v0, vcc, s36, v0
	v_addc_co_u32_e32 v1, vcc, v2, v1, vcc
	global_load_dwordx4 v[0:3], v[0:1], off
                                        ; implicit-def: $vgpr22_vgpr23
	s_waitcnt vmcnt(0)
	v_cmp_gt_f64_e32 vcc, 0, v[0:1]
	v_xor_b32_e32 v8, 0x80000000, v1
	v_xor_b32_e32 v20, 0x80000000, v3
	v_mov_b32_e32 v18, v0
	v_cndmask_b32_e32 v19, v1, v8, vcc
	v_cmp_gt_f64_e32 vcc, 0, v[2:3]
	v_cndmask_b32_e32 v21, v3, v20, vcc
	v_mov_b32_e32 v20, v2
	v_cmp_ngt_f64_e32 vcc, v[18:19], v[20:21]
	s_and_saveexec_b64 s[52:53], vcc
	s_xor_b64 s[52:53], exec, s[52:53]
	s_cbranch_execz .LBB46_22
; %bb.19:                               ;   in Loop: Header=BB46_9 Depth=3
	v_cmp_neq_f64_e32 vcc, 0, v[2:3]
	v_mov_b32_e32 v22, 0
	v_mov_b32_e32 v23, 0
	s_and_saveexec_b64 s[54:55], vcc
	s_cbranch_execz .LBB46_21
; %bb.20:                               ;   in Loop: Header=BB46_9 Depth=3
	v_div_scale_f64 v[22:23], s[56:57], v[20:21], v[20:21], v[18:19]
	v_rcp_f64_e32 v[38:39], v[22:23]
	v_fma_f64 v[40:41], -v[22:23], v[38:39], 1.0
	v_fma_f64 v[38:39], v[38:39], v[40:41], v[38:39]
	v_div_scale_f64 v[40:41], vcc, v[18:19], v[20:21], v[18:19]
	v_fma_f64 v[42:43], -v[22:23], v[38:39], 1.0
	v_fma_f64 v[38:39], v[38:39], v[42:43], v[38:39]
	v_mul_f64 v[42:43], v[40:41], v[38:39]
	v_fma_f64 v[22:23], -v[22:23], v[42:43], v[40:41]
	v_div_fmas_f64 v[22:23], v[22:23], v[38:39], v[42:43]
	v_div_fixup_f64 v[18:19], v[22:23], v[20:21], v[18:19]
	v_fma_f64 v[18:19], v[18:19], v[18:19], 1.0
	v_cmp_gt_f64_e32 vcc, s[44:45], v[18:19]
	v_cndmask_b32_e32 v8, 0, v29, vcc
	v_ldexp_f64 v[18:19], v[18:19], v8
	v_cndmask_b32_e32 v8, 0, v30, vcc
	v_rsq_f64_e32 v[22:23], v[18:19]
	v_cmp_class_f64_e32 vcc, v[18:19], v28
	v_mul_f64 v[38:39], v[18:19], v[22:23]
	v_mul_f64 v[22:23], v[22:23], 0.5
	v_fma_f64 v[40:41], -v[22:23], v[38:39], 0.5
	v_fma_f64 v[38:39], v[38:39], v[40:41], v[38:39]
	v_fma_f64 v[22:23], v[22:23], v[40:41], v[22:23]
	v_fma_f64 v[40:41], -v[38:39], v[38:39], v[18:19]
	v_fma_f64 v[38:39], v[40:41], v[22:23], v[38:39]
	v_fma_f64 v[40:41], -v[38:39], v[38:39], v[18:19]
	v_fma_f64 v[22:23], v[40:41], v[22:23], v[38:39]
	v_ldexp_f64 v[22:23], v[22:23], v8
	v_cndmask_b32_e32 v19, v23, v19, vcc
	v_cndmask_b32_e32 v18, v22, v18, vcc
	v_mul_f64 v[22:23], v[20:21], v[18:19]
.LBB46_21:                              ;   in Loop: Header=BB46_9 Depth=3
	s_or_b64 exec, exec, s[54:55]
                                        ; implicit-def: $vgpr18_vgpr19
                                        ; implicit-def: $vgpr20_vgpr21
.LBB46_22:                              ;   in Loop: Header=BB46_9 Depth=3
	s_andn2_saveexec_b64 s[52:53], s[52:53]
	s_cbranch_execz .LBB46_24
; %bb.23:                               ;   in Loop: Header=BB46_9 Depth=3
	v_div_scale_f64 v[22:23], s[54:55], v[18:19], v[18:19], v[20:21]
	v_rcp_f64_e32 v[38:39], v[22:23]
	v_fma_f64 v[40:41], -v[22:23], v[38:39], 1.0
	v_fma_f64 v[38:39], v[38:39], v[40:41], v[38:39]
	v_div_scale_f64 v[40:41], vcc, v[20:21], v[18:19], v[20:21]
	v_fma_f64 v[42:43], -v[22:23], v[38:39], 1.0
	v_fma_f64 v[38:39], v[38:39], v[42:43], v[38:39]
	v_mul_f64 v[42:43], v[40:41], v[38:39]
	v_fma_f64 v[22:23], -v[22:23], v[42:43], v[40:41]
	v_div_fmas_f64 v[22:23], v[22:23], v[38:39], v[42:43]
	v_div_fixup_f64 v[20:21], v[22:23], v[18:19], v[20:21]
	v_fma_f64 v[20:21], v[20:21], v[20:21], 1.0
	v_cmp_gt_f64_e32 vcc, s[44:45], v[20:21]
	v_cndmask_b32_e32 v8, 0, v29, vcc
	v_ldexp_f64 v[20:21], v[20:21], v8
	v_cndmask_b32_e32 v8, 0, v30, vcc
	v_rsq_f64_e32 v[22:23], v[20:21]
	v_cmp_class_f64_e32 vcc, v[20:21], v28
	v_mul_f64 v[38:39], v[20:21], v[22:23]
	v_mul_f64 v[22:23], v[22:23], 0.5
	v_fma_f64 v[40:41], -v[22:23], v[38:39], 0.5
	v_fma_f64 v[38:39], v[38:39], v[40:41], v[38:39]
	v_fma_f64 v[22:23], v[22:23], v[40:41], v[22:23]
	v_fma_f64 v[40:41], -v[38:39], v[38:39], v[20:21]
	v_fma_f64 v[38:39], v[40:41], v[22:23], v[38:39]
	v_fma_f64 v[40:41], -v[38:39], v[38:39], v[20:21]
	v_fma_f64 v[22:23], v[40:41], v[22:23], v[38:39]
	v_ldexp_f64 v[22:23], v[22:23], v8
	v_cndmask_b32_e32 v21, v23, v21, vcc
	v_cndmask_b32_e32 v20, v22, v20, vcc
	v_mul_f64 v[22:23], v[18:19], v[20:21]
.LBB46_24:                              ;   in Loop: Header=BB46_9 Depth=3
	s_or_b64 exec, exec, s[52:53]
	v_cmp_lt_f64_e32 vcc, 0, v[22:23]
	v_mov_b32_e32 v18, 0
	v_mov_b32_e32 v20, 0
	;; [unrolled: 1-line block ×4, first 2 shown]
	s_and_saveexec_b64 s[52:53], vcc
	s_cbranch_execz .LBB46_26
; %bb.25:                               ;   in Loop: Header=BB46_9 Depth=3
	v_mul_f64 v[18:19], v[2:3], v[2:3]
	v_fma_f64 v[18:19], v[0:1], v[0:1], v[18:19]
	v_div_scale_f64 v[20:21], s[54:55], v[18:19], v[18:19], 1.0
	v_rcp_f64_e32 v[22:23], v[20:21]
	v_fma_f64 v[38:39], -v[20:21], v[22:23], 1.0
	v_fma_f64 v[22:23], v[22:23], v[38:39], v[22:23]
	v_div_scale_f64 v[38:39], vcc, 1.0, v[18:19], 1.0
	v_fma_f64 v[40:41], -v[20:21], v[22:23], 1.0
	v_fma_f64 v[22:23], v[22:23], v[40:41], v[22:23]
	v_mul_f64 v[40:41], v[38:39], v[22:23]
	v_fma_f64 v[20:21], -v[20:21], v[40:41], v[38:39]
	v_div_fmas_f64 v[20:21], v[20:21], v[22:23], v[40:41]
	v_mul_f64 v[22:23], v[10:11], v[2:3]
	v_mul_f64 v[2:3], v[2:3], -v[16:17]
	v_fma_f64 v[16:17], v[16:17], v[0:1], v[22:23]
	v_fma_f64 v[0:1], v[10:11], v[0:1], v[2:3]
	v_div_fixup_f64 v[20:21], v[20:21], v[18:19], 1.0
	v_mul_f64 v[18:19], v[16:17], v[20:21]
	v_mul_f64 v[20:21], v[0:1], v[20:21]
.LBB46_26:                              ;   in Loop: Header=BB46_9 Depth=3
	s_or_b64 exec, exec, s[52:53]
	v_mov_b32_e32 v16, v18
	v_mov_b32_e32 v10, v20
	;; [unrolled: 1-line block ×4, first 2 shown]
.LBB46_27:                              ;   in Loop: Header=BB46_9 Depth=3
	s_or_b64 exec, exec, s[50:51]
	v_cmp_gt_f64_e32 vcc, 0, v[16:17]
	v_xor_b32_e32 v0, 0x80000000, v17
	v_xor_b32_e32 v2, 0x80000000, v11
                                        ; implicit-def: $vgpr18_vgpr19
	v_cndmask_b32_e32 v1, v17, v0, vcc
	v_cmp_gt_f64_e32 vcc, 0, v[10:11]
	v_mov_b32_e32 v0, v16
	v_cndmask_b32_e32 v3, v11, v2, vcc
	v_mov_b32_e32 v2, v10
	v_cmp_ngt_f64_e32 vcc, v[0:1], v[2:3]
	s_and_saveexec_b64 s[50:51], vcc
	s_xor_b64 s[50:51], exec, s[50:51]
	s_cbranch_execnz .LBB46_30
; %bb.28:                               ;   in Loop: Header=BB46_9 Depth=3
	s_andn2_saveexec_b64 s[50:51], s[50:51]
	s_cbranch_execnz .LBB46_33
.LBB46_29:                              ;   in Loop: Header=BB46_9 Depth=3
	s_or_b64 exec, exec, s[50:51]
	v_cmp_class_f64_e64 s[52:53], v[18:19], s72
	s_and_saveexec_b64 s[50:51], s[52:53]
	s_cbranch_execz .LBB46_8
	s_branch .LBB46_34
.LBB46_30:                              ;   in Loop: Header=BB46_9 Depth=3
	v_cmp_neq_f64_e32 vcc, 0, v[10:11]
	v_mov_b32_e32 v18, 0
	v_mov_b32_e32 v19, 0
	s_and_saveexec_b64 s[52:53], vcc
	s_cbranch_execz .LBB46_32
; %bb.31:                               ;   in Loop: Header=BB46_9 Depth=3
	v_div_scale_f64 v[18:19], s[54:55], v[2:3], v[2:3], v[0:1]
	v_rcp_f64_e32 v[20:21], v[18:19]
	v_fma_f64 v[22:23], -v[18:19], v[20:21], 1.0
	v_fma_f64 v[20:21], v[20:21], v[22:23], v[20:21]
	v_div_scale_f64 v[22:23], vcc, v[0:1], v[2:3], v[0:1]
	v_fma_f64 v[38:39], -v[18:19], v[20:21], 1.0
	v_fma_f64 v[20:21], v[20:21], v[38:39], v[20:21]
	v_mul_f64 v[38:39], v[22:23], v[20:21]
	v_fma_f64 v[18:19], -v[18:19], v[38:39], v[22:23]
	v_div_fmas_f64 v[18:19], v[18:19], v[20:21], v[38:39]
	v_div_fixup_f64 v[0:1], v[18:19], v[2:3], v[0:1]
	v_fma_f64 v[0:1], v[0:1], v[0:1], 1.0
	v_cmp_gt_f64_e32 vcc, s[44:45], v[0:1]
	v_cndmask_b32_e32 v8, 0, v29, vcc
	v_ldexp_f64 v[0:1], v[0:1], v8
	v_cndmask_b32_e32 v8, 0, v30, vcc
	v_rsq_f64_e32 v[18:19], v[0:1]
	v_cmp_class_f64_e32 vcc, v[0:1], v28
	v_mul_f64 v[20:21], v[0:1], v[18:19]
	v_mul_f64 v[18:19], v[18:19], 0.5
	v_fma_f64 v[22:23], -v[18:19], v[20:21], 0.5
	v_fma_f64 v[20:21], v[20:21], v[22:23], v[20:21]
	v_fma_f64 v[18:19], v[18:19], v[22:23], v[18:19]
	v_fma_f64 v[22:23], -v[20:21], v[20:21], v[0:1]
	v_fma_f64 v[20:21], v[22:23], v[18:19], v[20:21]
	v_fma_f64 v[22:23], -v[20:21], v[20:21], v[0:1]
	v_fma_f64 v[18:19], v[22:23], v[18:19], v[20:21]
	v_ldexp_f64 v[18:19], v[18:19], v8
	v_cndmask_b32_e32 v1, v19, v1, vcc
	v_cndmask_b32_e32 v0, v18, v0, vcc
	v_mul_f64 v[18:19], v[2:3], v[0:1]
.LBB46_32:                              ;   in Loop: Header=BB46_9 Depth=3
	s_or_b64 exec, exec, s[52:53]
                                        ; implicit-def: $vgpr0_vgpr1
                                        ; implicit-def: $vgpr2_vgpr3
	s_andn2_saveexec_b64 s[50:51], s[50:51]
	s_cbranch_execz .LBB46_29
.LBB46_33:                              ;   in Loop: Header=BB46_9 Depth=3
	v_div_scale_f64 v[18:19], s[52:53], v[0:1], v[0:1], v[2:3]
	v_rcp_f64_e32 v[20:21], v[18:19]
	v_fma_f64 v[22:23], -v[18:19], v[20:21], 1.0
	v_fma_f64 v[20:21], v[20:21], v[22:23], v[20:21]
	v_div_scale_f64 v[22:23], vcc, v[2:3], v[0:1], v[2:3]
	v_fma_f64 v[38:39], -v[18:19], v[20:21], 1.0
	v_fma_f64 v[20:21], v[20:21], v[38:39], v[20:21]
	v_mul_f64 v[38:39], v[22:23], v[20:21]
	v_fma_f64 v[18:19], -v[18:19], v[38:39], v[22:23]
	v_div_fmas_f64 v[18:19], v[18:19], v[20:21], v[38:39]
	v_div_fixup_f64 v[2:3], v[18:19], v[0:1], v[2:3]
	v_fma_f64 v[2:3], v[2:3], v[2:3], 1.0
	v_cmp_gt_f64_e32 vcc, s[44:45], v[2:3]
	v_cndmask_b32_e32 v8, 0, v29, vcc
	v_ldexp_f64 v[2:3], v[2:3], v8
	v_cndmask_b32_e32 v8, 0, v30, vcc
	v_rsq_f64_e32 v[18:19], v[2:3]
	v_cmp_class_f64_e32 vcc, v[2:3], v28
	v_mul_f64 v[20:21], v[2:3], v[18:19]
	v_mul_f64 v[18:19], v[18:19], 0.5
	v_fma_f64 v[22:23], -v[18:19], v[20:21], 0.5
	v_fma_f64 v[20:21], v[20:21], v[22:23], v[20:21]
	v_fma_f64 v[18:19], v[18:19], v[22:23], v[18:19]
	v_fma_f64 v[22:23], -v[20:21], v[20:21], v[2:3]
	v_fma_f64 v[20:21], v[22:23], v[18:19], v[20:21]
	v_fma_f64 v[22:23], -v[20:21], v[20:21], v[2:3]
	v_fma_f64 v[18:19], v[22:23], v[18:19], v[20:21]
	v_ldexp_f64 v[18:19], v[18:19], v8
	v_cndmask_b32_e32 v3, v19, v3, vcc
	v_cndmask_b32_e32 v2, v18, v2, vcc
	v_mul_f64 v[18:19], v[0:1], v[2:3]
	s_or_b64 exec, exec, s[50:51]
	v_cmp_class_f64_e64 s[52:53], v[18:19], s72
	s_and_saveexec_b64 s[50:51], s[52:53]
	s_cbranch_execz .LBB46_8
.LBB46_34:                              ;   in Loop: Header=BB46_9 Depth=3
	s_mov_b64 s[52:53], 0
                                        ; implicit-def: $vgpr0_vgpr1
	s_and_saveexec_b64 s[54:55], s[6:7]
	s_xor_b64 s[6:7], exec, s[54:55]
	s_cbranch_execnz .LBB46_37
; %bb.35:                               ;   in Loop: Header=BB46_9 Depth=3
	s_andn2_saveexec_b64 s[6:7], s[6:7]
	s_cbranch_execnz .LBB46_50
.LBB46_36:                              ;   in Loop: Header=BB46_9 Depth=3
	s_or_b64 exec, exec, s[6:7]
	s_and_b64 exec, exec, s[52:53]
	s_cbranch_execz .LBB46_8
	s_branch .LBB46_59
.LBB46_37:                              ;   in Loop: Header=BB46_9 Depth=3
	v_cmp_ge_i32_e32 vcc, v6, v12
                                        ; implicit-def: $vgpr0_vgpr1
	s_and_saveexec_b64 s[54:55], vcc
	s_xor_b64 s[54:55], exec, s[54:55]
	s_cbranch_execz .LBB46_39
; %bb.38:                               ;   in Loop: Header=BB46_9 Depth=3
	v_lshlrev_b64 v[0:1], 4, v[12:13]
	v_mov_b32_e32 v2, s39
	v_add_co_u32_e32 v0, vcc, s38, v0
	v_addc_co_u32_e32 v1, vcc, v2, v1, vcc
	s_mov_b64 s[52:53], exec
	global_store_dwordx2 v[0:1], v[16:17], off
                                        ; implicit-def: $vgpr15
                                        ; implicit-def: $vgpr37
                                        ; implicit-def: $vgpr16_vgpr17
                                        ; implicit-def: $vgpr14
.LBB46_39:                              ;   in Loop: Header=BB46_9 Depth=3
	s_andn2_saveexec_b64 s[54:55], s[54:55]
	s_cbranch_execz .LBB46_49
; %bb.40:                               ;   in Loop: Header=BB46_9 Depth=3
	v_cmp_lt_i32_e32 vcc, v15, v37
	s_mov_b64 s[58:59], s[52:53]
                                        ; implicit-def: $vgpr0_vgpr1
	s_and_saveexec_b64 s[56:57], vcc
	s_cbranch_execz .LBB46_48
; %bb.41:                               ;   in Loop: Header=BB46_9 Depth=3
	s_mov_b64 s[60:61], 0
                                        ; implicit-def: $sgpr58_sgpr59
                                        ; implicit-def: $sgpr64_sgpr65
                                        ; implicit-def: $sgpr62_sgpr63
	s_branch .LBB46_43
.LBB46_42:                              ;   in Loop: Header=BB46_43 Depth=4
	s_or_b64 exec, exec, s[66:67]
	s_and_b64 s[66:67], exec, s[64:65]
	s_or_b64 s[60:61], s[66:67], s[60:61]
	s_andn2_b64 s[58:59], s[58:59], exec
	s_and_b64 s[66:67], s[62:63], exec
	s_or_b64 s[58:59], s[58:59], s[66:67]
	s_andn2_b64 exec, exec, s[60:61]
	s_cbranch_execz .LBB46_45
.LBB46_43:                              ;   Parent Loop BB46_3 Depth=1
                                        ;     Parent Loop BB46_5 Depth=2
                                        ;       Parent Loop BB46_9 Depth=3
                                        ; =>      This Inner Loop Header: Depth=4
	v_add_u32_e32 v2, v14, v15
	v_ashrrev_i32_e32 v3, 31, v2
	v_lshlrev_b64 v[0:1], 2, v[2:3]
	v_mov_b32_e32 v4, s13
	v_add_co_u32_e32 v0, vcc, s12, v0
	v_addc_co_u32_e32 v1, vcc, v4, v1, vcc
	global_load_dword v0, v[0:1], off
	s_or_b64 s[62:63], s[62:63], exec
	s_or_b64 s[64:65], s[64:65], exec
	s_waitcnt vmcnt(0)
	v_subrev_u32_e32 v0, s70, v0
	v_cmp_ne_u32_e32 vcc, v0, v6
	s_and_saveexec_b64 s[66:67], vcc
	s_cbranch_execz .LBB46_42
; %bb.44:                               ;   in Loop: Header=BB46_43 Depth=4
	v_add_u32_e32 v15, 1, v15
	v_cmp_ge_i32_e32 vcc, v15, v37
	s_andn2_b64 s[64:65], s[64:65], exec
	s_and_b64 s[74:75], vcc, exec
	s_andn2_b64 s[62:63], s[62:63], exec
	s_or_b64 s[64:65], s[64:65], s[74:75]
	s_branch .LBB46_42
.LBB46_45:                              ;   in Loop: Header=BB46_9 Depth=3
	s_or_b64 exec, exec, s[60:61]
	s_mov_b64 s[60:61], s[52:53]
                                        ; implicit-def: $vgpr0_vgpr1
	s_and_saveexec_b64 s[62:63], s[58:59]
	s_xor_b64 s[58:59], exec, s[62:63]
	s_cbranch_execz .LBB46_47
; %bb.46:                               ;   in Loop: Header=BB46_9 Depth=3
	v_lshlrev_b64 v[0:1], 4, v[2:3]
	v_mov_b32_e32 v2, s43
	v_add_co_u32_e32 v0, vcc, s42, v0
	v_addc_co_u32_e32 v1, vcc, v2, v1, vcc
	s_or_b64 s[60:61], s[52:53], exec
	global_store_dwordx2 v[0:1], v[16:17], off
.LBB46_47:                              ;   in Loop: Header=BB46_9 Depth=3
	s_or_b64 exec, exec, s[58:59]
	s_andn2_b64 s[58:59], s[52:53], exec
	s_and_b64 s[60:61], s[60:61], exec
	s_or_b64 s[58:59], s[58:59], s[60:61]
.LBB46_48:                              ;   in Loop: Header=BB46_9 Depth=3
	s_or_b64 exec, exec, s[56:57]
	s_andn2_b64 s[52:53], s[52:53], exec
	s_and_b64 s[56:57], s[58:59], exec
	s_or_b64 s[52:53], s[52:53], s[56:57]
.LBB46_49:                              ;   in Loop: Header=BB46_9 Depth=3
	s_or_b64 exec, exec, s[54:55]
	s_and_b64 s[52:53], s[52:53], exec
                                        ; implicit-def: $vgpr16_vgpr17
                                        ; implicit-def: $vgpr12_vgpr13
	s_andn2_saveexec_b64 s[6:7], s[6:7]
	s_cbranch_execz .LBB46_36
.LBB46_50:                              ;   in Loop: Header=BB46_9 Depth=3
	v_cmp_lt_i32_e32 vcc, v4, v32
	s_mov_b64 s[56:57], s[52:53]
                                        ; implicit-def: $vgpr0_vgpr1
	s_and_saveexec_b64 s[54:55], vcc
	s_cbranch_execz .LBB46_58
; %bb.51:                               ;   in Loop: Header=BB46_9 Depth=3
	s_mov_b64 s[58:59], 0
                                        ; implicit-def: $sgpr56_sgpr57
                                        ; implicit-def: $sgpr62_sgpr63
                                        ; implicit-def: $sgpr60_sgpr61
	s_branch .LBB46_53
.LBB46_52:                              ;   in Loop: Header=BB46_53 Depth=4
	s_or_b64 exec, exec, s[64:65]
	s_and_b64 s[64:65], exec, s[62:63]
	s_or_b64 s[58:59], s[64:65], s[58:59]
	s_andn2_b64 s[56:57], s[56:57], exec
	s_and_b64 s[64:65], s[60:61], exec
	s_or_b64 s[56:57], s[56:57], s[64:65]
	s_andn2_b64 exec, exec, s[58:59]
	s_cbranch_execz .LBB46_55
.LBB46_53:                              ;   Parent Loop BB46_3 Depth=1
                                        ;     Parent Loop BB46_5 Depth=2
                                        ;       Parent Loop BB46_9 Depth=3
                                        ; =>      This Inner Loop Header: Depth=4
	v_add_u32_e32 v2, v9, v4
	v_ashrrev_i32_e32 v3, 31, v2
	v_lshlrev_b64 v[0:1], 2, v[2:3]
	v_mov_b32_e32 v8, s21
	v_add_co_u32_e32 v0, vcc, s20, v0
	v_addc_co_u32_e32 v1, vcc, v8, v1, vcc
	global_load_dword v0, v[0:1], off
	s_or_b64 s[60:61], s[60:61], exec
	s_or_b64 s[62:63], s[62:63], exec
	s_waitcnt vmcnt(0)
	v_subrev_u32_e32 v0, s69, v0
	v_cmp_ne_u32_e32 vcc, v0, v12
	s_and_saveexec_b64 s[64:65], vcc
	s_cbranch_execz .LBB46_52
; %bb.54:                               ;   in Loop: Header=BB46_53 Depth=4
	v_add_u32_e32 v4, 1, v4
	v_cmp_ge_i32_e32 vcc, v4, v32
	s_andn2_b64 s[62:63], s[62:63], exec
	s_and_b64 s[66:67], vcc, exec
	s_andn2_b64 s[60:61], s[60:61], exec
	s_or_b64 s[62:63], s[62:63], s[66:67]
	s_branch .LBB46_52
.LBB46_55:                              ;   in Loop: Header=BB46_9 Depth=3
	s_or_b64 exec, exec, s[58:59]
	s_mov_b64 s[58:59], s[52:53]
                                        ; implicit-def: $vgpr0_vgpr1
	s_and_saveexec_b64 s[60:61], s[56:57]
	s_xor_b64 s[56:57], exec, s[60:61]
	s_cbranch_execz .LBB46_57
; %bb.56:                               ;   in Loop: Header=BB46_9 Depth=3
	v_lshlrev_b64 v[0:1], 4, v[2:3]
	v_mov_b32_e32 v2, s41
	v_add_co_u32_e32 v0, vcc, s40, v0
	v_addc_co_u32_e32 v1, vcc, v2, v1, vcc
	s_or_b64 s[58:59], s[52:53], exec
	global_store_dwordx2 v[0:1], v[16:17], off
.LBB46_57:                              ;   in Loop: Header=BB46_9 Depth=3
	s_or_b64 exec, exec, s[56:57]
	s_andn2_b64 s[56:57], s[52:53], exec
	s_and_b64 s[58:59], s[58:59], exec
	s_or_b64 s[56:57], s[56:57], s[58:59]
.LBB46_58:                              ;   in Loop: Header=BB46_9 Depth=3
	s_or_b64 exec, exec, s[54:55]
	s_andn2_b64 s[52:53], s[52:53], exec
	s_and_b64 s[54:55], s[56:57], exec
	s_or_b64 s[52:53], s[52:53], s[54:55]
	s_or_b64 exec, exec, s[6:7]
	s_and_b64 exec, exec, s[52:53]
	s_cbranch_execz .LBB46_8
.LBB46_59:                              ;   in Loop: Header=BB46_9 Depth=3
	global_store_dwordx2 v[0:1], v[10:11], off offset:8
	s_branch .LBB46_8
.LBB46_60:                              ;   in Loop: Header=BB46_3 Depth=1
	s_and_saveexec_b64 s[4:5], s[0:1]
	s_cbranch_execz .LBB46_2
; %bb.61:                               ;   in Loop: Header=BB46_3 Depth=1
	s_mov_b64 s[6:7], 0
	v_mov_b32_e32 v0, v24
	s_branch .LBB46_63
.LBB46_62:                              ;   in Loop: Header=BB46_63 Depth=2
	s_or_b64 exec, exec, s[46:47]
	v_add_u32_e32 v0, 64, v0
	v_cmp_le_u32_e32 vcc, s71, v0
	s_or_b64 s[6:7], vcc, s[6:7]
	s_andn2_b64 exec, exec, s[6:7]
	s_cbranch_execz .LBB46_2
.LBB46_63:                              ;   Parent Loop BB46_3 Depth=1
                                        ; =>  This Loop Header: Depth=2
                                        ;       Child Loop BB46_66 Depth 3
                                        ;       Child Loop BB46_69 Depth 3
	v_cmp_gt_i32_e32 vcc, s35, v0
	s_and_saveexec_b64 s[46:47], vcc
	s_cbranch_execz .LBB46_62
; %bb.64:                               ;   in Loop: Header=BB46_63 Depth=2
	v_ashrrev_i32_e32 v1, 31, v0
	v_lshlrev_b64 v[2:3], 2, v[0:1]
	v_mov_b32_e32 v4, s17
	v_add_co_u32_e32 v6, vcc, s16, v2
	v_addc_co_u32_e32 v7, vcc, v4, v3, vcc
	global_load_dword v4, v[6:7], off
	v_mov_b32_e32 v7, s19
	v_add_co_u32_e32 v6, vcc, s18, v2
	v_addc_co_u32_e32 v7, vcc, v7, v3, vcc
	global_load_dword v7, v[6:7], off
	s_waitcnt vmcnt(1)
	v_add_u32_e32 v6, v26, v4
	s_waitcnt vmcnt(0)
	v_subrev_u32_e32 v4, s69, v7
	v_cmp_lt_i32_e32 vcc, v6, v4
	s_and_saveexec_b64 s[48:49], vcc
	s_cbranch_execz .LBB46_67
; %bb.65:                               ;   in Loop: Header=BB46_63 Depth=2
	v_ashrrev_i32_e32 v7, 31, v6
	v_lshlrev_b64 v[9:10], 4, v[6:7]
	v_mov_b32_e32 v8, s23
	v_add_co_u32_e32 v7, vcc, s22, v9
	v_addc_co_u32_e32 v8, vcc, v8, v10, vcc
	v_mov_b32_e32 v11, s41
	v_add_co_u32_e32 v9, vcc, s40, v9
	v_addc_co_u32_e32 v10, vcc, v11, v10, vcc
	s_mov_b64 s[50:51], 0
.LBB46_66:                              ;   Parent Loop BB46_3 Depth=1
                                        ;     Parent Loop BB46_63 Depth=2
                                        ; =>    This Inner Loop Header: Depth=3
	global_load_dwordx4 v[11:14], v[9:10], off
	v_add_u32_e32 v6, 16, v6
	v_cmp_ge_i32_e32 vcc, v6, v4
	s_or_b64 s[50:51], vcc, s[50:51]
	s_waitcnt vmcnt(0)
	global_store_dwordx4 v[7:8], v[11:14], off
	v_add_co_u32_e32 v7, vcc, 0x100, v7
	v_addc_co_u32_e32 v8, vcc, 0, v8, vcc
	v_add_co_u32_e32 v9, vcc, 0x100, v9
	v_addc_co_u32_e32 v10, vcc, 0, v10, vcc
	s_andn2_b64 exec, exec, s[50:51]
	s_cbranch_execnz .LBB46_66
.LBB46_67:                              ;   in Loop: Header=BB46_63 Depth=2
	s_or_b64 exec, exec, s[48:49]
	v_mov_b32_e32 v4, s9
	v_add_co_u32_e32 v6, vcc, s8, v2
	v_addc_co_u32_e32 v7, vcc, v4, v3, vcc
	global_load_dword v4, v[6:7], off
	v_mov_b32_e32 v6, s11
	v_add_co_u32_e32 v2, vcc, s10, v2
	v_addc_co_u32_e32 v3, vcc, v6, v3, vcc
	global_load_dword v3, v[2:3], off
	s_waitcnt vmcnt(1)
	v_add_u32_e32 v2, v27, v4
	s_waitcnt vmcnt(0)
	v_subrev_u32_e32 v8, s70, v3
	v_cmp_lt_i32_e32 vcc, v2, v8
	s_and_saveexec_b64 s[48:49], vcc
	s_cbranch_execz .LBB46_70
; %bb.68:                               ;   in Loop: Header=BB46_63 Depth=2
	v_ashrrev_i32_e32 v3, 31, v2
	v_lshlrev_b64 v[6:7], 4, v[2:3]
	v_mov_b32_e32 v4, s15
	v_add_co_u32_e32 v3, vcc, s14, v6
	v_addc_co_u32_e32 v4, vcc, v4, v7, vcc
	v_mov_b32_e32 v9, s43
	v_add_co_u32_e32 v6, vcc, s42, v6
	v_addc_co_u32_e32 v7, vcc, v9, v7, vcc
	s_mov_b64 s[50:51], 0
.LBB46_69:                              ;   Parent Loop BB46_3 Depth=1
                                        ;     Parent Loop BB46_63 Depth=2
                                        ; =>    This Inner Loop Header: Depth=3
	global_load_dwordx4 v[9:12], v[6:7], off
	v_add_u32_e32 v2, 16, v2
	v_cmp_ge_i32_e32 vcc, v2, v8
	s_or_b64 s[50:51], vcc, s[50:51]
	s_waitcnt vmcnt(0)
	global_store_dwordx4 v[3:4], v[9:12], off
	v_add_co_u32_e32 v3, vcc, 0x100, v3
	v_addc_co_u32_e32 v4, vcc, 0, v4, vcc
	v_add_co_u32_e32 v6, vcc, 0x100, v6
	v_addc_co_u32_e32 v7, vcc, 0, v7, vcc
	s_andn2_b64 exec, exec, s[50:51]
	s_cbranch_execnz .LBB46_69
.LBB46_70:                              ;   in Loop: Header=BB46_63 Depth=2
	s_or_b64 exec, exec, s[48:49]
	s_and_b64 exec, exec, s[2:3]
	s_cbranch_execz .LBB46_62
; %bb.71:                               ;   in Loop: Header=BB46_63 Depth=2
	v_lshlrev_b64 v[6:7], 4, v[0:1]
	v_mov_b32_e32 v2, s39
	v_add_co_u32_e32 v1, vcc, s38, v6
	v_addc_co_u32_e32 v2, vcc, v2, v7, vcc
	global_load_dwordx4 v[1:4], v[1:2], off
	v_mov_b32_e32 v8, s37
	v_add_co_u32_e32 v6, vcc, s36, v6
	v_addc_co_u32_e32 v7, vcc, v8, v7, vcc
	s_waitcnt vmcnt(0)
	global_store_dwordx4 v[6:7], v[1:4], off
	s_branch .LBB46_62
.LBB46_72:
	s_endpgm
	.section	.rodata,"a",@progbits
	.p2align	6, 0x0
	.amdhsa_kernel _ZN9rocsparseL14kernel_freerunILi1024ELi16E21rocsparse_complex_numIdEiiEEvT3_S3_T2_PKS4_S6_PKS3_PKT1_21rocsparse_index_base_S6_S6_S8_PS9_SD_SC_S6_S6_S8_SD_SD_SC_SD_SD_
		.amdhsa_group_segment_fixed_size 0
		.amdhsa_private_segment_fixed_size 0
		.amdhsa_kernarg_size 168
		.amdhsa_user_sgpr_count 6
		.amdhsa_user_sgpr_private_segment_buffer 1
		.amdhsa_user_sgpr_dispatch_ptr 0
		.amdhsa_user_sgpr_queue_ptr 0
		.amdhsa_user_sgpr_kernarg_segment_ptr 1
		.amdhsa_user_sgpr_dispatch_id 0
		.amdhsa_user_sgpr_flat_scratch_init 0
		.amdhsa_user_sgpr_private_segment_size 0
		.amdhsa_uses_dynamic_stack 0
		.amdhsa_system_sgpr_private_segment_wavefront_offset 0
		.amdhsa_system_sgpr_workgroup_id_x 1
		.amdhsa_system_sgpr_workgroup_id_y 0
		.amdhsa_system_sgpr_workgroup_id_z 0
		.amdhsa_system_sgpr_workgroup_info 0
		.amdhsa_system_vgpr_workitem_id 0
		.amdhsa_next_free_vgpr 46
		.amdhsa_next_free_sgpr 76
		.amdhsa_reserve_vcc 1
		.amdhsa_reserve_flat_scratch 0
		.amdhsa_float_round_mode_32 0
		.amdhsa_float_round_mode_16_64 0
		.amdhsa_float_denorm_mode_32 3
		.amdhsa_float_denorm_mode_16_64 3
		.amdhsa_dx10_clamp 1
		.amdhsa_ieee_mode 1
		.amdhsa_fp16_overflow 0
		.amdhsa_exception_fp_ieee_invalid_op 0
		.amdhsa_exception_fp_denorm_src 0
		.amdhsa_exception_fp_ieee_div_zero 0
		.amdhsa_exception_fp_ieee_overflow 0
		.amdhsa_exception_fp_ieee_underflow 0
		.amdhsa_exception_fp_ieee_inexact 0
		.amdhsa_exception_int_div_zero 0
	.end_amdhsa_kernel
	.section	.text._ZN9rocsparseL14kernel_freerunILi1024ELi16E21rocsparse_complex_numIdEiiEEvT3_S3_T2_PKS4_S6_PKS3_PKT1_21rocsparse_index_base_S6_S6_S8_PS9_SD_SC_S6_S6_S8_SD_SD_SC_SD_SD_,"axG",@progbits,_ZN9rocsparseL14kernel_freerunILi1024ELi16E21rocsparse_complex_numIdEiiEEvT3_S3_T2_PKS4_S6_PKS3_PKT1_21rocsparse_index_base_S6_S6_S8_PS9_SD_SC_S6_S6_S8_SD_SD_SC_SD_SD_,comdat
.Lfunc_end46:
	.size	_ZN9rocsparseL14kernel_freerunILi1024ELi16E21rocsparse_complex_numIdEiiEEvT3_S3_T2_PKS4_S6_PKS3_PKT1_21rocsparse_index_base_S6_S6_S8_PS9_SD_SC_S6_S6_S8_SD_SD_SC_SD_SD_, .Lfunc_end46-_ZN9rocsparseL14kernel_freerunILi1024ELi16E21rocsparse_complex_numIdEiiEEvT3_S3_T2_PKS4_S6_PKS3_PKT1_21rocsparse_index_base_S6_S6_S8_PS9_SD_SC_S6_S6_S8_SD_SD_SC_SD_SD_
                                        ; -- End function
	.set _ZN9rocsparseL14kernel_freerunILi1024ELi16E21rocsparse_complex_numIdEiiEEvT3_S3_T2_PKS4_S6_PKS3_PKT1_21rocsparse_index_base_S6_S6_S8_PS9_SD_SC_S6_S6_S8_SD_SD_SC_SD_SD_.num_vgpr, 46
	.set _ZN9rocsparseL14kernel_freerunILi1024ELi16E21rocsparse_complex_numIdEiiEEvT3_S3_T2_PKS4_S6_PKS3_PKT1_21rocsparse_index_base_S6_S6_S8_PS9_SD_SC_S6_S6_S8_SD_SD_SC_SD_SD_.num_agpr, 0
	.set _ZN9rocsparseL14kernel_freerunILi1024ELi16E21rocsparse_complex_numIdEiiEEvT3_S3_T2_PKS4_S6_PKS3_PKT1_21rocsparse_index_base_S6_S6_S8_PS9_SD_SC_S6_S6_S8_SD_SD_SC_SD_SD_.numbered_sgpr, 76
	.set _ZN9rocsparseL14kernel_freerunILi1024ELi16E21rocsparse_complex_numIdEiiEEvT3_S3_T2_PKS4_S6_PKS3_PKT1_21rocsparse_index_base_S6_S6_S8_PS9_SD_SC_S6_S6_S8_SD_SD_SC_SD_SD_.num_named_barrier, 0
	.set _ZN9rocsparseL14kernel_freerunILi1024ELi16E21rocsparse_complex_numIdEiiEEvT3_S3_T2_PKS4_S6_PKS3_PKT1_21rocsparse_index_base_S6_S6_S8_PS9_SD_SC_S6_S6_S8_SD_SD_SC_SD_SD_.private_seg_size, 0
	.set _ZN9rocsparseL14kernel_freerunILi1024ELi16E21rocsparse_complex_numIdEiiEEvT3_S3_T2_PKS4_S6_PKS3_PKT1_21rocsparse_index_base_S6_S6_S8_PS9_SD_SC_S6_S6_S8_SD_SD_SC_SD_SD_.uses_vcc, 1
	.set _ZN9rocsparseL14kernel_freerunILi1024ELi16E21rocsparse_complex_numIdEiiEEvT3_S3_T2_PKS4_S6_PKS3_PKT1_21rocsparse_index_base_S6_S6_S8_PS9_SD_SC_S6_S6_S8_SD_SD_SC_SD_SD_.uses_flat_scratch, 0
	.set _ZN9rocsparseL14kernel_freerunILi1024ELi16E21rocsparse_complex_numIdEiiEEvT3_S3_T2_PKS4_S6_PKS3_PKT1_21rocsparse_index_base_S6_S6_S8_PS9_SD_SC_S6_S6_S8_SD_SD_SC_SD_SD_.has_dyn_sized_stack, 0
	.set _ZN9rocsparseL14kernel_freerunILi1024ELi16E21rocsparse_complex_numIdEiiEEvT3_S3_T2_PKS4_S6_PKS3_PKT1_21rocsparse_index_base_S6_S6_S8_PS9_SD_SC_S6_S6_S8_SD_SD_SC_SD_SD_.has_recursion, 0
	.set _ZN9rocsparseL14kernel_freerunILi1024ELi16E21rocsparse_complex_numIdEiiEEvT3_S3_T2_PKS4_S6_PKS3_PKT1_21rocsparse_index_base_S6_S6_S8_PS9_SD_SC_S6_S6_S8_SD_SD_SC_SD_SD_.has_indirect_call, 0
	.section	.AMDGPU.csdata,"",@progbits
; Kernel info:
; codeLenInByte = 3440
; TotalNumSgprs: 80
; NumVgprs: 46
; ScratchSize: 0
; MemoryBound: 1
; FloatMode: 240
; IeeeMode: 1
; LDSByteSize: 0 bytes/workgroup (compile time only)
; SGPRBlocks: 9
; VGPRBlocks: 11
; NumSGPRsForWavesPerEU: 80
; NumVGPRsForWavesPerEU: 46
; Occupancy: 5
; WaveLimiterHint : 1
; COMPUTE_PGM_RSRC2:SCRATCH_EN: 0
; COMPUTE_PGM_RSRC2:USER_SGPR: 6
; COMPUTE_PGM_RSRC2:TRAP_HANDLER: 0
; COMPUTE_PGM_RSRC2:TGID_X_EN: 1
; COMPUTE_PGM_RSRC2:TGID_Y_EN: 0
; COMPUTE_PGM_RSRC2:TGID_Z_EN: 0
; COMPUTE_PGM_RSRC2:TIDIG_COMP_CNT: 0
	.section	.text._ZN9rocsparseL14kernel_freerunILi1024ELi32E21rocsparse_complex_numIdEiiEEvT3_S3_T2_PKS4_S6_PKS3_PKT1_21rocsparse_index_base_S6_S6_S8_PS9_SD_SC_S6_S6_S8_SD_SD_SC_SD_SD_,"axG",@progbits,_ZN9rocsparseL14kernel_freerunILi1024ELi32E21rocsparse_complex_numIdEiiEEvT3_S3_T2_PKS4_S6_PKS3_PKT1_21rocsparse_index_base_S6_S6_S8_PS9_SD_SC_S6_S6_S8_SD_SD_SC_SD_SD_,comdat
	.globl	_ZN9rocsparseL14kernel_freerunILi1024ELi32E21rocsparse_complex_numIdEiiEEvT3_S3_T2_PKS4_S6_PKS3_PKT1_21rocsparse_index_base_S6_S6_S8_PS9_SD_SC_S6_S6_S8_SD_SD_SC_SD_SD_ ; -- Begin function _ZN9rocsparseL14kernel_freerunILi1024ELi32E21rocsparse_complex_numIdEiiEEvT3_S3_T2_PKS4_S6_PKS3_PKT1_21rocsparse_index_base_S6_S6_S8_PS9_SD_SC_S6_S6_S8_SD_SD_SC_SD_SD_
	.p2align	8
	.type	_ZN9rocsparseL14kernel_freerunILi1024ELi32E21rocsparse_complex_numIdEiiEEvT3_S3_T2_PKS4_S6_PKS3_PKT1_21rocsparse_index_base_S6_S6_S8_PS9_SD_SC_S6_S6_S8_SD_SD_SC_SD_SD_,@function
_ZN9rocsparseL14kernel_freerunILi1024ELi32E21rocsparse_complex_numIdEiiEEvT3_S3_T2_PKS4_S6_PKS3_PKT1_21rocsparse_index_base_S6_S6_S8_PS9_SD_SC_S6_S6_S8_SD_SD_SC_SD_SD_: ; @_ZN9rocsparseL14kernel_freerunILi1024ELi32E21rocsparse_complex_numIdEiiEEvT3_S3_T2_PKS4_S6_PKS3_PKT1_21rocsparse_index_base_S6_S6_S8_PS9_SD_SC_S6_S6_S8_SD_SD_SC_SD_SD_
; %bb.0:
	s_load_dwordx2 s[34:35], s[4:5], 0x0
	v_lshrrev_b32_e32 v1, 5, v0
	s_lshl_b32 s71, s6, 10
	v_or_b32_e32 v24, s71, v1
	s_mov_b32 s33, 0
	s_waitcnt lgkmcnt(0)
	s_cmp_gt_i32 s34, 0
	v_cmp_gt_i32_e32 vcc, s35, v24
	s_cselect_b64 s[0:1], -1, 0
	s_and_b64 s[0:1], vcc, s[0:1]
	s_and_saveexec_b64 s[2:3], s[0:1]
	s_cbranch_execz .LBB47_72
; %bb.1:
	s_load_dwordx4 s[36:39], s[4:5], 0x98
	s_load_dwordx8 s[8:15], s[4:5], 0x68
	s_load_dwordx8 s[16:23], s[4:5], 0x38
	;; [unrolled: 1-line block ×3, first 2 shown]
	s_load_dword s68, s[4:5], 0x30
	s_load_dwordx2 s[40:41], s[4:5], 0x58
	s_load_dword s69, s[4:5], 0x60
	s_load_dwordx2 s[42:43], s[4:5], 0x88
	s_load_dword s70, s[4:5], 0x90
	v_and_b32_e32 v0, 31, v0
	s_addk_i32 s71, 0x400
	s_mov_b32 s44, 0
	s_waitcnt lgkmcnt(0)
	v_subrev_u32_e32 v25, s68, v0
	v_cmp_gt_u32_e64 s[0:1], s71, v24
	v_subrev_u32_e32 v26, s69, v0
	v_subrev_u32_e32 v27, s70, v0
	v_cmp_eq_u32_e64 s[2:3], 0, v0
	v_mov_b32_e32 v5, 0
	s_brev_b32 s45, 8
	v_mov_b32_e32 v28, 0x260
	s_movk_i32 s72, 0x1f8
	v_mov_b32_e32 v29, 0x100
	v_mov_b32_e32 v30, 0xffffff80
	s_branch .LBB47_3
.LBB47_2:                               ;   in Loop: Header=BB47_3 Depth=1
	s_or_b64 exec, exec, s[4:5]
	s_add_i32 s33, s33, 1
	s_cmp_eq_u32 s33, s34
	s_cbranch_scc1 .LBB47_72
.LBB47_3:                               ; =>This Loop Header: Depth=1
                                        ;     Child Loop BB47_5 Depth 2
                                        ;       Child Loop BB47_9 Depth 3
                                        ;         Child Loop BB47_13 Depth 4
                                        ;         Child Loop BB47_43 Depth 4
	;; [unrolled: 1-line block ×3, first 2 shown]
                                        ;     Child Loop BB47_63 Depth 2
                                        ;       Child Loop BB47_66 Depth 3
                                        ;       Child Loop BB47_69 Depth 3
	s_mov_b32 s73, 0
	s_branch .LBB47_5
.LBB47_4:                               ;   in Loop: Header=BB47_5 Depth=2
	s_or_b64 exec, exec, s[46:47]
	s_add_i32 s73, s73, 1
	s_cmp_eq_u32 s73, 32
	s_cbranch_scc1 .LBB47_60
.LBB47_5:                               ;   Parent Loop BB47_3 Depth=1
                                        ; =>  This Loop Header: Depth=2
                                        ;       Child Loop BB47_9 Depth 3
                                        ;         Child Loop BB47_13 Depth 4
                                        ;         Child Loop BB47_43 Depth 4
	;; [unrolled: 1-line block ×3, first 2 shown]
	v_lshl_add_u32 v6, s73, 5, v24
	v_cmp_gt_i32_e32 vcc, s35, v6
	s_and_saveexec_b64 s[46:47], vcc
	s_cbranch_execz .LBB47_4
; %bb.6:                                ;   in Loop: Header=BB47_5 Depth=2
	v_ashrrev_i32_e32 v7, 31, v6
	v_lshlrev_b64 v[0:1], 2, v[6:7]
	v_mov_b32_e32 v3, s25
	v_add_co_u32_e32 v2, vcc, s24, v0
	v_addc_co_u32_e32 v3, vcc, v3, v1, vcc
	global_load_dword v4, v[2:3], off
	v_mov_b32_e32 v3, s27
	v_add_co_u32_e32 v2, vcc, s26, v0
	v_addc_co_u32_e32 v3, vcc, v3, v1, vcc
	global_load_dword v2, v[2:3], off
	s_waitcnt vmcnt(1)
	v_add_u32_e32 v7, v25, v4
	s_waitcnt vmcnt(0)
	v_subrev_u32_e32 v31, s68, v2
	v_cmp_lt_i32_e32 vcc, v7, v31
	s_and_b64 exec, exec, vcc
	s_cbranch_execz .LBB47_4
; %bb.7:                                ;   in Loop: Header=BB47_5 Depth=2
	v_mov_b32_e32 v3, s19
	v_add_co_u32_e32 v2, vcc, s18, v0
	v_addc_co_u32_e32 v3, vcc, v3, v1, vcc
	v_mov_b32_e32 v4, s17
	v_add_co_u32_e32 v0, vcc, s16, v0
	v_addc_co_u32_e32 v1, vcc, v4, v1, vcc
	global_load_dword v0, v[0:1], off
	s_nop 0
	global_load_dword v1, v[2:3], off
	v_mov_b32_e32 v4, s21
	v_mov_b32_e32 v8, s23
	s_mov_b64 s[48:49], 0
	s_waitcnt vmcnt(1)
	v_subrev_u32_e32 v9, s69, v0
	v_ashrrev_i32_e32 v10, 31, v9
	s_waitcnt vmcnt(0)
	v_sub_u32_e32 v32, v1, v0
	v_lshlrev_b64 v[0:1], 2, v[9:10]
	v_lshlrev_b64 v[2:3], 4, v[9:10]
	v_add_co_u32_e32 v33, vcc, s20, v0
	v_addc_co_u32_e32 v34, vcc, v4, v1, vcc
	v_add_co_u32_e32 v35, vcc, s22, v2
	v_cmp_lt_i32_e64 s[4:5], 0, v32
	v_addc_co_u32_e32 v36, vcc, v8, v3, vcc
	s_branch .LBB47_9
.LBB47_8:                               ;   in Loop: Header=BB47_9 Depth=3
	s_or_b64 exec, exec, s[50:51]
	v_add_u32_e32 v7, 32, v7
	v_cmp_ge_i32_e32 vcc, v7, v31
	s_or_b64 s[48:49], vcc, s[48:49]
	s_andn2_b64 exec, exec, s[48:49]
	s_cbranch_execz .LBB47_4
.LBB47_9:                               ;   Parent Loop BB47_3 Depth=1
                                        ;     Parent Loop BB47_5 Depth=2
                                        ; =>    This Loop Header: Depth=3
                                        ;         Child Loop BB47_13 Depth 4
                                        ;         Child Loop BB47_43 Depth 4
	;; [unrolled: 1-line block ×3, first 2 shown]
	v_ashrrev_i32_e32 v8, 31, v7
	v_lshlrev_b64 v[0:1], 2, v[7:8]
	v_mov_b32_e32 v2, s29
	v_add_co_u32_e32 v0, vcc, s28, v0
	v_addc_co_u32_e32 v1, vcc, v2, v1, vcc
	global_load_dword v0, v[0:1], off
	v_mov_b32_e32 v3, s9
	v_mov_b32_e32 v4, s11
	s_waitcnt vmcnt(0)
	v_subrev_u32_e32 v12, s68, v0
	v_ashrrev_i32_e32 v13, 31, v12
	v_lshlrev_b64 v[0:1], 2, v[12:13]
	v_add_co_u32_e32 v2, vcc, s8, v0
	v_addc_co_u32_e32 v3, vcc, v3, v1, vcc
	v_add_co_u32_e32 v0, vcc, s10, v0
	v_addc_co_u32_e32 v1, vcc, v4, v1, vcc
	global_load_dword v10, v[2:3], off
	global_load_dword v11, v[0:1], off
	v_mov_b32_e32 v4, 0
	v_mov_b32_e32 v0, 0
	;; [unrolled: 1-line block ×6, first 2 shown]
	s_waitcnt vmcnt(1)
	v_subrev_u32_e32 v14, s70, v10
	s_waitcnt vmcnt(0)
	v_sub_u32_e32 v37, v11, v10
	s_and_saveexec_b64 s[6:7], s[4:5]
	s_cbranch_execz .LBB47_17
; %bb.10:                               ;   in Loop: Header=BB47_9 Depth=3
	v_ashrrev_i32_e32 v15, 31, v14
	v_lshlrev_b64 v[0:1], 2, v[14:15]
	v_mov_b32_e32 v2, s13
	v_add_co_u32_e32 v10, vcc, s12, v0
	v_addc_co_u32_e32 v11, vcc, v2, v1, vcc
	v_lshlrev_b64 v[0:1], 4, v[14:15]
	v_mov_b32_e32 v2, s15
	v_add_co_u32_e32 v17, vcc, s14, v0
	v_addc_co_u32_e32 v18, vcc, v2, v1, vcc
	v_mov_b32_e32 v0, 0
	v_mov_b32_e32 v15, 0
	;; [unrolled: 1-line block ×4, first 2 shown]
	s_mov_b64 s[50:51], 0
	v_mov_b32_e32 v3, 0
	v_mov_b32_e32 v4, v15
                                        ; implicit-def: $sgpr52_sgpr53
	s_branch .LBB47_13
.LBB47_11:                              ;   in Loop: Header=BB47_13 Depth=4
	s_or_b64 exec, exec, s[56:57]
	v_cmp_le_i32_e32 vcc, v19, v20
	v_addc_co_u32_e32 v4, vcc, 0, v4, vcc
	v_cmp_ge_i32_e32 vcc, v19, v20
	v_addc_co_u32_e32 v15, vcc, 0, v15, vcc
	v_cmp_ge_i32_e32 vcc, v4, v32
	s_andn2_b64 s[52:53], s[52:53], exec
	s_and_b64 s[56:57], vcc, exec
	s_or_b64 s[52:53], s[52:53], s[56:57]
.LBB47_12:                              ;   in Loop: Header=BB47_13 Depth=4
	s_or_b64 exec, exec, s[54:55]
	s_and_b64 s[54:55], exec, s[52:53]
	s_or_b64 s[50:51], s[54:55], s[50:51]
	s_andn2_b64 exec, exec, s[50:51]
	s_cbranch_execz .LBB47_16
.LBB47_13:                              ;   Parent Loop BB47_3 Depth=1
                                        ;     Parent Loop BB47_5 Depth=2
                                        ;       Parent Loop BB47_9 Depth=3
                                        ; =>      This Inner Loop Header: Depth=4
	v_cmp_lt_i32_e32 vcc, v15, v37
	s_or_b64 s[52:53], s[52:53], exec
	s_and_saveexec_b64 s[54:55], vcc
	s_cbranch_execz .LBB47_12
; %bb.14:                               ;   in Loop: Header=BB47_13 Depth=4
	v_lshlrev_b64 v[19:20], 2, v[4:5]
	v_mov_b32_e32 v16, v5
	v_add_co_u32_e32 v19, vcc, v33, v19
	v_addc_co_u32_e32 v20, vcc, v34, v20, vcc
	global_load_dword v21, v[19:20], off
	v_lshlrev_b64 v[19:20], 2, v[15:16]
	v_add_co_u32_e32 v19, vcc, v10, v19
	v_addc_co_u32_e32 v20, vcc, v11, v20, vcc
	global_load_dword v20, v[19:20], off
	s_waitcnt vmcnt(1)
	v_subrev_u32_e32 v19, s69, v21
	s_waitcnt vmcnt(0)
	v_subrev_u32_e32 v20, s70, v20
	v_cmp_eq_u32_e32 vcc, v19, v20
	s_and_saveexec_b64 s[56:57], vcc
	s_cbranch_execz .LBB47_11
; %bb.15:                               ;   in Loop: Header=BB47_13 Depth=4
	v_lshlrev_b64 v[21:22], 4, v[4:5]
	v_add_co_u32_e32 v21, vcc, v35, v21
	v_addc_co_u32_e32 v22, vcc, v36, v22, vcc
	global_load_dwordx4 v[38:41], v[21:22], off
	v_lshlrev_b64 v[21:22], 4, v[15:16]
	v_add_co_u32_e32 v21, vcc, v17, v21
	v_addc_co_u32_e32 v22, vcc, v18, v22, vcc
	global_load_dwordx4 v[42:45], v[21:22], off
	s_waitcnt vmcnt(0)
	v_fma_f64 v[0:1], v[38:39], v[42:43], v[0:1]
	v_fma_f64 v[2:3], v[40:41], v[42:43], v[2:3]
	v_fma_f64 v[0:1], -v[40:41], v[44:45], v[0:1]
	v_fma_f64 v[2:3], v[38:39], v[44:45], v[2:3]
	s_branch .LBB47_11
.LBB47_16:                              ;   in Loop: Header=BB47_9 Depth=3
	s_or_b64 exec, exec, s[50:51]
.LBB47_17:                              ;   in Loop: Header=BB47_9 Depth=3
	s_or_b64 exec, exec, s[6:7]
	v_lshlrev_b64 v[10:11], 4, v[7:8]
	v_mov_b32_e32 v8, s31
	v_add_co_u32_e32 v10, vcc, s30, v10
	v_addc_co_u32_e32 v11, vcc, v8, v11, vcc
	global_load_dwordx4 v[16:19], v[10:11], off
	v_cmp_le_i32_e64 s[6:7], v6, v12
	v_cmp_gt_i32_e32 vcc, v6, v12
	s_waitcnt vmcnt(0)
	v_add_f64 v[16:17], v[16:17], -v[0:1]
	v_add_f64 v[10:11], v[18:19], -v[2:3]
	s_and_saveexec_b64 s[50:51], vcc
	s_cbranch_execz .LBB47_27
; %bb.18:                               ;   in Loop: Header=BB47_9 Depth=3
	v_lshlrev_b64 v[0:1], 4, v[12:13]
	v_mov_b32_e32 v2, s37
	v_add_co_u32_e32 v0, vcc, s36, v0
	v_addc_co_u32_e32 v1, vcc, v2, v1, vcc
	global_load_dwordx4 v[0:3], v[0:1], off
                                        ; implicit-def: $vgpr22_vgpr23
	s_waitcnt vmcnt(0)
	v_cmp_gt_f64_e32 vcc, 0, v[0:1]
	v_xor_b32_e32 v8, 0x80000000, v1
	v_xor_b32_e32 v20, 0x80000000, v3
	v_mov_b32_e32 v18, v0
	v_cndmask_b32_e32 v19, v1, v8, vcc
	v_cmp_gt_f64_e32 vcc, 0, v[2:3]
	v_cndmask_b32_e32 v21, v3, v20, vcc
	v_mov_b32_e32 v20, v2
	v_cmp_ngt_f64_e32 vcc, v[18:19], v[20:21]
	s_and_saveexec_b64 s[52:53], vcc
	s_xor_b64 s[52:53], exec, s[52:53]
	s_cbranch_execz .LBB47_22
; %bb.19:                               ;   in Loop: Header=BB47_9 Depth=3
	v_cmp_neq_f64_e32 vcc, 0, v[2:3]
	v_mov_b32_e32 v22, 0
	v_mov_b32_e32 v23, 0
	s_and_saveexec_b64 s[54:55], vcc
	s_cbranch_execz .LBB47_21
; %bb.20:                               ;   in Loop: Header=BB47_9 Depth=3
	v_div_scale_f64 v[22:23], s[56:57], v[20:21], v[20:21], v[18:19]
	v_rcp_f64_e32 v[38:39], v[22:23]
	v_fma_f64 v[40:41], -v[22:23], v[38:39], 1.0
	v_fma_f64 v[38:39], v[38:39], v[40:41], v[38:39]
	v_div_scale_f64 v[40:41], vcc, v[18:19], v[20:21], v[18:19]
	v_fma_f64 v[42:43], -v[22:23], v[38:39], 1.0
	v_fma_f64 v[38:39], v[38:39], v[42:43], v[38:39]
	v_mul_f64 v[42:43], v[40:41], v[38:39]
	v_fma_f64 v[22:23], -v[22:23], v[42:43], v[40:41]
	v_div_fmas_f64 v[22:23], v[22:23], v[38:39], v[42:43]
	v_div_fixup_f64 v[18:19], v[22:23], v[20:21], v[18:19]
	v_fma_f64 v[18:19], v[18:19], v[18:19], 1.0
	v_cmp_gt_f64_e32 vcc, s[44:45], v[18:19]
	v_cndmask_b32_e32 v8, 0, v29, vcc
	v_ldexp_f64 v[18:19], v[18:19], v8
	v_cndmask_b32_e32 v8, 0, v30, vcc
	v_rsq_f64_e32 v[22:23], v[18:19]
	v_cmp_class_f64_e32 vcc, v[18:19], v28
	v_mul_f64 v[38:39], v[18:19], v[22:23]
	v_mul_f64 v[22:23], v[22:23], 0.5
	v_fma_f64 v[40:41], -v[22:23], v[38:39], 0.5
	v_fma_f64 v[38:39], v[38:39], v[40:41], v[38:39]
	v_fma_f64 v[22:23], v[22:23], v[40:41], v[22:23]
	v_fma_f64 v[40:41], -v[38:39], v[38:39], v[18:19]
	v_fma_f64 v[38:39], v[40:41], v[22:23], v[38:39]
	v_fma_f64 v[40:41], -v[38:39], v[38:39], v[18:19]
	v_fma_f64 v[22:23], v[40:41], v[22:23], v[38:39]
	v_ldexp_f64 v[22:23], v[22:23], v8
	v_cndmask_b32_e32 v19, v23, v19, vcc
	v_cndmask_b32_e32 v18, v22, v18, vcc
	v_mul_f64 v[22:23], v[20:21], v[18:19]
.LBB47_21:                              ;   in Loop: Header=BB47_9 Depth=3
	s_or_b64 exec, exec, s[54:55]
                                        ; implicit-def: $vgpr18_vgpr19
                                        ; implicit-def: $vgpr20_vgpr21
.LBB47_22:                              ;   in Loop: Header=BB47_9 Depth=3
	s_andn2_saveexec_b64 s[52:53], s[52:53]
	s_cbranch_execz .LBB47_24
; %bb.23:                               ;   in Loop: Header=BB47_9 Depth=3
	v_div_scale_f64 v[22:23], s[54:55], v[18:19], v[18:19], v[20:21]
	v_rcp_f64_e32 v[38:39], v[22:23]
	v_fma_f64 v[40:41], -v[22:23], v[38:39], 1.0
	v_fma_f64 v[38:39], v[38:39], v[40:41], v[38:39]
	v_div_scale_f64 v[40:41], vcc, v[20:21], v[18:19], v[20:21]
	v_fma_f64 v[42:43], -v[22:23], v[38:39], 1.0
	v_fma_f64 v[38:39], v[38:39], v[42:43], v[38:39]
	v_mul_f64 v[42:43], v[40:41], v[38:39]
	v_fma_f64 v[22:23], -v[22:23], v[42:43], v[40:41]
	v_div_fmas_f64 v[22:23], v[22:23], v[38:39], v[42:43]
	v_div_fixup_f64 v[20:21], v[22:23], v[18:19], v[20:21]
	v_fma_f64 v[20:21], v[20:21], v[20:21], 1.0
	v_cmp_gt_f64_e32 vcc, s[44:45], v[20:21]
	v_cndmask_b32_e32 v8, 0, v29, vcc
	v_ldexp_f64 v[20:21], v[20:21], v8
	v_cndmask_b32_e32 v8, 0, v30, vcc
	v_rsq_f64_e32 v[22:23], v[20:21]
	v_cmp_class_f64_e32 vcc, v[20:21], v28
	v_mul_f64 v[38:39], v[20:21], v[22:23]
	v_mul_f64 v[22:23], v[22:23], 0.5
	v_fma_f64 v[40:41], -v[22:23], v[38:39], 0.5
	v_fma_f64 v[38:39], v[38:39], v[40:41], v[38:39]
	v_fma_f64 v[22:23], v[22:23], v[40:41], v[22:23]
	v_fma_f64 v[40:41], -v[38:39], v[38:39], v[20:21]
	v_fma_f64 v[38:39], v[40:41], v[22:23], v[38:39]
	v_fma_f64 v[40:41], -v[38:39], v[38:39], v[20:21]
	v_fma_f64 v[22:23], v[40:41], v[22:23], v[38:39]
	v_ldexp_f64 v[22:23], v[22:23], v8
	v_cndmask_b32_e32 v21, v23, v21, vcc
	v_cndmask_b32_e32 v20, v22, v20, vcc
	v_mul_f64 v[22:23], v[18:19], v[20:21]
.LBB47_24:                              ;   in Loop: Header=BB47_9 Depth=3
	s_or_b64 exec, exec, s[52:53]
	v_cmp_lt_f64_e32 vcc, 0, v[22:23]
	v_mov_b32_e32 v18, 0
	v_mov_b32_e32 v20, 0
	;; [unrolled: 1-line block ×4, first 2 shown]
	s_and_saveexec_b64 s[52:53], vcc
	s_cbranch_execz .LBB47_26
; %bb.25:                               ;   in Loop: Header=BB47_9 Depth=3
	v_mul_f64 v[18:19], v[2:3], v[2:3]
	v_fma_f64 v[18:19], v[0:1], v[0:1], v[18:19]
	v_div_scale_f64 v[20:21], s[54:55], v[18:19], v[18:19], 1.0
	v_rcp_f64_e32 v[22:23], v[20:21]
	v_fma_f64 v[38:39], -v[20:21], v[22:23], 1.0
	v_fma_f64 v[22:23], v[22:23], v[38:39], v[22:23]
	v_div_scale_f64 v[38:39], vcc, 1.0, v[18:19], 1.0
	v_fma_f64 v[40:41], -v[20:21], v[22:23], 1.0
	v_fma_f64 v[22:23], v[22:23], v[40:41], v[22:23]
	v_mul_f64 v[40:41], v[38:39], v[22:23]
	v_fma_f64 v[20:21], -v[20:21], v[40:41], v[38:39]
	v_div_fmas_f64 v[20:21], v[20:21], v[22:23], v[40:41]
	v_mul_f64 v[22:23], v[10:11], v[2:3]
	v_mul_f64 v[2:3], v[2:3], -v[16:17]
	v_fma_f64 v[16:17], v[16:17], v[0:1], v[22:23]
	v_fma_f64 v[0:1], v[10:11], v[0:1], v[2:3]
	v_div_fixup_f64 v[20:21], v[20:21], v[18:19], 1.0
	v_mul_f64 v[18:19], v[16:17], v[20:21]
	v_mul_f64 v[20:21], v[0:1], v[20:21]
.LBB47_26:                              ;   in Loop: Header=BB47_9 Depth=3
	s_or_b64 exec, exec, s[52:53]
	v_mov_b32_e32 v16, v18
	v_mov_b32_e32 v10, v20
	;; [unrolled: 1-line block ×4, first 2 shown]
.LBB47_27:                              ;   in Loop: Header=BB47_9 Depth=3
	s_or_b64 exec, exec, s[50:51]
	v_cmp_gt_f64_e32 vcc, 0, v[16:17]
	v_xor_b32_e32 v0, 0x80000000, v17
	v_xor_b32_e32 v2, 0x80000000, v11
                                        ; implicit-def: $vgpr18_vgpr19
	v_cndmask_b32_e32 v1, v17, v0, vcc
	v_cmp_gt_f64_e32 vcc, 0, v[10:11]
	v_mov_b32_e32 v0, v16
	v_cndmask_b32_e32 v3, v11, v2, vcc
	v_mov_b32_e32 v2, v10
	v_cmp_ngt_f64_e32 vcc, v[0:1], v[2:3]
	s_and_saveexec_b64 s[50:51], vcc
	s_xor_b64 s[50:51], exec, s[50:51]
	s_cbranch_execnz .LBB47_30
; %bb.28:                               ;   in Loop: Header=BB47_9 Depth=3
	s_andn2_saveexec_b64 s[50:51], s[50:51]
	s_cbranch_execnz .LBB47_33
.LBB47_29:                              ;   in Loop: Header=BB47_9 Depth=3
	s_or_b64 exec, exec, s[50:51]
	v_cmp_class_f64_e64 s[52:53], v[18:19], s72
	s_and_saveexec_b64 s[50:51], s[52:53]
	s_cbranch_execz .LBB47_8
	s_branch .LBB47_34
.LBB47_30:                              ;   in Loop: Header=BB47_9 Depth=3
	v_cmp_neq_f64_e32 vcc, 0, v[10:11]
	v_mov_b32_e32 v18, 0
	v_mov_b32_e32 v19, 0
	s_and_saveexec_b64 s[52:53], vcc
	s_cbranch_execz .LBB47_32
; %bb.31:                               ;   in Loop: Header=BB47_9 Depth=3
	v_div_scale_f64 v[18:19], s[54:55], v[2:3], v[2:3], v[0:1]
	v_rcp_f64_e32 v[20:21], v[18:19]
	v_fma_f64 v[22:23], -v[18:19], v[20:21], 1.0
	v_fma_f64 v[20:21], v[20:21], v[22:23], v[20:21]
	v_div_scale_f64 v[22:23], vcc, v[0:1], v[2:3], v[0:1]
	v_fma_f64 v[38:39], -v[18:19], v[20:21], 1.0
	v_fma_f64 v[20:21], v[20:21], v[38:39], v[20:21]
	v_mul_f64 v[38:39], v[22:23], v[20:21]
	v_fma_f64 v[18:19], -v[18:19], v[38:39], v[22:23]
	v_div_fmas_f64 v[18:19], v[18:19], v[20:21], v[38:39]
	v_div_fixup_f64 v[0:1], v[18:19], v[2:3], v[0:1]
	v_fma_f64 v[0:1], v[0:1], v[0:1], 1.0
	v_cmp_gt_f64_e32 vcc, s[44:45], v[0:1]
	v_cndmask_b32_e32 v8, 0, v29, vcc
	v_ldexp_f64 v[0:1], v[0:1], v8
	v_cndmask_b32_e32 v8, 0, v30, vcc
	v_rsq_f64_e32 v[18:19], v[0:1]
	v_cmp_class_f64_e32 vcc, v[0:1], v28
	v_mul_f64 v[20:21], v[0:1], v[18:19]
	v_mul_f64 v[18:19], v[18:19], 0.5
	v_fma_f64 v[22:23], -v[18:19], v[20:21], 0.5
	v_fma_f64 v[20:21], v[20:21], v[22:23], v[20:21]
	v_fma_f64 v[18:19], v[18:19], v[22:23], v[18:19]
	v_fma_f64 v[22:23], -v[20:21], v[20:21], v[0:1]
	v_fma_f64 v[20:21], v[22:23], v[18:19], v[20:21]
	v_fma_f64 v[22:23], -v[20:21], v[20:21], v[0:1]
	v_fma_f64 v[18:19], v[22:23], v[18:19], v[20:21]
	v_ldexp_f64 v[18:19], v[18:19], v8
	v_cndmask_b32_e32 v1, v19, v1, vcc
	v_cndmask_b32_e32 v0, v18, v0, vcc
	v_mul_f64 v[18:19], v[2:3], v[0:1]
.LBB47_32:                              ;   in Loop: Header=BB47_9 Depth=3
	s_or_b64 exec, exec, s[52:53]
                                        ; implicit-def: $vgpr0_vgpr1
                                        ; implicit-def: $vgpr2_vgpr3
	s_andn2_saveexec_b64 s[50:51], s[50:51]
	s_cbranch_execz .LBB47_29
.LBB47_33:                              ;   in Loop: Header=BB47_9 Depth=3
	v_div_scale_f64 v[18:19], s[52:53], v[0:1], v[0:1], v[2:3]
	v_rcp_f64_e32 v[20:21], v[18:19]
	v_fma_f64 v[22:23], -v[18:19], v[20:21], 1.0
	v_fma_f64 v[20:21], v[20:21], v[22:23], v[20:21]
	v_div_scale_f64 v[22:23], vcc, v[2:3], v[0:1], v[2:3]
	v_fma_f64 v[38:39], -v[18:19], v[20:21], 1.0
	v_fma_f64 v[20:21], v[20:21], v[38:39], v[20:21]
	v_mul_f64 v[38:39], v[22:23], v[20:21]
	v_fma_f64 v[18:19], -v[18:19], v[38:39], v[22:23]
	v_div_fmas_f64 v[18:19], v[18:19], v[20:21], v[38:39]
	v_div_fixup_f64 v[2:3], v[18:19], v[0:1], v[2:3]
	v_fma_f64 v[2:3], v[2:3], v[2:3], 1.0
	v_cmp_gt_f64_e32 vcc, s[44:45], v[2:3]
	v_cndmask_b32_e32 v8, 0, v29, vcc
	v_ldexp_f64 v[2:3], v[2:3], v8
	v_cndmask_b32_e32 v8, 0, v30, vcc
	v_rsq_f64_e32 v[18:19], v[2:3]
	v_cmp_class_f64_e32 vcc, v[2:3], v28
	v_mul_f64 v[20:21], v[2:3], v[18:19]
	v_mul_f64 v[18:19], v[18:19], 0.5
	v_fma_f64 v[22:23], -v[18:19], v[20:21], 0.5
	v_fma_f64 v[20:21], v[20:21], v[22:23], v[20:21]
	v_fma_f64 v[18:19], v[18:19], v[22:23], v[18:19]
	v_fma_f64 v[22:23], -v[20:21], v[20:21], v[2:3]
	v_fma_f64 v[20:21], v[22:23], v[18:19], v[20:21]
	v_fma_f64 v[22:23], -v[20:21], v[20:21], v[2:3]
	v_fma_f64 v[18:19], v[22:23], v[18:19], v[20:21]
	v_ldexp_f64 v[18:19], v[18:19], v8
	v_cndmask_b32_e32 v3, v19, v3, vcc
	v_cndmask_b32_e32 v2, v18, v2, vcc
	v_mul_f64 v[18:19], v[0:1], v[2:3]
	s_or_b64 exec, exec, s[50:51]
	v_cmp_class_f64_e64 s[52:53], v[18:19], s72
	s_and_saveexec_b64 s[50:51], s[52:53]
	s_cbranch_execz .LBB47_8
.LBB47_34:                              ;   in Loop: Header=BB47_9 Depth=3
	s_mov_b64 s[52:53], 0
                                        ; implicit-def: $vgpr0_vgpr1
	s_and_saveexec_b64 s[54:55], s[6:7]
	s_xor_b64 s[6:7], exec, s[54:55]
	s_cbranch_execnz .LBB47_37
; %bb.35:                               ;   in Loop: Header=BB47_9 Depth=3
	s_andn2_saveexec_b64 s[6:7], s[6:7]
	s_cbranch_execnz .LBB47_50
.LBB47_36:                              ;   in Loop: Header=BB47_9 Depth=3
	s_or_b64 exec, exec, s[6:7]
	s_and_b64 exec, exec, s[52:53]
	s_cbranch_execz .LBB47_8
	s_branch .LBB47_59
.LBB47_37:                              ;   in Loop: Header=BB47_9 Depth=3
	v_cmp_ge_i32_e32 vcc, v6, v12
                                        ; implicit-def: $vgpr0_vgpr1
	s_and_saveexec_b64 s[54:55], vcc
	s_xor_b64 s[54:55], exec, s[54:55]
	s_cbranch_execz .LBB47_39
; %bb.38:                               ;   in Loop: Header=BB47_9 Depth=3
	v_lshlrev_b64 v[0:1], 4, v[12:13]
	v_mov_b32_e32 v2, s39
	v_add_co_u32_e32 v0, vcc, s38, v0
	v_addc_co_u32_e32 v1, vcc, v2, v1, vcc
	s_mov_b64 s[52:53], exec
	global_store_dwordx2 v[0:1], v[16:17], off
                                        ; implicit-def: $vgpr15
                                        ; implicit-def: $vgpr37
                                        ; implicit-def: $vgpr16_vgpr17
                                        ; implicit-def: $vgpr14
.LBB47_39:                              ;   in Loop: Header=BB47_9 Depth=3
	s_andn2_saveexec_b64 s[54:55], s[54:55]
	s_cbranch_execz .LBB47_49
; %bb.40:                               ;   in Loop: Header=BB47_9 Depth=3
	v_cmp_lt_i32_e32 vcc, v15, v37
	s_mov_b64 s[58:59], s[52:53]
                                        ; implicit-def: $vgpr0_vgpr1
	s_and_saveexec_b64 s[56:57], vcc
	s_cbranch_execz .LBB47_48
; %bb.41:                               ;   in Loop: Header=BB47_9 Depth=3
	s_mov_b64 s[60:61], 0
                                        ; implicit-def: $sgpr58_sgpr59
                                        ; implicit-def: $sgpr64_sgpr65
                                        ; implicit-def: $sgpr62_sgpr63
	s_branch .LBB47_43
.LBB47_42:                              ;   in Loop: Header=BB47_43 Depth=4
	s_or_b64 exec, exec, s[66:67]
	s_and_b64 s[66:67], exec, s[64:65]
	s_or_b64 s[60:61], s[66:67], s[60:61]
	s_andn2_b64 s[58:59], s[58:59], exec
	s_and_b64 s[66:67], s[62:63], exec
	s_or_b64 s[58:59], s[58:59], s[66:67]
	s_andn2_b64 exec, exec, s[60:61]
	s_cbranch_execz .LBB47_45
.LBB47_43:                              ;   Parent Loop BB47_3 Depth=1
                                        ;     Parent Loop BB47_5 Depth=2
                                        ;       Parent Loop BB47_9 Depth=3
                                        ; =>      This Inner Loop Header: Depth=4
	v_add_u32_e32 v2, v14, v15
	v_ashrrev_i32_e32 v3, 31, v2
	v_lshlrev_b64 v[0:1], 2, v[2:3]
	v_mov_b32_e32 v4, s13
	v_add_co_u32_e32 v0, vcc, s12, v0
	v_addc_co_u32_e32 v1, vcc, v4, v1, vcc
	global_load_dword v0, v[0:1], off
	s_or_b64 s[62:63], s[62:63], exec
	s_or_b64 s[64:65], s[64:65], exec
	s_waitcnt vmcnt(0)
	v_subrev_u32_e32 v0, s70, v0
	v_cmp_ne_u32_e32 vcc, v0, v6
	s_and_saveexec_b64 s[66:67], vcc
	s_cbranch_execz .LBB47_42
; %bb.44:                               ;   in Loop: Header=BB47_43 Depth=4
	v_add_u32_e32 v15, 1, v15
	v_cmp_ge_i32_e32 vcc, v15, v37
	s_andn2_b64 s[64:65], s[64:65], exec
	s_and_b64 s[74:75], vcc, exec
	s_andn2_b64 s[62:63], s[62:63], exec
	s_or_b64 s[64:65], s[64:65], s[74:75]
	s_branch .LBB47_42
.LBB47_45:                              ;   in Loop: Header=BB47_9 Depth=3
	s_or_b64 exec, exec, s[60:61]
	s_mov_b64 s[60:61], s[52:53]
                                        ; implicit-def: $vgpr0_vgpr1
	s_and_saveexec_b64 s[62:63], s[58:59]
	s_xor_b64 s[58:59], exec, s[62:63]
	s_cbranch_execz .LBB47_47
; %bb.46:                               ;   in Loop: Header=BB47_9 Depth=3
	v_lshlrev_b64 v[0:1], 4, v[2:3]
	v_mov_b32_e32 v2, s43
	v_add_co_u32_e32 v0, vcc, s42, v0
	v_addc_co_u32_e32 v1, vcc, v2, v1, vcc
	s_or_b64 s[60:61], s[52:53], exec
	global_store_dwordx2 v[0:1], v[16:17], off
.LBB47_47:                              ;   in Loop: Header=BB47_9 Depth=3
	s_or_b64 exec, exec, s[58:59]
	s_andn2_b64 s[58:59], s[52:53], exec
	s_and_b64 s[60:61], s[60:61], exec
	s_or_b64 s[58:59], s[58:59], s[60:61]
.LBB47_48:                              ;   in Loop: Header=BB47_9 Depth=3
	s_or_b64 exec, exec, s[56:57]
	s_andn2_b64 s[52:53], s[52:53], exec
	s_and_b64 s[56:57], s[58:59], exec
	s_or_b64 s[52:53], s[52:53], s[56:57]
.LBB47_49:                              ;   in Loop: Header=BB47_9 Depth=3
	s_or_b64 exec, exec, s[54:55]
	s_and_b64 s[52:53], s[52:53], exec
                                        ; implicit-def: $vgpr16_vgpr17
                                        ; implicit-def: $vgpr12_vgpr13
	s_andn2_saveexec_b64 s[6:7], s[6:7]
	s_cbranch_execz .LBB47_36
.LBB47_50:                              ;   in Loop: Header=BB47_9 Depth=3
	v_cmp_lt_i32_e32 vcc, v4, v32
	s_mov_b64 s[56:57], s[52:53]
                                        ; implicit-def: $vgpr0_vgpr1
	s_and_saveexec_b64 s[54:55], vcc
	s_cbranch_execz .LBB47_58
; %bb.51:                               ;   in Loop: Header=BB47_9 Depth=3
	s_mov_b64 s[58:59], 0
                                        ; implicit-def: $sgpr56_sgpr57
                                        ; implicit-def: $sgpr62_sgpr63
                                        ; implicit-def: $sgpr60_sgpr61
	s_branch .LBB47_53
.LBB47_52:                              ;   in Loop: Header=BB47_53 Depth=4
	s_or_b64 exec, exec, s[64:65]
	s_and_b64 s[64:65], exec, s[62:63]
	s_or_b64 s[58:59], s[64:65], s[58:59]
	s_andn2_b64 s[56:57], s[56:57], exec
	s_and_b64 s[64:65], s[60:61], exec
	s_or_b64 s[56:57], s[56:57], s[64:65]
	s_andn2_b64 exec, exec, s[58:59]
	s_cbranch_execz .LBB47_55
.LBB47_53:                              ;   Parent Loop BB47_3 Depth=1
                                        ;     Parent Loop BB47_5 Depth=2
                                        ;       Parent Loop BB47_9 Depth=3
                                        ; =>      This Inner Loop Header: Depth=4
	v_add_u32_e32 v2, v9, v4
	v_ashrrev_i32_e32 v3, 31, v2
	v_lshlrev_b64 v[0:1], 2, v[2:3]
	v_mov_b32_e32 v8, s21
	v_add_co_u32_e32 v0, vcc, s20, v0
	v_addc_co_u32_e32 v1, vcc, v8, v1, vcc
	global_load_dword v0, v[0:1], off
	s_or_b64 s[60:61], s[60:61], exec
	s_or_b64 s[62:63], s[62:63], exec
	s_waitcnt vmcnt(0)
	v_subrev_u32_e32 v0, s69, v0
	v_cmp_ne_u32_e32 vcc, v0, v12
	s_and_saveexec_b64 s[64:65], vcc
	s_cbranch_execz .LBB47_52
; %bb.54:                               ;   in Loop: Header=BB47_53 Depth=4
	v_add_u32_e32 v4, 1, v4
	v_cmp_ge_i32_e32 vcc, v4, v32
	s_andn2_b64 s[62:63], s[62:63], exec
	s_and_b64 s[66:67], vcc, exec
	s_andn2_b64 s[60:61], s[60:61], exec
	s_or_b64 s[62:63], s[62:63], s[66:67]
	s_branch .LBB47_52
.LBB47_55:                              ;   in Loop: Header=BB47_9 Depth=3
	s_or_b64 exec, exec, s[58:59]
	s_mov_b64 s[58:59], s[52:53]
                                        ; implicit-def: $vgpr0_vgpr1
	s_and_saveexec_b64 s[60:61], s[56:57]
	s_xor_b64 s[56:57], exec, s[60:61]
	s_cbranch_execz .LBB47_57
; %bb.56:                               ;   in Loop: Header=BB47_9 Depth=3
	v_lshlrev_b64 v[0:1], 4, v[2:3]
	v_mov_b32_e32 v2, s41
	v_add_co_u32_e32 v0, vcc, s40, v0
	v_addc_co_u32_e32 v1, vcc, v2, v1, vcc
	s_or_b64 s[58:59], s[52:53], exec
	global_store_dwordx2 v[0:1], v[16:17], off
.LBB47_57:                              ;   in Loop: Header=BB47_9 Depth=3
	s_or_b64 exec, exec, s[56:57]
	s_andn2_b64 s[56:57], s[52:53], exec
	s_and_b64 s[58:59], s[58:59], exec
	s_or_b64 s[56:57], s[56:57], s[58:59]
.LBB47_58:                              ;   in Loop: Header=BB47_9 Depth=3
	s_or_b64 exec, exec, s[54:55]
	s_andn2_b64 s[52:53], s[52:53], exec
	s_and_b64 s[54:55], s[56:57], exec
	s_or_b64 s[52:53], s[52:53], s[54:55]
	s_or_b64 exec, exec, s[6:7]
	s_and_b64 exec, exec, s[52:53]
	s_cbranch_execz .LBB47_8
.LBB47_59:                              ;   in Loop: Header=BB47_9 Depth=3
	global_store_dwordx2 v[0:1], v[10:11], off offset:8
	s_branch .LBB47_8
.LBB47_60:                              ;   in Loop: Header=BB47_3 Depth=1
	s_and_saveexec_b64 s[4:5], s[0:1]
	s_cbranch_execz .LBB47_2
; %bb.61:                               ;   in Loop: Header=BB47_3 Depth=1
	s_mov_b64 s[6:7], 0
	v_mov_b32_e32 v0, v24
	s_branch .LBB47_63
.LBB47_62:                              ;   in Loop: Header=BB47_63 Depth=2
	s_or_b64 exec, exec, s[46:47]
	v_add_u32_e32 v0, 32, v0
	v_cmp_le_u32_e32 vcc, s71, v0
	s_or_b64 s[6:7], vcc, s[6:7]
	s_andn2_b64 exec, exec, s[6:7]
	s_cbranch_execz .LBB47_2
.LBB47_63:                              ;   Parent Loop BB47_3 Depth=1
                                        ; =>  This Loop Header: Depth=2
                                        ;       Child Loop BB47_66 Depth 3
                                        ;       Child Loop BB47_69 Depth 3
	v_cmp_gt_i32_e32 vcc, s35, v0
	s_and_saveexec_b64 s[46:47], vcc
	s_cbranch_execz .LBB47_62
; %bb.64:                               ;   in Loop: Header=BB47_63 Depth=2
	v_ashrrev_i32_e32 v1, 31, v0
	v_lshlrev_b64 v[2:3], 2, v[0:1]
	v_mov_b32_e32 v4, s17
	v_add_co_u32_e32 v6, vcc, s16, v2
	v_addc_co_u32_e32 v7, vcc, v4, v3, vcc
	global_load_dword v4, v[6:7], off
	v_mov_b32_e32 v7, s19
	v_add_co_u32_e32 v6, vcc, s18, v2
	v_addc_co_u32_e32 v7, vcc, v7, v3, vcc
	global_load_dword v7, v[6:7], off
	s_waitcnt vmcnt(1)
	v_add_u32_e32 v6, v26, v4
	s_waitcnt vmcnt(0)
	v_subrev_u32_e32 v4, s69, v7
	v_cmp_lt_i32_e32 vcc, v6, v4
	s_and_saveexec_b64 s[48:49], vcc
	s_cbranch_execz .LBB47_67
; %bb.65:                               ;   in Loop: Header=BB47_63 Depth=2
	v_ashrrev_i32_e32 v7, 31, v6
	v_lshlrev_b64 v[9:10], 4, v[6:7]
	v_mov_b32_e32 v8, s23
	v_add_co_u32_e32 v7, vcc, s22, v9
	v_addc_co_u32_e32 v8, vcc, v8, v10, vcc
	v_mov_b32_e32 v11, s41
	v_add_co_u32_e32 v9, vcc, s40, v9
	v_addc_co_u32_e32 v10, vcc, v11, v10, vcc
	s_mov_b64 s[50:51], 0
.LBB47_66:                              ;   Parent Loop BB47_3 Depth=1
                                        ;     Parent Loop BB47_63 Depth=2
                                        ; =>    This Inner Loop Header: Depth=3
	global_load_dwordx4 v[11:14], v[9:10], off
	v_add_u32_e32 v6, 32, v6
	v_cmp_ge_i32_e32 vcc, v6, v4
	s_or_b64 s[50:51], vcc, s[50:51]
	s_waitcnt vmcnt(0)
	global_store_dwordx4 v[7:8], v[11:14], off
	v_add_co_u32_e32 v7, vcc, 0x200, v7
	v_addc_co_u32_e32 v8, vcc, 0, v8, vcc
	v_add_co_u32_e32 v9, vcc, 0x200, v9
	v_addc_co_u32_e32 v10, vcc, 0, v10, vcc
	s_andn2_b64 exec, exec, s[50:51]
	s_cbranch_execnz .LBB47_66
.LBB47_67:                              ;   in Loop: Header=BB47_63 Depth=2
	s_or_b64 exec, exec, s[48:49]
	v_mov_b32_e32 v4, s9
	v_add_co_u32_e32 v6, vcc, s8, v2
	v_addc_co_u32_e32 v7, vcc, v4, v3, vcc
	global_load_dword v4, v[6:7], off
	v_mov_b32_e32 v6, s11
	v_add_co_u32_e32 v2, vcc, s10, v2
	v_addc_co_u32_e32 v3, vcc, v6, v3, vcc
	global_load_dword v3, v[2:3], off
	s_waitcnt vmcnt(1)
	v_add_u32_e32 v2, v27, v4
	s_waitcnt vmcnt(0)
	v_subrev_u32_e32 v8, s70, v3
	v_cmp_lt_i32_e32 vcc, v2, v8
	s_and_saveexec_b64 s[48:49], vcc
	s_cbranch_execz .LBB47_70
; %bb.68:                               ;   in Loop: Header=BB47_63 Depth=2
	v_ashrrev_i32_e32 v3, 31, v2
	v_lshlrev_b64 v[6:7], 4, v[2:3]
	v_mov_b32_e32 v4, s15
	v_add_co_u32_e32 v3, vcc, s14, v6
	v_addc_co_u32_e32 v4, vcc, v4, v7, vcc
	v_mov_b32_e32 v9, s43
	v_add_co_u32_e32 v6, vcc, s42, v6
	v_addc_co_u32_e32 v7, vcc, v9, v7, vcc
	s_mov_b64 s[50:51], 0
.LBB47_69:                              ;   Parent Loop BB47_3 Depth=1
                                        ;     Parent Loop BB47_63 Depth=2
                                        ; =>    This Inner Loop Header: Depth=3
	global_load_dwordx4 v[9:12], v[6:7], off
	v_add_u32_e32 v2, 32, v2
	v_cmp_ge_i32_e32 vcc, v2, v8
	s_or_b64 s[50:51], vcc, s[50:51]
	s_waitcnt vmcnt(0)
	global_store_dwordx4 v[3:4], v[9:12], off
	v_add_co_u32_e32 v3, vcc, 0x200, v3
	v_addc_co_u32_e32 v4, vcc, 0, v4, vcc
	v_add_co_u32_e32 v6, vcc, 0x200, v6
	v_addc_co_u32_e32 v7, vcc, 0, v7, vcc
	s_andn2_b64 exec, exec, s[50:51]
	s_cbranch_execnz .LBB47_69
.LBB47_70:                              ;   in Loop: Header=BB47_63 Depth=2
	s_or_b64 exec, exec, s[48:49]
	s_and_b64 exec, exec, s[2:3]
	s_cbranch_execz .LBB47_62
; %bb.71:                               ;   in Loop: Header=BB47_63 Depth=2
	v_lshlrev_b64 v[6:7], 4, v[0:1]
	v_mov_b32_e32 v2, s39
	v_add_co_u32_e32 v1, vcc, s38, v6
	v_addc_co_u32_e32 v2, vcc, v2, v7, vcc
	global_load_dwordx4 v[1:4], v[1:2], off
	v_mov_b32_e32 v8, s37
	v_add_co_u32_e32 v6, vcc, s36, v6
	v_addc_co_u32_e32 v7, vcc, v8, v7, vcc
	s_waitcnt vmcnt(0)
	global_store_dwordx4 v[6:7], v[1:4], off
	s_branch .LBB47_62
.LBB47_72:
	s_endpgm
	.section	.rodata,"a",@progbits
	.p2align	6, 0x0
	.amdhsa_kernel _ZN9rocsparseL14kernel_freerunILi1024ELi32E21rocsparse_complex_numIdEiiEEvT3_S3_T2_PKS4_S6_PKS3_PKT1_21rocsparse_index_base_S6_S6_S8_PS9_SD_SC_S6_S6_S8_SD_SD_SC_SD_SD_
		.amdhsa_group_segment_fixed_size 0
		.amdhsa_private_segment_fixed_size 0
		.amdhsa_kernarg_size 168
		.amdhsa_user_sgpr_count 6
		.amdhsa_user_sgpr_private_segment_buffer 1
		.amdhsa_user_sgpr_dispatch_ptr 0
		.amdhsa_user_sgpr_queue_ptr 0
		.amdhsa_user_sgpr_kernarg_segment_ptr 1
		.amdhsa_user_sgpr_dispatch_id 0
		.amdhsa_user_sgpr_flat_scratch_init 0
		.amdhsa_user_sgpr_private_segment_size 0
		.amdhsa_uses_dynamic_stack 0
		.amdhsa_system_sgpr_private_segment_wavefront_offset 0
		.amdhsa_system_sgpr_workgroup_id_x 1
		.amdhsa_system_sgpr_workgroup_id_y 0
		.amdhsa_system_sgpr_workgroup_id_z 0
		.amdhsa_system_sgpr_workgroup_info 0
		.amdhsa_system_vgpr_workitem_id 0
		.amdhsa_next_free_vgpr 46
		.amdhsa_next_free_sgpr 76
		.amdhsa_reserve_vcc 1
		.amdhsa_reserve_flat_scratch 0
		.amdhsa_float_round_mode_32 0
		.amdhsa_float_round_mode_16_64 0
		.amdhsa_float_denorm_mode_32 3
		.amdhsa_float_denorm_mode_16_64 3
		.amdhsa_dx10_clamp 1
		.amdhsa_ieee_mode 1
		.amdhsa_fp16_overflow 0
		.amdhsa_exception_fp_ieee_invalid_op 0
		.amdhsa_exception_fp_denorm_src 0
		.amdhsa_exception_fp_ieee_div_zero 0
		.amdhsa_exception_fp_ieee_overflow 0
		.amdhsa_exception_fp_ieee_underflow 0
		.amdhsa_exception_fp_ieee_inexact 0
		.amdhsa_exception_int_div_zero 0
	.end_amdhsa_kernel
	.section	.text._ZN9rocsparseL14kernel_freerunILi1024ELi32E21rocsparse_complex_numIdEiiEEvT3_S3_T2_PKS4_S6_PKS3_PKT1_21rocsparse_index_base_S6_S6_S8_PS9_SD_SC_S6_S6_S8_SD_SD_SC_SD_SD_,"axG",@progbits,_ZN9rocsparseL14kernel_freerunILi1024ELi32E21rocsparse_complex_numIdEiiEEvT3_S3_T2_PKS4_S6_PKS3_PKT1_21rocsparse_index_base_S6_S6_S8_PS9_SD_SC_S6_S6_S8_SD_SD_SC_SD_SD_,comdat
.Lfunc_end47:
	.size	_ZN9rocsparseL14kernel_freerunILi1024ELi32E21rocsparse_complex_numIdEiiEEvT3_S3_T2_PKS4_S6_PKS3_PKT1_21rocsparse_index_base_S6_S6_S8_PS9_SD_SC_S6_S6_S8_SD_SD_SC_SD_SD_, .Lfunc_end47-_ZN9rocsparseL14kernel_freerunILi1024ELi32E21rocsparse_complex_numIdEiiEEvT3_S3_T2_PKS4_S6_PKS3_PKT1_21rocsparse_index_base_S6_S6_S8_PS9_SD_SC_S6_S6_S8_SD_SD_SC_SD_SD_
                                        ; -- End function
	.set _ZN9rocsparseL14kernel_freerunILi1024ELi32E21rocsparse_complex_numIdEiiEEvT3_S3_T2_PKS4_S6_PKS3_PKT1_21rocsparse_index_base_S6_S6_S8_PS9_SD_SC_S6_S6_S8_SD_SD_SC_SD_SD_.num_vgpr, 46
	.set _ZN9rocsparseL14kernel_freerunILi1024ELi32E21rocsparse_complex_numIdEiiEEvT3_S3_T2_PKS4_S6_PKS3_PKT1_21rocsparse_index_base_S6_S6_S8_PS9_SD_SC_S6_S6_S8_SD_SD_SC_SD_SD_.num_agpr, 0
	.set _ZN9rocsparseL14kernel_freerunILi1024ELi32E21rocsparse_complex_numIdEiiEEvT3_S3_T2_PKS4_S6_PKS3_PKT1_21rocsparse_index_base_S6_S6_S8_PS9_SD_SC_S6_S6_S8_SD_SD_SC_SD_SD_.numbered_sgpr, 76
	.set _ZN9rocsparseL14kernel_freerunILi1024ELi32E21rocsparse_complex_numIdEiiEEvT3_S3_T2_PKS4_S6_PKS3_PKT1_21rocsparse_index_base_S6_S6_S8_PS9_SD_SC_S6_S6_S8_SD_SD_SC_SD_SD_.num_named_barrier, 0
	.set _ZN9rocsparseL14kernel_freerunILi1024ELi32E21rocsparse_complex_numIdEiiEEvT3_S3_T2_PKS4_S6_PKS3_PKT1_21rocsparse_index_base_S6_S6_S8_PS9_SD_SC_S6_S6_S8_SD_SD_SC_SD_SD_.private_seg_size, 0
	.set _ZN9rocsparseL14kernel_freerunILi1024ELi32E21rocsparse_complex_numIdEiiEEvT3_S3_T2_PKS4_S6_PKS3_PKT1_21rocsparse_index_base_S6_S6_S8_PS9_SD_SC_S6_S6_S8_SD_SD_SC_SD_SD_.uses_vcc, 1
	.set _ZN9rocsparseL14kernel_freerunILi1024ELi32E21rocsparse_complex_numIdEiiEEvT3_S3_T2_PKS4_S6_PKS3_PKT1_21rocsparse_index_base_S6_S6_S8_PS9_SD_SC_S6_S6_S8_SD_SD_SC_SD_SD_.uses_flat_scratch, 0
	.set _ZN9rocsparseL14kernel_freerunILi1024ELi32E21rocsparse_complex_numIdEiiEEvT3_S3_T2_PKS4_S6_PKS3_PKT1_21rocsparse_index_base_S6_S6_S8_PS9_SD_SC_S6_S6_S8_SD_SD_SC_SD_SD_.has_dyn_sized_stack, 0
	.set _ZN9rocsparseL14kernel_freerunILi1024ELi32E21rocsparse_complex_numIdEiiEEvT3_S3_T2_PKS4_S6_PKS3_PKT1_21rocsparse_index_base_S6_S6_S8_PS9_SD_SC_S6_S6_S8_SD_SD_SC_SD_SD_.has_recursion, 0
	.set _ZN9rocsparseL14kernel_freerunILi1024ELi32E21rocsparse_complex_numIdEiiEEvT3_S3_T2_PKS4_S6_PKS3_PKT1_21rocsparse_index_base_S6_S6_S8_PS9_SD_SC_S6_S6_S8_SD_SD_SC_SD_SD_.has_indirect_call, 0
	.section	.AMDGPU.csdata,"",@progbits
; Kernel info:
; codeLenInByte = 3440
; TotalNumSgprs: 80
; NumVgprs: 46
; ScratchSize: 0
; MemoryBound: 1
; FloatMode: 240
; IeeeMode: 1
; LDSByteSize: 0 bytes/workgroup (compile time only)
; SGPRBlocks: 9
; VGPRBlocks: 11
; NumSGPRsForWavesPerEU: 80
; NumVGPRsForWavesPerEU: 46
; Occupancy: 5
; WaveLimiterHint : 1
; COMPUTE_PGM_RSRC2:SCRATCH_EN: 0
; COMPUTE_PGM_RSRC2:USER_SGPR: 6
; COMPUTE_PGM_RSRC2:TRAP_HANDLER: 0
; COMPUTE_PGM_RSRC2:TGID_X_EN: 1
; COMPUTE_PGM_RSRC2:TGID_Y_EN: 0
; COMPUTE_PGM_RSRC2:TGID_Z_EN: 0
; COMPUTE_PGM_RSRC2:TIDIG_COMP_CNT: 0
	.section	.text._ZN9rocsparseL14kernel_freerunILi1024ELi64E21rocsparse_complex_numIdEiiEEvT3_S3_T2_PKS4_S6_PKS3_PKT1_21rocsparse_index_base_S6_S6_S8_PS9_SD_SC_S6_S6_S8_SD_SD_SC_SD_SD_,"axG",@progbits,_ZN9rocsparseL14kernel_freerunILi1024ELi64E21rocsparse_complex_numIdEiiEEvT3_S3_T2_PKS4_S6_PKS3_PKT1_21rocsparse_index_base_S6_S6_S8_PS9_SD_SC_S6_S6_S8_SD_SD_SC_SD_SD_,comdat
	.globl	_ZN9rocsparseL14kernel_freerunILi1024ELi64E21rocsparse_complex_numIdEiiEEvT3_S3_T2_PKS4_S6_PKS3_PKT1_21rocsparse_index_base_S6_S6_S8_PS9_SD_SC_S6_S6_S8_SD_SD_SC_SD_SD_ ; -- Begin function _ZN9rocsparseL14kernel_freerunILi1024ELi64E21rocsparse_complex_numIdEiiEEvT3_S3_T2_PKS4_S6_PKS3_PKT1_21rocsparse_index_base_S6_S6_S8_PS9_SD_SC_S6_S6_S8_SD_SD_SC_SD_SD_
	.p2align	8
	.type	_ZN9rocsparseL14kernel_freerunILi1024ELi64E21rocsparse_complex_numIdEiiEEvT3_S3_T2_PKS4_S6_PKS3_PKT1_21rocsparse_index_base_S6_S6_S8_PS9_SD_SC_S6_S6_S8_SD_SD_SC_SD_SD_,@function
_ZN9rocsparseL14kernel_freerunILi1024ELi64E21rocsparse_complex_numIdEiiEEvT3_S3_T2_PKS4_S6_PKS3_PKT1_21rocsparse_index_base_S6_S6_S8_PS9_SD_SC_S6_S6_S8_SD_SD_SC_SD_SD_: ; @_ZN9rocsparseL14kernel_freerunILi1024ELi64E21rocsparse_complex_numIdEiiEEvT3_S3_T2_PKS4_S6_PKS3_PKT1_21rocsparse_index_base_S6_S6_S8_PS9_SD_SC_S6_S6_S8_SD_SD_SC_SD_SD_
; %bb.0:
	s_load_dwordx2 s[34:35], s[4:5], 0x0
	v_lshrrev_b32_e32 v1, 6, v0
	s_lshl_b32 s71, s6, 10
	v_or_b32_e32 v24, s71, v1
	s_mov_b32 s33, 0
	s_waitcnt lgkmcnt(0)
	s_cmp_gt_i32 s34, 0
	v_cmp_gt_i32_e32 vcc, s35, v24
	s_cselect_b64 s[0:1], -1, 0
	s_and_b64 s[0:1], vcc, s[0:1]
	s_and_saveexec_b64 s[2:3], s[0:1]
	s_cbranch_execz .LBB48_72
; %bb.1:
	s_load_dwordx4 s[36:39], s[4:5], 0x98
	s_load_dwordx8 s[8:15], s[4:5], 0x68
	s_load_dwordx8 s[16:23], s[4:5], 0x38
	;; [unrolled: 1-line block ×3, first 2 shown]
	s_load_dword s68, s[4:5], 0x30
	s_load_dwordx2 s[40:41], s[4:5], 0x58
	s_load_dword s69, s[4:5], 0x60
	s_load_dwordx2 s[42:43], s[4:5], 0x88
	s_load_dword s70, s[4:5], 0x90
	v_and_b32_e32 v0, 63, v0
	s_addk_i32 s71, 0x400
	s_mov_b32 s44, 0
	s_waitcnt lgkmcnt(0)
	v_subrev_u32_e32 v25, s68, v0
	v_cmp_gt_u32_e64 s[0:1], s71, v24
	v_subrev_u32_e32 v26, s69, v0
	v_subrev_u32_e32 v27, s70, v0
	v_cmp_eq_u32_e64 s[2:3], 0, v0
	v_mov_b32_e32 v5, 0
	s_brev_b32 s45, 8
	v_mov_b32_e32 v28, 0x260
	s_movk_i32 s72, 0x1f8
	v_mov_b32_e32 v29, 0x100
	v_mov_b32_e32 v30, 0xffffff80
	s_branch .LBB48_3
.LBB48_2:                               ;   in Loop: Header=BB48_3 Depth=1
	s_or_b64 exec, exec, s[4:5]
	s_add_i32 s33, s33, 1
	s_cmp_eq_u32 s33, s34
	s_cbranch_scc1 .LBB48_72
.LBB48_3:                               ; =>This Loop Header: Depth=1
                                        ;     Child Loop BB48_5 Depth 2
                                        ;       Child Loop BB48_9 Depth 3
                                        ;         Child Loop BB48_13 Depth 4
                                        ;         Child Loop BB48_43 Depth 4
	;; [unrolled: 1-line block ×3, first 2 shown]
                                        ;     Child Loop BB48_63 Depth 2
                                        ;       Child Loop BB48_66 Depth 3
                                        ;       Child Loop BB48_69 Depth 3
	s_mov_b32 s73, 0
	s_branch .LBB48_5
.LBB48_4:                               ;   in Loop: Header=BB48_5 Depth=2
	s_or_b64 exec, exec, s[46:47]
	s_add_i32 s73, s73, 1
	s_cmp_eq_u32 s73, 64
	s_cbranch_scc1 .LBB48_60
.LBB48_5:                               ;   Parent Loop BB48_3 Depth=1
                                        ; =>  This Loop Header: Depth=2
                                        ;       Child Loop BB48_9 Depth 3
                                        ;         Child Loop BB48_13 Depth 4
                                        ;         Child Loop BB48_43 Depth 4
	;; [unrolled: 1-line block ×3, first 2 shown]
	v_lshl_add_u32 v6, s73, 4, v24
	v_cmp_gt_i32_e32 vcc, s35, v6
	s_and_saveexec_b64 s[46:47], vcc
	s_cbranch_execz .LBB48_4
; %bb.6:                                ;   in Loop: Header=BB48_5 Depth=2
	v_ashrrev_i32_e32 v7, 31, v6
	v_lshlrev_b64 v[0:1], 2, v[6:7]
	v_mov_b32_e32 v3, s25
	v_add_co_u32_e32 v2, vcc, s24, v0
	v_addc_co_u32_e32 v3, vcc, v3, v1, vcc
	global_load_dword v4, v[2:3], off
	v_mov_b32_e32 v3, s27
	v_add_co_u32_e32 v2, vcc, s26, v0
	v_addc_co_u32_e32 v3, vcc, v3, v1, vcc
	global_load_dword v2, v[2:3], off
	s_waitcnt vmcnt(1)
	v_add_u32_e32 v7, v25, v4
	s_waitcnt vmcnt(0)
	v_subrev_u32_e32 v31, s68, v2
	v_cmp_lt_i32_e32 vcc, v7, v31
	s_and_b64 exec, exec, vcc
	s_cbranch_execz .LBB48_4
; %bb.7:                                ;   in Loop: Header=BB48_5 Depth=2
	v_mov_b32_e32 v3, s19
	v_add_co_u32_e32 v2, vcc, s18, v0
	v_addc_co_u32_e32 v3, vcc, v3, v1, vcc
	v_mov_b32_e32 v4, s17
	v_add_co_u32_e32 v0, vcc, s16, v0
	v_addc_co_u32_e32 v1, vcc, v4, v1, vcc
	global_load_dword v0, v[0:1], off
	s_nop 0
	global_load_dword v1, v[2:3], off
	v_mov_b32_e32 v4, s21
	v_mov_b32_e32 v8, s23
	s_mov_b64 s[48:49], 0
	s_waitcnt vmcnt(1)
	v_subrev_u32_e32 v9, s69, v0
	v_ashrrev_i32_e32 v10, 31, v9
	s_waitcnt vmcnt(0)
	v_sub_u32_e32 v32, v1, v0
	v_lshlrev_b64 v[0:1], 2, v[9:10]
	v_lshlrev_b64 v[2:3], 4, v[9:10]
	v_add_co_u32_e32 v33, vcc, s20, v0
	v_addc_co_u32_e32 v34, vcc, v4, v1, vcc
	v_add_co_u32_e32 v35, vcc, s22, v2
	v_cmp_lt_i32_e64 s[4:5], 0, v32
	v_addc_co_u32_e32 v36, vcc, v8, v3, vcc
	s_branch .LBB48_9
.LBB48_8:                               ;   in Loop: Header=BB48_9 Depth=3
	s_or_b64 exec, exec, s[50:51]
	v_add_u32_e32 v7, 64, v7
	v_cmp_ge_i32_e32 vcc, v7, v31
	s_or_b64 s[48:49], vcc, s[48:49]
	s_andn2_b64 exec, exec, s[48:49]
	s_cbranch_execz .LBB48_4
.LBB48_9:                               ;   Parent Loop BB48_3 Depth=1
                                        ;     Parent Loop BB48_5 Depth=2
                                        ; =>    This Loop Header: Depth=3
                                        ;         Child Loop BB48_13 Depth 4
                                        ;         Child Loop BB48_43 Depth 4
	;; [unrolled: 1-line block ×3, first 2 shown]
	v_ashrrev_i32_e32 v8, 31, v7
	v_lshlrev_b64 v[0:1], 2, v[7:8]
	v_mov_b32_e32 v2, s29
	v_add_co_u32_e32 v0, vcc, s28, v0
	v_addc_co_u32_e32 v1, vcc, v2, v1, vcc
	global_load_dword v0, v[0:1], off
	v_mov_b32_e32 v3, s9
	v_mov_b32_e32 v4, s11
	s_waitcnt vmcnt(0)
	v_subrev_u32_e32 v12, s68, v0
	v_ashrrev_i32_e32 v13, 31, v12
	v_lshlrev_b64 v[0:1], 2, v[12:13]
	v_add_co_u32_e32 v2, vcc, s8, v0
	v_addc_co_u32_e32 v3, vcc, v3, v1, vcc
	v_add_co_u32_e32 v0, vcc, s10, v0
	v_addc_co_u32_e32 v1, vcc, v4, v1, vcc
	global_load_dword v10, v[2:3], off
	global_load_dword v11, v[0:1], off
	v_mov_b32_e32 v4, 0
	v_mov_b32_e32 v0, 0
	;; [unrolled: 1-line block ×6, first 2 shown]
	s_waitcnt vmcnt(1)
	v_subrev_u32_e32 v14, s70, v10
	s_waitcnt vmcnt(0)
	v_sub_u32_e32 v37, v11, v10
	s_and_saveexec_b64 s[6:7], s[4:5]
	s_cbranch_execz .LBB48_17
; %bb.10:                               ;   in Loop: Header=BB48_9 Depth=3
	v_ashrrev_i32_e32 v15, 31, v14
	v_lshlrev_b64 v[0:1], 2, v[14:15]
	v_mov_b32_e32 v2, s13
	v_add_co_u32_e32 v10, vcc, s12, v0
	v_addc_co_u32_e32 v11, vcc, v2, v1, vcc
	v_lshlrev_b64 v[0:1], 4, v[14:15]
	v_mov_b32_e32 v2, s15
	v_add_co_u32_e32 v17, vcc, s14, v0
	v_addc_co_u32_e32 v18, vcc, v2, v1, vcc
	v_mov_b32_e32 v0, 0
	v_mov_b32_e32 v15, 0
	;; [unrolled: 1-line block ×4, first 2 shown]
	s_mov_b64 s[50:51], 0
	v_mov_b32_e32 v3, 0
	v_mov_b32_e32 v4, v15
                                        ; implicit-def: $sgpr52_sgpr53
	s_branch .LBB48_13
.LBB48_11:                              ;   in Loop: Header=BB48_13 Depth=4
	s_or_b64 exec, exec, s[56:57]
	v_cmp_le_i32_e32 vcc, v19, v20
	v_addc_co_u32_e32 v4, vcc, 0, v4, vcc
	v_cmp_ge_i32_e32 vcc, v19, v20
	v_addc_co_u32_e32 v15, vcc, 0, v15, vcc
	v_cmp_ge_i32_e32 vcc, v4, v32
	s_andn2_b64 s[52:53], s[52:53], exec
	s_and_b64 s[56:57], vcc, exec
	s_or_b64 s[52:53], s[52:53], s[56:57]
.LBB48_12:                              ;   in Loop: Header=BB48_13 Depth=4
	s_or_b64 exec, exec, s[54:55]
	s_and_b64 s[54:55], exec, s[52:53]
	s_or_b64 s[50:51], s[54:55], s[50:51]
	s_andn2_b64 exec, exec, s[50:51]
	s_cbranch_execz .LBB48_16
.LBB48_13:                              ;   Parent Loop BB48_3 Depth=1
                                        ;     Parent Loop BB48_5 Depth=2
                                        ;       Parent Loop BB48_9 Depth=3
                                        ; =>      This Inner Loop Header: Depth=4
	v_cmp_lt_i32_e32 vcc, v15, v37
	s_or_b64 s[52:53], s[52:53], exec
	s_and_saveexec_b64 s[54:55], vcc
	s_cbranch_execz .LBB48_12
; %bb.14:                               ;   in Loop: Header=BB48_13 Depth=4
	v_lshlrev_b64 v[19:20], 2, v[4:5]
	v_mov_b32_e32 v16, v5
	v_add_co_u32_e32 v19, vcc, v33, v19
	v_addc_co_u32_e32 v20, vcc, v34, v20, vcc
	global_load_dword v21, v[19:20], off
	v_lshlrev_b64 v[19:20], 2, v[15:16]
	v_add_co_u32_e32 v19, vcc, v10, v19
	v_addc_co_u32_e32 v20, vcc, v11, v20, vcc
	global_load_dword v20, v[19:20], off
	s_waitcnt vmcnt(1)
	v_subrev_u32_e32 v19, s69, v21
	s_waitcnt vmcnt(0)
	v_subrev_u32_e32 v20, s70, v20
	v_cmp_eq_u32_e32 vcc, v19, v20
	s_and_saveexec_b64 s[56:57], vcc
	s_cbranch_execz .LBB48_11
; %bb.15:                               ;   in Loop: Header=BB48_13 Depth=4
	v_lshlrev_b64 v[21:22], 4, v[4:5]
	v_add_co_u32_e32 v21, vcc, v35, v21
	v_addc_co_u32_e32 v22, vcc, v36, v22, vcc
	global_load_dwordx4 v[38:41], v[21:22], off
	v_lshlrev_b64 v[21:22], 4, v[15:16]
	v_add_co_u32_e32 v21, vcc, v17, v21
	v_addc_co_u32_e32 v22, vcc, v18, v22, vcc
	global_load_dwordx4 v[42:45], v[21:22], off
	s_waitcnt vmcnt(0)
	v_fma_f64 v[0:1], v[38:39], v[42:43], v[0:1]
	v_fma_f64 v[2:3], v[40:41], v[42:43], v[2:3]
	v_fma_f64 v[0:1], -v[40:41], v[44:45], v[0:1]
	v_fma_f64 v[2:3], v[38:39], v[44:45], v[2:3]
	s_branch .LBB48_11
.LBB48_16:                              ;   in Loop: Header=BB48_9 Depth=3
	s_or_b64 exec, exec, s[50:51]
.LBB48_17:                              ;   in Loop: Header=BB48_9 Depth=3
	s_or_b64 exec, exec, s[6:7]
	v_lshlrev_b64 v[10:11], 4, v[7:8]
	v_mov_b32_e32 v8, s31
	v_add_co_u32_e32 v10, vcc, s30, v10
	v_addc_co_u32_e32 v11, vcc, v8, v11, vcc
	global_load_dwordx4 v[16:19], v[10:11], off
	v_cmp_le_i32_e64 s[6:7], v6, v12
	v_cmp_gt_i32_e32 vcc, v6, v12
	s_waitcnt vmcnt(0)
	v_add_f64 v[16:17], v[16:17], -v[0:1]
	v_add_f64 v[10:11], v[18:19], -v[2:3]
	s_and_saveexec_b64 s[50:51], vcc
	s_cbranch_execz .LBB48_27
; %bb.18:                               ;   in Loop: Header=BB48_9 Depth=3
	v_lshlrev_b64 v[0:1], 4, v[12:13]
	v_mov_b32_e32 v2, s37
	v_add_co_u32_e32 v0, vcc, s36, v0
	v_addc_co_u32_e32 v1, vcc, v2, v1, vcc
	global_load_dwordx4 v[0:3], v[0:1], off
                                        ; implicit-def: $vgpr22_vgpr23
	s_waitcnt vmcnt(0)
	v_cmp_gt_f64_e32 vcc, 0, v[0:1]
	v_xor_b32_e32 v8, 0x80000000, v1
	v_xor_b32_e32 v20, 0x80000000, v3
	v_mov_b32_e32 v18, v0
	v_cndmask_b32_e32 v19, v1, v8, vcc
	v_cmp_gt_f64_e32 vcc, 0, v[2:3]
	v_cndmask_b32_e32 v21, v3, v20, vcc
	v_mov_b32_e32 v20, v2
	v_cmp_ngt_f64_e32 vcc, v[18:19], v[20:21]
	s_and_saveexec_b64 s[52:53], vcc
	s_xor_b64 s[52:53], exec, s[52:53]
	s_cbranch_execz .LBB48_22
; %bb.19:                               ;   in Loop: Header=BB48_9 Depth=3
	v_cmp_neq_f64_e32 vcc, 0, v[2:3]
	v_mov_b32_e32 v22, 0
	v_mov_b32_e32 v23, 0
	s_and_saveexec_b64 s[54:55], vcc
	s_cbranch_execz .LBB48_21
; %bb.20:                               ;   in Loop: Header=BB48_9 Depth=3
	v_div_scale_f64 v[22:23], s[56:57], v[20:21], v[20:21], v[18:19]
	v_rcp_f64_e32 v[38:39], v[22:23]
	v_fma_f64 v[40:41], -v[22:23], v[38:39], 1.0
	v_fma_f64 v[38:39], v[38:39], v[40:41], v[38:39]
	v_div_scale_f64 v[40:41], vcc, v[18:19], v[20:21], v[18:19]
	v_fma_f64 v[42:43], -v[22:23], v[38:39], 1.0
	v_fma_f64 v[38:39], v[38:39], v[42:43], v[38:39]
	v_mul_f64 v[42:43], v[40:41], v[38:39]
	v_fma_f64 v[22:23], -v[22:23], v[42:43], v[40:41]
	v_div_fmas_f64 v[22:23], v[22:23], v[38:39], v[42:43]
	v_div_fixup_f64 v[18:19], v[22:23], v[20:21], v[18:19]
	v_fma_f64 v[18:19], v[18:19], v[18:19], 1.0
	v_cmp_gt_f64_e32 vcc, s[44:45], v[18:19]
	v_cndmask_b32_e32 v8, 0, v29, vcc
	v_ldexp_f64 v[18:19], v[18:19], v8
	v_cndmask_b32_e32 v8, 0, v30, vcc
	v_rsq_f64_e32 v[22:23], v[18:19]
	v_cmp_class_f64_e32 vcc, v[18:19], v28
	v_mul_f64 v[38:39], v[18:19], v[22:23]
	v_mul_f64 v[22:23], v[22:23], 0.5
	v_fma_f64 v[40:41], -v[22:23], v[38:39], 0.5
	v_fma_f64 v[38:39], v[38:39], v[40:41], v[38:39]
	v_fma_f64 v[22:23], v[22:23], v[40:41], v[22:23]
	v_fma_f64 v[40:41], -v[38:39], v[38:39], v[18:19]
	v_fma_f64 v[38:39], v[40:41], v[22:23], v[38:39]
	v_fma_f64 v[40:41], -v[38:39], v[38:39], v[18:19]
	v_fma_f64 v[22:23], v[40:41], v[22:23], v[38:39]
	v_ldexp_f64 v[22:23], v[22:23], v8
	v_cndmask_b32_e32 v19, v23, v19, vcc
	v_cndmask_b32_e32 v18, v22, v18, vcc
	v_mul_f64 v[22:23], v[20:21], v[18:19]
.LBB48_21:                              ;   in Loop: Header=BB48_9 Depth=3
	s_or_b64 exec, exec, s[54:55]
                                        ; implicit-def: $vgpr18_vgpr19
                                        ; implicit-def: $vgpr20_vgpr21
.LBB48_22:                              ;   in Loop: Header=BB48_9 Depth=3
	s_andn2_saveexec_b64 s[52:53], s[52:53]
	s_cbranch_execz .LBB48_24
; %bb.23:                               ;   in Loop: Header=BB48_9 Depth=3
	v_div_scale_f64 v[22:23], s[54:55], v[18:19], v[18:19], v[20:21]
	v_rcp_f64_e32 v[38:39], v[22:23]
	v_fma_f64 v[40:41], -v[22:23], v[38:39], 1.0
	v_fma_f64 v[38:39], v[38:39], v[40:41], v[38:39]
	v_div_scale_f64 v[40:41], vcc, v[20:21], v[18:19], v[20:21]
	v_fma_f64 v[42:43], -v[22:23], v[38:39], 1.0
	v_fma_f64 v[38:39], v[38:39], v[42:43], v[38:39]
	v_mul_f64 v[42:43], v[40:41], v[38:39]
	v_fma_f64 v[22:23], -v[22:23], v[42:43], v[40:41]
	v_div_fmas_f64 v[22:23], v[22:23], v[38:39], v[42:43]
	v_div_fixup_f64 v[20:21], v[22:23], v[18:19], v[20:21]
	v_fma_f64 v[20:21], v[20:21], v[20:21], 1.0
	v_cmp_gt_f64_e32 vcc, s[44:45], v[20:21]
	v_cndmask_b32_e32 v8, 0, v29, vcc
	v_ldexp_f64 v[20:21], v[20:21], v8
	v_cndmask_b32_e32 v8, 0, v30, vcc
	v_rsq_f64_e32 v[22:23], v[20:21]
	v_cmp_class_f64_e32 vcc, v[20:21], v28
	v_mul_f64 v[38:39], v[20:21], v[22:23]
	v_mul_f64 v[22:23], v[22:23], 0.5
	v_fma_f64 v[40:41], -v[22:23], v[38:39], 0.5
	v_fma_f64 v[38:39], v[38:39], v[40:41], v[38:39]
	v_fma_f64 v[22:23], v[22:23], v[40:41], v[22:23]
	v_fma_f64 v[40:41], -v[38:39], v[38:39], v[20:21]
	v_fma_f64 v[38:39], v[40:41], v[22:23], v[38:39]
	v_fma_f64 v[40:41], -v[38:39], v[38:39], v[20:21]
	v_fma_f64 v[22:23], v[40:41], v[22:23], v[38:39]
	v_ldexp_f64 v[22:23], v[22:23], v8
	v_cndmask_b32_e32 v21, v23, v21, vcc
	v_cndmask_b32_e32 v20, v22, v20, vcc
	v_mul_f64 v[22:23], v[18:19], v[20:21]
.LBB48_24:                              ;   in Loop: Header=BB48_9 Depth=3
	s_or_b64 exec, exec, s[52:53]
	v_cmp_lt_f64_e32 vcc, 0, v[22:23]
	v_mov_b32_e32 v18, 0
	v_mov_b32_e32 v20, 0
	;; [unrolled: 1-line block ×4, first 2 shown]
	s_and_saveexec_b64 s[52:53], vcc
	s_cbranch_execz .LBB48_26
; %bb.25:                               ;   in Loop: Header=BB48_9 Depth=3
	v_mul_f64 v[18:19], v[2:3], v[2:3]
	v_fma_f64 v[18:19], v[0:1], v[0:1], v[18:19]
	v_div_scale_f64 v[20:21], s[54:55], v[18:19], v[18:19], 1.0
	v_rcp_f64_e32 v[22:23], v[20:21]
	v_fma_f64 v[38:39], -v[20:21], v[22:23], 1.0
	v_fma_f64 v[22:23], v[22:23], v[38:39], v[22:23]
	v_div_scale_f64 v[38:39], vcc, 1.0, v[18:19], 1.0
	v_fma_f64 v[40:41], -v[20:21], v[22:23], 1.0
	v_fma_f64 v[22:23], v[22:23], v[40:41], v[22:23]
	v_mul_f64 v[40:41], v[38:39], v[22:23]
	v_fma_f64 v[20:21], -v[20:21], v[40:41], v[38:39]
	v_div_fmas_f64 v[20:21], v[20:21], v[22:23], v[40:41]
	v_mul_f64 v[22:23], v[10:11], v[2:3]
	v_mul_f64 v[2:3], v[2:3], -v[16:17]
	v_fma_f64 v[16:17], v[16:17], v[0:1], v[22:23]
	v_fma_f64 v[0:1], v[10:11], v[0:1], v[2:3]
	v_div_fixup_f64 v[20:21], v[20:21], v[18:19], 1.0
	v_mul_f64 v[18:19], v[16:17], v[20:21]
	v_mul_f64 v[20:21], v[0:1], v[20:21]
.LBB48_26:                              ;   in Loop: Header=BB48_9 Depth=3
	s_or_b64 exec, exec, s[52:53]
	v_mov_b32_e32 v16, v18
	v_mov_b32_e32 v10, v20
	;; [unrolled: 1-line block ×4, first 2 shown]
.LBB48_27:                              ;   in Loop: Header=BB48_9 Depth=3
	s_or_b64 exec, exec, s[50:51]
	v_cmp_gt_f64_e32 vcc, 0, v[16:17]
	v_xor_b32_e32 v0, 0x80000000, v17
	v_xor_b32_e32 v2, 0x80000000, v11
                                        ; implicit-def: $vgpr18_vgpr19
	v_cndmask_b32_e32 v1, v17, v0, vcc
	v_cmp_gt_f64_e32 vcc, 0, v[10:11]
	v_mov_b32_e32 v0, v16
	v_cndmask_b32_e32 v3, v11, v2, vcc
	v_mov_b32_e32 v2, v10
	v_cmp_ngt_f64_e32 vcc, v[0:1], v[2:3]
	s_and_saveexec_b64 s[50:51], vcc
	s_xor_b64 s[50:51], exec, s[50:51]
	s_cbranch_execnz .LBB48_30
; %bb.28:                               ;   in Loop: Header=BB48_9 Depth=3
	s_andn2_saveexec_b64 s[50:51], s[50:51]
	s_cbranch_execnz .LBB48_33
.LBB48_29:                              ;   in Loop: Header=BB48_9 Depth=3
	s_or_b64 exec, exec, s[50:51]
	v_cmp_class_f64_e64 s[52:53], v[18:19], s72
	s_and_saveexec_b64 s[50:51], s[52:53]
	s_cbranch_execz .LBB48_8
	s_branch .LBB48_34
.LBB48_30:                              ;   in Loop: Header=BB48_9 Depth=3
	v_cmp_neq_f64_e32 vcc, 0, v[10:11]
	v_mov_b32_e32 v18, 0
	v_mov_b32_e32 v19, 0
	s_and_saveexec_b64 s[52:53], vcc
	s_cbranch_execz .LBB48_32
; %bb.31:                               ;   in Loop: Header=BB48_9 Depth=3
	v_div_scale_f64 v[18:19], s[54:55], v[2:3], v[2:3], v[0:1]
	v_rcp_f64_e32 v[20:21], v[18:19]
	v_fma_f64 v[22:23], -v[18:19], v[20:21], 1.0
	v_fma_f64 v[20:21], v[20:21], v[22:23], v[20:21]
	v_div_scale_f64 v[22:23], vcc, v[0:1], v[2:3], v[0:1]
	v_fma_f64 v[38:39], -v[18:19], v[20:21], 1.0
	v_fma_f64 v[20:21], v[20:21], v[38:39], v[20:21]
	v_mul_f64 v[38:39], v[22:23], v[20:21]
	v_fma_f64 v[18:19], -v[18:19], v[38:39], v[22:23]
	v_div_fmas_f64 v[18:19], v[18:19], v[20:21], v[38:39]
	v_div_fixup_f64 v[0:1], v[18:19], v[2:3], v[0:1]
	v_fma_f64 v[0:1], v[0:1], v[0:1], 1.0
	v_cmp_gt_f64_e32 vcc, s[44:45], v[0:1]
	v_cndmask_b32_e32 v8, 0, v29, vcc
	v_ldexp_f64 v[0:1], v[0:1], v8
	v_cndmask_b32_e32 v8, 0, v30, vcc
	v_rsq_f64_e32 v[18:19], v[0:1]
	v_cmp_class_f64_e32 vcc, v[0:1], v28
	v_mul_f64 v[20:21], v[0:1], v[18:19]
	v_mul_f64 v[18:19], v[18:19], 0.5
	v_fma_f64 v[22:23], -v[18:19], v[20:21], 0.5
	v_fma_f64 v[20:21], v[20:21], v[22:23], v[20:21]
	v_fma_f64 v[18:19], v[18:19], v[22:23], v[18:19]
	v_fma_f64 v[22:23], -v[20:21], v[20:21], v[0:1]
	v_fma_f64 v[20:21], v[22:23], v[18:19], v[20:21]
	v_fma_f64 v[22:23], -v[20:21], v[20:21], v[0:1]
	v_fma_f64 v[18:19], v[22:23], v[18:19], v[20:21]
	v_ldexp_f64 v[18:19], v[18:19], v8
	v_cndmask_b32_e32 v1, v19, v1, vcc
	v_cndmask_b32_e32 v0, v18, v0, vcc
	v_mul_f64 v[18:19], v[2:3], v[0:1]
.LBB48_32:                              ;   in Loop: Header=BB48_9 Depth=3
	s_or_b64 exec, exec, s[52:53]
                                        ; implicit-def: $vgpr0_vgpr1
                                        ; implicit-def: $vgpr2_vgpr3
	s_andn2_saveexec_b64 s[50:51], s[50:51]
	s_cbranch_execz .LBB48_29
.LBB48_33:                              ;   in Loop: Header=BB48_9 Depth=3
	v_div_scale_f64 v[18:19], s[52:53], v[0:1], v[0:1], v[2:3]
	v_rcp_f64_e32 v[20:21], v[18:19]
	v_fma_f64 v[22:23], -v[18:19], v[20:21], 1.0
	v_fma_f64 v[20:21], v[20:21], v[22:23], v[20:21]
	v_div_scale_f64 v[22:23], vcc, v[2:3], v[0:1], v[2:3]
	v_fma_f64 v[38:39], -v[18:19], v[20:21], 1.0
	v_fma_f64 v[20:21], v[20:21], v[38:39], v[20:21]
	v_mul_f64 v[38:39], v[22:23], v[20:21]
	v_fma_f64 v[18:19], -v[18:19], v[38:39], v[22:23]
	v_div_fmas_f64 v[18:19], v[18:19], v[20:21], v[38:39]
	v_div_fixup_f64 v[2:3], v[18:19], v[0:1], v[2:3]
	v_fma_f64 v[2:3], v[2:3], v[2:3], 1.0
	v_cmp_gt_f64_e32 vcc, s[44:45], v[2:3]
	v_cndmask_b32_e32 v8, 0, v29, vcc
	v_ldexp_f64 v[2:3], v[2:3], v8
	v_cndmask_b32_e32 v8, 0, v30, vcc
	v_rsq_f64_e32 v[18:19], v[2:3]
	v_cmp_class_f64_e32 vcc, v[2:3], v28
	v_mul_f64 v[20:21], v[2:3], v[18:19]
	v_mul_f64 v[18:19], v[18:19], 0.5
	v_fma_f64 v[22:23], -v[18:19], v[20:21], 0.5
	v_fma_f64 v[20:21], v[20:21], v[22:23], v[20:21]
	v_fma_f64 v[18:19], v[18:19], v[22:23], v[18:19]
	v_fma_f64 v[22:23], -v[20:21], v[20:21], v[2:3]
	v_fma_f64 v[20:21], v[22:23], v[18:19], v[20:21]
	v_fma_f64 v[22:23], -v[20:21], v[20:21], v[2:3]
	v_fma_f64 v[18:19], v[22:23], v[18:19], v[20:21]
	v_ldexp_f64 v[18:19], v[18:19], v8
	v_cndmask_b32_e32 v3, v19, v3, vcc
	v_cndmask_b32_e32 v2, v18, v2, vcc
	v_mul_f64 v[18:19], v[0:1], v[2:3]
	s_or_b64 exec, exec, s[50:51]
	v_cmp_class_f64_e64 s[52:53], v[18:19], s72
	s_and_saveexec_b64 s[50:51], s[52:53]
	s_cbranch_execz .LBB48_8
.LBB48_34:                              ;   in Loop: Header=BB48_9 Depth=3
	s_mov_b64 s[52:53], 0
                                        ; implicit-def: $vgpr0_vgpr1
	s_and_saveexec_b64 s[54:55], s[6:7]
	s_xor_b64 s[6:7], exec, s[54:55]
	s_cbranch_execnz .LBB48_37
; %bb.35:                               ;   in Loop: Header=BB48_9 Depth=3
	s_andn2_saveexec_b64 s[6:7], s[6:7]
	s_cbranch_execnz .LBB48_50
.LBB48_36:                              ;   in Loop: Header=BB48_9 Depth=3
	s_or_b64 exec, exec, s[6:7]
	s_and_b64 exec, exec, s[52:53]
	s_cbranch_execz .LBB48_8
	s_branch .LBB48_59
.LBB48_37:                              ;   in Loop: Header=BB48_9 Depth=3
	v_cmp_ge_i32_e32 vcc, v6, v12
                                        ; implicit-def: $vgpr0_vgpr1
	s_and_saveexec_b64 s[54:55], vcc
	s_xor_b64 s[54:55], exec, s[54:55]
	s_cbranch_execz .LBB48_39
; %bb.38:                               ;   in Loop: Header=BB48_9 Depth=3
	v_lshlrev_b64 v[0:1], 4, v[12:13]
	v_mov_b32_e32 v2, s39
	v_add_co_u32_e32 v0, vcc, s38, v0
	v_addc_co_u32_e32 v1, vcc, v2, v1, vcc
	s_mov_b64 s[52:53], exec
	global_store_dwordx2 v[0:1], v[16:17], off
                                        ; implicit-def: $vgpr15
                                        ; implicit-def: $vgpr37
                                        ; implicit-def: $vgpr16_vgpr17
                                        ; implicit-def: $vgpr14
.LBB48_39:                              ;   in Loop: Header=BB48_9 Depth=3
	s_andn2_saveexec_b64 s[54:55], s[54:55]
	s_cbranch_execz .LBB48_49
; %bb.40:                               ;   in Loop: Header=BB48_9 Depth=3
	v_cmp_lt_i32_e32 vcc, v15, v37
	s_mov_b64 s[58:59], s[52:53]
                                        ; implicit-def: $vgpr0_vgpr1
	s_and_saveexec_b64 s[56:57], vcc
	s_cbranch_execz .LBB48_48
; %bb.41:                               ;   in Loop: Header=BB48_9 Depth=3
	s_mov_b64 s[60:61], 0
                                        ; implicit-def: $sgpr58_sgpr59
                                        ; implicit-def: $sgpr64_sgpr65
                                        ; implicit-def: $sgpr62_sgpr63
	s_branch .LBB48_43
.LBB48_42:                              ;   in Loop: Header=BB48_43 Depth=4
	s_or_b64 exec, exec, s[66:67]
	s_and_b64 s[66:67], exec, s[64:65]
	s_or_b64 s[60:61], s[66:67], s[60:61]
	s_andn2_b64 s[58:59], s[58:59], exec
	s_and_b64 s[66:67], s[62:63], exec
	s_or_b64 s[58:59], s[58:59], s[66:67]
	s_andn2_b64 exec, exec, s[60:61]
	s_cbranch_execz .LBB48_45
.LBB48_43:                              ;   Parent Loop BB48_3 Depth=1
                                        ;     Parent Loop BB48_5 Depth=2
                                        ;       Parent Loop BB48_9 Depth=3
                                        ; =>      This Inner Loop Header: Depth=4
	v_add_u32_e32 v2, v14, v15
	v_ashrrev_i32_e32 v3, 31, v2
	v_lshlrev_b64 v[0:1], 2, v[2:3]
	v_mov_b32_e32 v4, s13
	v_add_co_u32_e32 v0, vcc, s12, v0
	v_addc_co_u32_e32 v1, vcc, v4, v1, vcc
	global_load_dword v0, v[0:1], off
	s_or_b64 s[62:63], s[62:63], exec
	s_or_b64 s[64:65], s[64:65], exec
	s_waitcnt vmcnt(0)
	v_subrev_u32_e32 v0, s70, v0
	v_cmp_ne_u32_e32 vcc, v0, v6
	s_and_saveexec_b64 s[66:67], vcc
	s_cbranch_execz .LBB48_42
; %bb.44:                               ;   in Loop: Header=BB48_43 Depth=4
	v_add_u32_e32 v15, 1, v15
	v_cmp_ge_i32_e32 vcc, v15, v37
	s_andn2_b64 s[64:65], s[64:65], exec
	s_and_b64 s[74:75], vcc, exec
	s_andn2_b64 s[62:63], s[62:63], exec
	s_or_b64 s[64:65], s[64:65], s[74:75]
	s_branch .LBB48_42
.LBB48_45:                              ;   in Loop: Header=BB48_9 Depth=3
	s_or_b64 exec, exec, s[60:61]
	s_mov_b64 s[60:61], s[52:53]
                                        ; implicit-def: $vgpr0_vgpr1
	s_and_saveexec_b64 s[62:63], s[58:59]
	s_xor_b64 s[58:59], exec, s[62:63]
	s_cbranch_execz .LBB48_47
; %bb.46:                               ;   in Loop: Header=BB48_9 Depth=3
	v_lshlrev_b64 v[0:1], 4, v[2:3]
	v_mov_b32_e32 v2, s43
	v_add_co_u32_e32 v0, vcc, s42, v0
	v_addc_co_u32_e32 v1, vcc, v2, v1, vcc
	s_or_b64 s[60:61], s[52:53], exec
	global_store_dwordx2 v[0:1], v[16:17], off
.LBB48_47:                              ;   in Loop: Header=BB48_9 Depth=3
	s_or_b64 exec, exec, s[58:59]
	s_andn2_b64 s[58:59], s[52:53], exec
	s_and_b64 s[60:61], s[60:61], exec
	s_or_b64 s[58:59], s[58:59], s[60:61]
.LBB48_48:                              ;   in Loop: Header=BB48_9 Depth=3
	s_or_b64 exec, exec, s[56:57]
	s_andn2_b64 s[52:53], s[52:53], exec
	s_and_b64 s[56:57], s[58:59], exec
	s_or_b64 s[52:53], s[52:53], s[56:57]
.LBB48_49:                              ;   in Loop: Header=BB48_9 Depth=3
	s_or_b64 exec, exec, s[54:55]
	s_and_b64 s[52:53], s[52:53], exec
                                        ; implicit-def: $vgpr16_vgpr17
                                        ; implicit-def: $vgpr12_vgpr13
	s_andn2_saveexec_b64 s[6:7], s[6:7]
	s_cbranch_execz .LBB48_36
.LBB48_50:                              ;   in Loop: Header=BB48_9 Depth=3
	v_cmp_lt_i32_e32 vcc, v4, v32
	s_mov_b64 s[56:57], s[52:53]
                                        ; implicit-def: $vgpr0_vgpr1
	s_and_saveexec_b64 s[54:55], vcc
	s_cbranch_execz .LBB48_58
; %bb.51:                               ;   in Loop: Header=BB48_9 Depth=3
	s_mov_b64 s[58:59], 0
                                        ; implicit-def: $sgpr56_sgpr57
                                        ; implicit-def: $sgpr62_sgpr63
                                        ; implicit-def: $sgpr60_sgpr61
	s_branch .LBB48_53
.LBB48_52:                              ;   in Loop: Header=BB48_53 Depth=4
	s_or_b64 exec, exec, s[64:65]
	s_and_b64 s[64:65], exec, s[62:63]
	s_or_b64 s[58:59], s[64:65], s[58:59]
	s_andn2_b64 s[56:57], s[56:57], exec
	s_and_b64 s[64:65], s[60:61], exec
	s_or_b64 s[56:57], s[56:57], s[64:65]
	s_andn2_b64 exec, exec, s[58:59]
	s_cbranch_execz .LBB48_55
.LBB48_53:                              ;   Parent Loop BB48_3 Depth=1
                                        ;     Parent Loop BB48_5 Depth=2
                                        ;       Parent Loop BB48_9 Depth=3
                                        ; =>      This Inner Loop Header: Depth=4
	v_add_u32_e32 v2, v9, v4
	v_ashrrev_i32_e32 v3, 31, v2
	v_lshlrev_b64 v[0:1], 2, v[2:3]
	v_mov_b32_e32 v8, s21
	v_add_co_u32_e32 v0, vcc, s20, v0
	v_addc_co_u32_e32 v1, vcc, v8, v1, vcc
	global_load_dword v0, v[0:1], off
	s_or_b64 s[60:61], s[60:61], exec
	s_or_b64 s[62:63], s[62:63], exec
	s_waitcnt vmcnt(0)
	v_subrev_u32_e32 v0, s69, v0
	v_cmp_ne_u32_e32 vcc, v0, v12
	s_and_saveexec_b64 s[64:65], vcc
	s_cbranch_execz .LBB48_52
; %bb.54:                               ;   in Loop: Header=BB48_53 Depth=4
	v_add_u32_e32 v4, 1, v4
	v_cmp_ge_i32_e32 vcc, v4, v32
	s_andn2_b64 s[62:63], s[62:63], exec
	s_and_b64 s[66:67], vcc, exec
	s_andn2_b64 s[60:61], s[60:61], exec
	s_or_b64 s[62:63], s[62:63], s[66:67]
	s_branch .LBB48_52
.LBB48_55:                              ;   in Loop: Header=BB48_9 Depth=3
	s_or_b64 exec, exec, s[58:59]
	s_mov_b64 s[58:59], s[52:53]
                                        ; implicit-def: $vgpr0_vgpr1
	s_and_saveexec_b64 s[60:61], s[56:57]
	s_xor_b64 s[56:57], exec, s[60:61]
	s_cbranch_execz .LBB48_57
; %bb.56:                               ;   in Loop: Header=BB48_9 Depth=3
	v_lshlrev_b64 v[0:1], 4, v[2:3]
	v_mov_b32_e32 v2, s41
	v_add_co_u32_e32 v0, vcc, s40, v0
	v_addc_co_u32_e32 v1, vcc, v2, v1, vcc
	s_or_b64 s[58:59], s[52:53], exec
	global_store_dwordx2 v[0:1], v[16:17], off
.LBB48_57:                              ;   in Loop: Header=BB48_9 Depth=3
	s_or_b64 exec, exec, s[56:57]
	s_andn2_b64 s[56:57], s[52:53], exec
	s_and_b64 s[58:59], s[58:59], exec
	s_or_b64 s[56:57], s[56:57], s[58:59]
.LBB48_58:                              ;   in Loop: Header=BB48_9 Depth=3
	s_or_b64 exec, exec, s[54:55]
	s_andn2_b64 s[52:53], s[52:53], exec
	s_and_b64 s[54:55], s[56:57], exec
	s_or_b64 s[52:53], s[52:53], s[54:55]
	s_or_b64 exec, exec, s[6:7]
	s_and_b64 exec, exec, s[52:53]
	s_cbranch_execz .LBB48_8
.LBB48_59:                              ;   in Loop: Header=BB48_9 Depth=3
	global_store_dwordx2 v[0:1], v[10:11], off offset:8
	s_branch .LBB48_8
.LBB48_60:                              ;   in Loop: Header=BB48_3 Depth=1
	s_and_saveexec_b64 s[4:5], s[0:1]
	s_cbranch_execz .LBB48_2
; %bb.61:                               ;   in Loop: Header=BB48_3 Depth=1
	s_mov_b64 s[6:7], 0
	v_mov_b32_e32 v0, v24
	s_branch .LBB48_63
.LBB48_62:                              ;   in Loop: Header=BB48_63 Depth=2
	s_or_b64 exec, exec, s[46:47]
	v_add_u32_e32 v0, 16, v0
	v_cmp_le_u32_e32 vcc, s71, v0
	s_or_b64 s[6:7], vcc, s[6:7]
	s_andn2_b64 exec, exec, s[6:7]
	s_cbranch_execz .LBB48_2
.LBB48_63:                              ;   Parent Loop BB48_3 Depth=1
                                        ; =>  This Loop Header: Depth=2
                                        ;       Child Loop BB48_66 Depth 3
                                        ;       Child Loop BB48_69 Depth 3
	v_cmp_gt_i32_e32 vcc, s35, v0
	s_and_saveexec_b64 s[46:47], vcc
	s_cbranch_execz .LBB48_62
; %bb.64:                               ;   in Loop: Header=BB48_63 Depth=2
	v_ashrrev_i32_e32 v1, 31, v0
	v_lshlrev_b64 v[2:3], 2, v[0:1]
	v_mov_b32_e32 v4, s17
	v_add_co_u32_e32 v6, vcc, s16, v2
	v_addc_co_u32_e32 v7, vcc, v4, v3, vcc
	global_load_dword v4, v[6:7], off
	v_mov_b32_e32 v7, s19
	v_add_co_u32_e32 v6, vcc, s18, v2
	v_addc_co_u32_e32 v7, vcc, v7, v3, vcc
	global_load_dword v7, v[6:7], off
	s_waitcnt vmcnt(1)
	v_add_u32_e32 v6, v26, v4
	s_waitcnt vmcnt(0)
	v_subrev_u32_e32 v4, s69, v7
	v_cmp_lt_i32_e32 vcc, v6, v4
	s_and_saveexec_b64 s[48:49], vcc
	s_cbranch_execz .LBB48_67
; %bb.65:                               ;   in Loop: Header=BB48_63 Depth=2
	v_ashrrev_i32_e32 v7, 31, v6
	v_lshlrev_b64 v[9:10], 4, v[6:7]
	v_mov_b32_e32 v8, s23
	v_add_co_u32_e32 v7, vcc, s22, v9
	v_addc_co_u32_e32 v8, vcc, v8, v10, vcc
	v_mov_b32_e32 v11, s41
	v_add_co_u32_e32 v9, vcc, s40, v9
	v_addc_co_u32_e32 v10, vcc, v11, v10, vcc
	s_mov_b64 s[50:51], 0
.LBB48_66:                              ;   Parent Loop BB48_3 Depth=1
                                        ;     Parent Loop BB48_63 Depth=2
                                        ; =>    This Inner Loop Header: Depth=3
	global_load_dwordx4 v[11:14], v[9:10], off
	v_add_u32_e32 v6, 64, v6
	v_cmp_ge_i32_e32 vcc, v6, v4
	s_or_b64 s[50:51], vcc, s[50:51]
	s_waitcnt vmcnt(0)
	global_store_dwordx4 v[7:8], v[11:14], off
	v_add_co_u32_e32 v7, vcc, 0x400, v7
	v_addc_co_u32_e32 v8, vcc, 0, v8, vcc
	v_add_co_u32_e32 v9, vcc, 0x400, v9
	v_addc_co_u32_e32 v10, vcc, 0, v10, vcc
	s_andn2_b64 exec, exec, s[50:51]
	s_cbranch_execnz .LBB48_66
.LBB48_67:                              ;   in Loop: Header=BB48_63 Depth=2
	s_or_b64 exec, exec, s[48:49]
	v_mov_b32_e32 v4, s9
	v_add_co_u32_e32 v6, vcc, s8, v2
	v_addc_co_u32_e32 v7, vcc, v4, v3, vcc
	global_load_dword v4, v[6:7], off
	v_mov_b32_e32 v6, s11
	v_add_co_u32_e32 v2, vcc, s10, v2
	v_addc_co_u32_e32 v3, vcc, v6, v3, vcc
	global_load_dword v3, v[2:3], off
	s_waitcnt vmcnt(1)
	v_add_u32_e32 v2, v27, v4
	s_waitcnt vmcnt(0)
	v_subrev_u32_e32 v8, s70, v3
	v_cmp_lt_i32_e32 vcc, v2, v8
	s_and_saveexec_b64 s[48:49], vcc
	s_cbranch_execz .LBB48_70
; %bb.68:                               ;   in Loop: Header=BB48_63 Depth=2
	v_ashrrev_i32_e32 v3, 31, v2
	v_lshlrev_b64 v[6:7], 4, v[2:3]
	v_mov_b32_e32 v4, s15
	v_add_co_u32_e32 v3, vcc, s14, v6
	v_addc_co_u32_e32 v4, vcc, v4, v7, vcc
	v_mov_b32_e32 v9, s43
	v_add_co_u32_e32 v6, vcc, s42, v6
	v_addc_co_u32_e32 v7, vcc, v9, v7, vcc
	s_mov_b64 s[50:51], 0
.LBB48_69:                              ;   Parent Loop BB48_3 Depth=1
                                        ;     Parent Loop BB48_63 Depth=2
                                        ; =>    This Inner Loop Header: Depth=3
	global_load_dwordx4 v[9:12], v[6:7], off
	v_add_u32_e32 v2, 64, v2
	v_cmp_ge_i32_e32 vcc, v2, v8
	s_or_b64 s[50:51], vcc, s[50:51]
	s_waitcnt vmcnt(0)
	global_store_dwordx4 v[3:4], v[9:12], off
	v_add_co_u32_e32 v3, vcc, 0x400, v3
	v_addc_co_u32_e32 v4, vcc, 0, v4, vcc
	v_add_co_u32_e32 v6, vcc, 0x400, v6
	v_addc_co_u32_e32 v7, vcc, 0, v7, vcc
	s_andn2_b64 exec, exec, s[50:51]
	s_cbranch_execnz .LBB48_69
.LBB48_70:                              ;   in Loop: Header=BB48_63 Depth=2
	s_or_b64 exec, exec, s[48:49]
	s_and_b64 exec, exec, s[2:3]
	s_cbranch_execz .LBB48_62
; %bb.71:                               ;   in Loop: Header=BB48_63 Depth=2
	v_lshlrev_b64 v[6:7], 4, v[0:1]
	v_mov_b32_e32 v2, s39
	v_add_co_u32_e32 v1, vcc, s38, v6
	v_addc_co_u32_e32 v2, vcc, v2, v7, vcc
	global_load_dwordx4 v[1:4], v[1:2], off
	v_mov_b32_e32 v8, s37
	v_add_co_u32_e32 v6, vcc, s36, v6
	v_addc_co_u32_e32 v7, vcc, v8, v7, vcc
	s_waitcnt vmcnt(0)
	global_store_dwordx4 v[6:7], v[1:4], off
	s_branch .LBB48_62
.LBB48_72:
	s_endpgm
	.section	.rodata,"a",@progbits
	.p2align	6, 0x0
	.amdhsa_kernel _ZN9rocsparseL14kernel_freerunILi1024ELi64E21rocsparse_complex_numIdEiiEEvT3_S3_T2_PKS4_S6_PKS3_PKT1_21rocsparse_index_base_S6_S6_S8_PS9_SD_SC_S6_S6_S8_SD_SD_SC_SD_SD_
		.amdhsa_group_segment_fixed_size 0
		.amdhsa_private_segment_fixed_size 0
		.amdhsa_kernarg_size 168
		.amdhsa_user_sgpr_count 6
		.amdhsa_user_sgpr_private_segment_buffer 1
		.amdhsa_user_sgpr_dispatch_ptr 0
		.amdhsa_user_sgpr_queue_ptr 0
		.amdhsa_user_sgpr_kernarg_segment_ptr 1
		.amdhsa_user_sgpr_dispatch_id 0
		.amdhsa_user_sgpr_flat_scratch_init 0
		.amdhsa_user_sgpr_private_segment_size 0
		.amdhsa_uses_dynamic_stack 0
		.amdhsa_system_sgpr_private_segment_wavefront_offset 0
		.amdhsa_system_sgpr_workgroup_id_x 1
		.amdhsa_system_sgpr_workgroup_id_y 0
		.amdhsa_system_sgpr_workgroup_id_z 0
		.amdhsa_system_sgpr_workgroup_info 0
		.amdhsa_system_vgpr_workitem_id 0
		.amdhsa_next_free_vgpr 46
		.amdhsa_next_free_sgpr 76
		.amdhsa_reserve_vcc 1
		.amdhsa_reserve_flat_scratch 0
		.amdhsa_float_round_mode_32 0
		.amdhsa_float_round_mode_16_64 0
		.amdhsa_float_denorm_mode_32 3
		.amdhsa_float_denorm_mode_16_64 3
		.amdhsa_dx10_clamp 1
		.amdhsa_ieee_mode 1
		.amdhsa_fp16_overflow 0
		.amdhsa_exception_fp_ieee_invalid_op 0
		.amdhsa_exception_fp_denorm_src 0
		.amdhsa_exception_fp_ieee_div_zero 0
		.amdhsa_exception_fp_ieee_overflow 0
		.amdhsa_exception_fp_ieee_underflow 0
		.amdhsa_exception_fp_ieee_inexact 0
		.amdhsa_exception_int_div_zero 0
	.end_amdhsa_kernel
	.section	.text._ZN9rocsparseL14kernel_freerunILi1024ELi64E21rocsparse_complex_numIdEiiEEvT3_S3_T2_PKS4_S6_PKS3_PKT1_21rocsparse_index_base_S6_S6_S8_PS9_SD_SC_S6_S6_S8_SD_SD_SC_SD_SD_,"axG",@progbits,_ZN9rocsparseL14kernel_freerunILi1024ELi64E21rocsparse_complex_numIdEiiEEvT3_S3_T2_PKS4_S6_PKS3_PKT1_21rocsparse_index_base_S6_S6_S8_PS9_SD_SC_S6_S6_S8_SD_SD_SC_SD_SD_,comdat
.Lfunc_end48:
	.size	_ZN9rocsparseL14kernel_freerunILi1024ELi64E21rocsparse_complex_numIdEiiEEvT3_S3_T2_PKS4_S6_PKS3_PKT1_21rocsparse_index_base_S6_S6_S8_PS9_SD_SC_S6_S6_S8_SD_SD_SC_SD_SD_, .Lfunc_end48-_ZN9rocsparseL14kernel_freerunILi1024ELi64E21rocsparse_complex_numIdEiiEEvT3_S3_T2_PKS4_S6_PKS3_PKT1_21rocsparse_index_base_S6_S6_S8_PS9_SD_SC_S6_S6_S8_SD_SD_SC_SD_SD_
                                        ; -- End function
	.set _ZN9rocsparseL14kernel_freerunILi1024ELi64E21rocsparse_complex_numIdEiiEEvT3_S3_T2_PKS4_S6_PKS3_PKT1_21rocsparse_index_base_S6_S6_S8_PS9_SD_SC_S6_S6_S8_SD_SD_SC_SD_SD_.num_vgpr, 46
	.set _ZN9rocsparseL14kernel_freerunILi1024ELi64E21rocsparse_complex_numIdEiiEEvT3_S3_T2_PKS4_S6_PKS3_PKT1_21rocsparse_index_base_S6_S6_S8_PS9_SD_SC_S6_S6_S8_SD_SD_SC_SD_SD_.num_agpr, 0
	.set _ZN9rocsparseL14kernel_freerunILi1024ELi64E21rocsparse_complex_numIdEiiEEvT3_S3_T2_PKS4_S6_PKS3_PKT1_21rocsparse_index_base_S6_S6_S8_PS9_SD_SC_S6_S6_S8_SD_SD_SC_SD_SD_.numbered_sgpr, 76
	.set _ZN9rocsparseL14kernel_freerunILi1024ELi64E21rocsparse_complex_numIdEiiEEvT3_S3_T2_PKS4_S6_PKS3_PKT1_21rocsparse_index_base_S6_S6_S8_PS9_SD_SC_S6_S6_S8_SD_SD_SC_SD_SD_.num_named_barrier, 0
	.set _ZN9rocsparseL14kernel_freerunILi1024ELi64E21rocsparse_complex_numIdEiiEEvT3_S3_T2_PKS4_S6_PKS3_PKT1_21rocsparse_index_base_S6_S6_S8_PS9_SD_SC_S6_S6_S8_SD_SD_SC_SD_SD_.private_seg_size, 0
	.set _ZN9rocsparseL14kernel_freerunILi1024ELi64E21rocsparse_complex_numIdEiiEEvT3_S3_T2_PKS4_S6_PKS3_PKT1_21rocsparse_index_base_S6_S6_S8_PS9_SD_SC_S6_S6_S8_SD_SD_SC_SD_SD_.uses_vcc, 1
	.set _ZN9rocsparseL14kernel_freerunILi1024ELi64E21rocsparse_complex_numIdEiiEEvT3_S3_T2_PKS4_S6_PKS3_PKT1_21rocsparse_index_base_S6_S6_S8_PS9_SD_SC_S6_S6_S8_SD_SD_SC_SD_SD_.uses_flat_scratch, 0
	.set _ZN9rocsparseL14kernel_freerunILi1024ELi64E21rocsparse_complex_numIdEiiEEvT3_S3_T2_PKS4_S6_PKS3_PKT1_21rocsparse_index_base_S6_S6_S8_PS9_SD_SC_S6_S6_S8_SD_SD_SC_SD_SD_.has_dyn_sized_stack, 0
	.set _ZN9rocsparseL14kernel_freerunILi1024ELi64E21rocsparse_complex_numIdEiiEEvT3_S3_T2_PKS4_S6_PKS3_PKT1_21rocsparse_index_base_S6_S6_S8_PS9_SD_SC_S6_S6_S8_SD_SD_SC_SD_SD_.has_recursion, 0
	.set _ZN9rocsparseL14kernel_freerunILi1024ELi64E21rocsparse_complex_numIdEiiEEvT3_S3_T2_PKS4_S6_PKS3_PKT1_21rocsparse_index_base_S6_S6_S8_PS9_SD_SC_S6_S6_S8_SD_SD_SC_SD_SD_.has_indirect_call, 0
	.section	.AMDGPU.csdata,"",@progbits
; Kernel info:
; codeLenInByte = 3440
; TotalNumSgprs: 80
; NumVgprs: 46
; ScratchSize: 0
; MemoryBound: 1
; FloatMode: 240
; IeeeMode: 1
; LDSByteSize: 0 bytes/workgroup (compile time only)
; SGPRBlocks: 9
; VGPRBlocks: 11
; NumSGPRsForWavesPerEU: 80
; NumVGPRsForWavesPerEU: 46
; Occupancy: 5
; WaveLimiterHint : 1
; COMPUTE_PGM_RSRC2:SCRATCH_EN: 0
; COMPUTE_PGM_RSRC2:USER_SGPR: 6
; COMPUTE_PGM_RSRC2:TRAP_HANDLER: 0
; COMPUTE_PGM_RSRC2:TGID_X_EN: 1
; COMPUTE_PGM_RSRC2:TGID_Y_EN: 0
; COMPUTE_PGM_RSRC2:TGID_Z_EN: 0
; COMPUTE_PGM_RSRC2:TIDIG_COMP_CNT: 0
	.section	.text._ZN9rocsparseL6kernelILi1024ELi1E21rocsparse_complex_numIdEiiEEvbbbT3_PS3_NS_15floating_traitsIT1_E6data_tES3_T2_PKS9_SB_PKS3_PKS6_21rocsparse_index_base_SB_SB_SD_PS6_SH_SG_SB_SB_SD_SH_SH_SG_SH_SH_PS8_SI_PKS8_,"axG",@progbits,_ZN9rocsparseL6kernelILi1024ELi1E21rocsparse_complex_numIdEiiEEvbbbT3_PS3_NS_15floating_traitsIT1_E6data_tES3_T2_PKS9_SB_PKS3_PKS6_21rocsparse_index_base_SB_SB_SD_PS6_SH_SG_SB_SB_SD_SH_SH_SG_SH_SH_PS8_SI_PKS8_,comdat
	.globl	_ZN9rocsparseL6kernelILi1024ELi1E21rocsparse_complex_numIdEiiEEvbbbT3_PS3_NS_15floating_traitsIT1_E6data_tES3_T2_PKS9_SB_PKS3_PKS6_21rocsparse_index_base_SB_SB_SD_PS6_SH_SG_SB_SB_SD_SH_SH_SG_SH_SH_PS8_SI_PKS8_ ; -- Begin function _ZN9rocsparseL6kernelILi1024ELi1E21rocsparse_complex_numIdEiiEEvbbbT3_PS3_NS_15floating_traitsIT1_E6data_tES3_T2_PKS9_SB_PKS3_PKS6_21rocsparse_index_base_SB_SB_SD_PS6_SH_SG_SB_SB_SD_SH_SH_SG_SH_SH_PS8_SI_PKS8_
	.p2align	8
	.type	_ZN9rocsparseL6kernelILi1024ELi1E21rocsparse_complex_numIdEiiEEvbbbT3_PS3_NS_15floating_traitsIT1_E6data_tES3_T2_PKS9_SB_PKS3_PKS6_21rocsparse_index_base_SB_SB_SD_PS6_SH_SG_SB_SB_SD_SH_SH_SG_SH_SH_PS8_SI_PKS8_,@function
_ZN9rocsparseL6kernelILi1024ELi1E21rocsparse_complex_numIdEiiEEvbbbT3_PS3_NS_15floating_traitsIT1_E6data_tES3_T2_PKS9_SB_PKS3_PKS6_21rocsparse_index_base_SB_SB_SD_PS6_SH_SG_SB_SB_SD_SH_SH_SG_SH_SH_PS8_SI_PKS8_: ; @_ZN9rocsparseL6kernelILi1024ELi1E21rocsparse_complex_numIdEiiEEvbbbT3_PS3_NS_15floating_traitsIT1_E6data_tES3_T2_PKS9_SB_PKS3_PKS6_21rocsparse_index_base_SB_SB_SD_PS6_SH_SG_SB_SB_SD_SH_SH_SG_SH_SH_PS8_SI_PKS8_
; %bb.0:
	s_load_dword s0, s[4:5], 0x0
	s_load_dwordx2 s[68:69], s[4:5], 0x0
	s_load_dwordx4 s[8:11], s[4:5], 0xb8
	s_load_dwordx4 s[12:15], s[4:5], 0x8
	s_load_dword s33, s[4:5], 0x18
	s_waitcnt lgkmcnt(0)
	s_bitcmp1_b32 s0, 0
	s_cselect_b64 s[66:67], -1, 0
	s_bitcmp1_b32 s0, 8
                                        ; implicit-def: $vgpr55 : SGPR spill to VGPR lane
	s_cselect_b64 s[64:65], -1, 0
	s_bitcmp1_b32 s68, 16
	v_writelane_b32 v55, s12, 0
	s_cselect_b64 s[34:35], -1, 0
	s_lshl_b32 s73, s6, 10
	v_writelane_b32 v55, s13, 1
	v_or_b32_e32 v13, s73, v0
	v_mov_b32_e32 v1, 0
	s_cmp_gt_i32 s69, 0
	v_mov_b32_e32 v16, 0
	v_mov_b32_e32 v14, 0
	v_writelane_b32 v55, s14, 2
	v_lshlrev_b32_e32 v37, 3, v0
	s_mov_b32 s54, 0
	v_mov_b32_e32 v2, v1
	v_cmp_gt_i32_e32 vcc, s33, v13
	s_cselect_b64 s[0:1], -1, 0
	v_mov_b32_e32 v17, 0
	v_mov_b32_e32 v15, 0
	v_writelane_b32 v55, s15, 3
	ds_write_b64 v37, v[1:2]
	s_waitcnt lgkmcnt(0)
	s_barrier
	s_and_b64 s[0:1], s[0:1], vcc
	s_mov_b64 s[2:3], exec
	v_writelane_b32 v55, s2, 4
	s_and_b64 s[0:1], s[2:3], s[0:1]
	v_writelane_b32 v55, s3, 5
	s_mov_b64 exec, s[0:1]
	s_cbranch_execz .LBB49_183
; %bb.1:
	s_load_dwordx8 s[36:43], s[4:5], 0x48
	s_load_dwordx8 s[24:31], s[4:5], 0x20
	v_ashrrev_i32_e32 v14, 31, v13
	v_lshlrev_b64 v[1:2], 2, v[13:14]
	s_load_dwordx2 s[0:1], s[4:5], 0xc8
	s_waitcnt lgkmcnt(0)
	v_mov_b32_e32 v4, s39
	v_add_co_u32_e32 v3, vcc, s38, v1
	v_addc_co_u32_e32 v4, vcc, v4, v2, vcc
	v_mov_b32_e32 v6, s37
	v_add_co_u32_e32 v5, vcc, s36, v1
	v_addc_co_u32_e32 v6, vcc, v6, v2, vcc
	v_mov_b32_e32 v8, s25
	v_add_co_u32_e32 v7, vcc, s24, v1
	global_load_dword v10, v[3:4], off
	global_load_dword v11, v[5:6], off
	v_addc_co_u32_e32 v8, vcc, v8, v2, vcc
	v_mov_b32_e32 v9, s27
	v_add_co_u32_e32 v1, vcc, s26, v1
	v_addc_co_u32_e32 v2, vcc, v9, v2, vcc
	global_load_dword v3, v[1:2], off
	global_load_dword v4, v[7:8], off
	v_writelane_b32 v55, s8, 6
	v_writelane_b32 v55, s9, 7
	;; [unrolled: 1-line block ×3, first 2 shown]
	s_load_dwordx4 s[60:63], s[4:5], 0xa8
	s_load_dwordx8 s[44:51], s[4:5], 0x78
	s_load_dword s55, s[4:5], 0x40
	s_load_dwordx2 s[76:77], s[4:5], 0x68
	s_load_dword s68, s[4:5], 0x70
	s_load_dwordx2 s[78:79], s[4:5], 0x98
	s_load_dword s72, s[4:5], 0xa0
	v_writelane_b32 v55, s11, 9
	v_writelane_b32 v55, s0, 10
	;; [unrolled: 1-line block ×3, first 2 shown]
	s_xor_b64 s[0:1], s[64:65], -1
	v_writelane_b32 v55, s0, 12
	v_writelane_b32 v55, s1, 13
	v_cmp_gt_u32_e64 s[0:1], 64, v0
	v_writelane_b32 v55, s0, 14
	v_writelane_b32 v55, s1, 15
	s_and_b64 s[0:1], s[64:65], s[34:35]
	v_mov_b32_e32 v5, s41
	s_xor_b64 s[0:1], s[0:1], -1
	s_addk_i32 s73, 0x400
	s_movk_i32 s16, 0x200
	s_movk_i32 s18, 0x100
	;; [unrolled: 1-line block ×3, first 2 shown]
	v_mov_b32_e32 v14, 0
	s_mov_b32 s82, 0
	v_mov_b32_e32 v16, 0
	v_writelane_b32 v55, s0, 16
	v_mov_b32_e32 v6, s43
	v_cmp_gt_u32_e64 s[2:3], 32, v0
	v_cmp_gt_u32_e64 s[4:5], 16, v0
	;; [unrolled: 1-line block ×5, first 2 shown]
	v_cmp_eq_u32_e64 s[12:13], 0, v0
	v_mov_b32_e32 v15, 0
	s_mov_b64 s[80:81], 0
	v_mov_b32_e32 v19, 0
	s_brev_b32 s83, 8
	v_mov_b32_e32 v38, 0x260
	v_mov_b32_e32 v39, 0x100
	;; [unrolled: 1-line block ×4, first 2 shown]
	v_cmp_gt_u32_e64 s[14:15], s73, v13
	v_cmp_gt_u32_e64 s[16:17], s16, v0
	;; [unrolled: 1-line block ×4, first 2 shown]
	v_writelane_b32 v55, s1, 17
	s_movk_i32 s0, 0x1f8
	s_waitcnt vmcnt(2) lgkmcnt(0)
	v_subrev_u32_e32 v20, s68, v11
	v_ashrrev_i32_e32 v21, 31, v20
	v_lshlrev_b64 v[1:2], 2, v[20:21]
	v_sub_u32_e32 v41, v10, v11
	v_add_co_u32_e32 v44, vcc, s40, v1
	v_addc_co_u32_e32 v45, vcc, v5, v2, vcc
	s_waitcnt vmcnt(1)
	v_subrev_u32_e32 v42, s55, v3
	s_waitcnt vmcnt(0)
	v_cmp_lt_i32_e64 s[22:23], v4, v3
	v_subrev_u32_e32 v43, s55, v4
	v_lshlrev_b64 v[3:4], 4, v[20:21]
	v_cmp_lt_i32_e64 s[24:25], 0, v41
	v_add_co_u32_e32 v46, vcc, s42, v3
	v_addc_co_u32_e32 v47, vcc, v6, v4, vcc
	s_branch .LBB49_3
.LBB49_2:                               ;   in Loop: Header=BB49_3 Depth=1
	s_or_b64 exec, exec, s[26:27]
	s_and_b64 s[26:27], exec, s[70:71]
	s_or_b64 s[80:81], s[26:27], s[80:81]
	s_andn2_b64 exec, exec, s[80:81]
	s_cbranch_execz .LBB49_182
.LBB49_3:                               ; =>This Loop Header: Depth=1
                                        ;     Child Loop BB49_10 Depth 2
                                        ;       Child Loop BB49_14 Depth 3
                                        ;       Child Loop BB49_49 Depth 3
	;; [unrolled: 1-line block ×5, first 2 shown]
                                        ;     Child Loop BB49_163 Depth 2
                                        ;       Child Loop BB49_166 Depth 3
                                        ;       Child Loop BB49_169 Depth 3
	v_cndmask_b32_e64 v17, v17, 0, s[64:65]
	v_cndmask_b32_e64 v16, v16, 0, s[64:65]
	;; [unrolled: 1-line block ×4, first 2 shown]
	s_and_saveexec_b64 s[86:87], s[22:23]
	s_cbranch_execnz .LBB49_7
; %bb.4:                                ;   in Loop: Header=BB49_3 Depth=1
	s_or_b64 exec, exec, s[86:87]
	s_andn2_b64 vcc, exec, s[64:65]
	s_cbranch_vccz .LBB49_118
.LBB49_5:                               ;   in Loop: Header=BB49_3 Depth=1
	s_andn2_b64 vcc, exec, s[34:35]
	s_cbranch_vccz .LBB49_139
.LBB49_6:                               ;   in Loop: Header=BB49_3 Depth=1
	s_and_saveexec_b64 s[26:27], s[14:15]
	s_cbranch_execnz .LBB49_160
	s_branch .LBB49_170
.LBB49_7:                               ;   in Loop: Header=BB49_3 Depth=1
	s_mov_b64 s[88:89], 0
	v_mov_b32_e32 v21, v43
	s_branch .LBB49_10
.LBB49_8:                               ;   in Loop: Header=BB49_10 Depth=2
	s_or_b64 exec, exec, s[52:53]
.LBB49_9:                               ;   in Loop: Header=BB49_10 Depth=2
	s_or_b64 exec, exec, s[26:27]
	v_add_u32_e32 v21, 1, v21
	v_cmp_ge_i32_e32 vcc, v21, v42
	s_or_b64 s[88:89], vcc, s[88:89]
	s_andn2_b64 exec, exec, s[88:89]
	s_cbranch_execz .LBB49_117
.LBB49_10:                              ;   Parent Loop BB49_3 Depth=1
                                        ; =>  This Loop Header: Depth=2
                                        ;       Child Loop BB49_14 Depth 3
                                        ;       Child Loop BB49_49 Depth 3
	;; [unrolled: 1-line block ×5, first 2 shown]
	v_ashrrev_i32_e32 v22, 31, v21
	v_lshlrev_b64 v[1:2], 2, v[21:22]
	v_mov_b32_e32 v3, s29
	v_add_co_u32_e32 v1, vcc, s28, v1
	v_addc_co_u32_e32 v2, vcc, v3, v2, vcc
	global_load_dword v1, v[1:2], off
	v_mov_b32_e32 v4, s45
	v_mov_b32_e32 v5, s47
	;; [unrolled: 1-line block ×8, first 2 shown]
	s_waitcnt vmcnt(0)
	v_subrev_u32_e32 v23, s55, v1
	v_ashrrev_i32_e32 v24, 31, v23
	v_lshlrev_b64 v[1:2], 2, v[23:24]
	v_add_co_u32_e32 v3, vcc, s44, v1
	v_addc_co_u32_e32 v4, vcc, v4, v2, vcc
	v_add_co_u32_e32 v1, vcc, s46, v1
	v_addc_co_u32_e32 v2, vcc, v5, v2, vcc
	global_load_dword v3, v[3:4], off
	s_nop 0
	global_load_dword v1, v[1:2], off
	s_waitcnt vmcnt(1)
	v_subrev_u32_e32 v29, s72, v3
	s_waitcnt vmcnt(0)
	v_sub_u32_e32 v48, v1, v3
	s_and_saveexec_b64 s[26:27], s[24:25]
	s_cbranch_execz .LBB49_18
; %bb.11:                               ;   in Loop: Header=BB49_10 Depth=2
	v_ashrrev_i32_e32 v30, 31, v29
	v_lshlrev_b64 v[1:2], 2, v[29:30]
	v_mov_b32_e32 v3, s49
	v_add_co_u32_e32 v1, vcc, s48, v1
	v_addc_co_u32_e32 v2, vcc, v3, v2, vcc
	v_lshlrev_b64 v[3:4], 4, v[29:30]
	v_mov_b32_e32 v5, s51
	v_add_co_u32_e32 v3, vcc, s50, v3
	v_mov_b32_e32 v25, 0
	v_mov_b32_e32 v30, 0
	;; [unrolled: 1-line block ×3, first 2 shown]
	v_addc_co_u32_e32 v4, vcc, v5, v4, vcc
	v_mov_b32_e32 v26, 0
	s_mov_b64 s[70:71], 0
	v_mov_b32_e32 v28, 0
	v_mov_b32_e32 v18, v30
                                        ; implicit-def: $sgpr74_sgpr75
	s_branch .LBB49_14
.LBB49_12:                              ;   in Loop: Header=BB49_14 Depth=3
	s_or_b64 exec, exec, s[56:57]
	v_cmp_le_i32_e32 vcc, v5, v6
	v_addc_co_u32_e32 v18, vcc, 0, v18, vcc
	v_cmp_ge_i32_e32 vcc, v5, v6
	v_addc_co_u32_e32 v30, vcc, 0, v30, vcc
	v_cmp_ge_i32_e32 vcc, v18, v41
	s_andn2_b64 s[52:53], s[74:75], exec
	s_and_b64 s[56:57], vcc, exec
	s_or_b64 s[74:75], s[52:53], s[56:57]
.LBB49_13:                              ;   in Loop: Header=BB49_14 Depth=3
	s_or_b64 exec, exec, s[90:91]
	s_and_b64 s[52:53], exec, s[74:75]
	s_or_b64 s[70:71], s[52:53], s[70:71]
	s_andn2_b64 exec, exec, s[70:71]
	s_cbranch_execz .LBB49_17
.LBB49_14:                              ;   Parent Loop BB49_3 Depth=1
                                        ;     Parent Loop BB49_10 Depth=2
                                        ; =>    This Inner Loop Header: Depth=3
	v_cmp_lt_i32_e32 vcc, v30, v48
	s_or_b64 s[74:75], s[74:75], exec
	s_and_saveexec_b64 s[90:91], vcc
	s_cbranch_execz .LBB49_13
; %bb.15:                               ;   in Loop: Header=BB49_14 Depth=3
	v_lshlrev_b64 v[5:6], 2, v[18:19]
	v_mov_b32_e32 v31, v19
	v_add_co_u32_e32 v5, vcc, v44, v5
	v_addc_co_u32_e32 v6, vcc, v45, v6, vcc
	global_load_dword v7, v[5:6], off
	v_lshlrev_b64 v[5:6], 2, v[30:31]
	v_add_co_u32_e32 v5, vcc, v1, v5
	v_addc_co_u32_e32 v6, vcc, v2, v6, vcc
	global_load_dword v6, v[5:6], off
	s_waitcnt vmcnt(1)
	v_subrev_u32_e32 v5, s68, v7
	s_waitcnt vmcnt(0)
	v_subrev_u32_e32 v6, s72, v6
	v_cmp_eq_u32_e32 vcc, v5, v6
	s_and_saveexec_b64 s[56:57], vcc
	s_cbranch_execz .LBB49_12
; %bb.16:                               ;   in Loop: Header=BB49_14 Depth=3
	v_lshlrev_b64 v[7:8], 4, v[18:19]
	v_lshlrev_b64 v[11:12], 4, v[30:31]
	v_add_co_u32_e32 v7, vcc, v46, v7
	v_addc_co_u32_e32 v8, vcc, v47, v8, vcc
	v_add_co_u32_e32 v11, vcc, v3, v11
	v_addc_co_u32_e32 v12, vcc, v4, v12, vcc
	global_load_dwordx4 v[7:10], v[7:8], off
	s_nop 0
	global_load_dwordx4 v[31:34], v[11:12], off
	s_waitcnt vmcnt(0)
	v_fma_f64 v[11:12], v[7:8], v[31:32], v[25:26]
	v_fma_f64 v[27:28], v[9:10], v[31:32], v[27:28]
	v_fma_f64 v[25:26], -v[9:10], v[33:34], v[11:12]
	v_fma_f64 v[27:28], v[7:8], v[33:34], v[27:28]
	s_branch .LBB49_12
.LBB49_17:                              ;   in Loop: Header=BB49_10 Depth=2
	s_or_b64 exec, exec, s[70:71]
.LBB49_18:                              ;   in Loop: Header=BB49_10 Depth=2
	s_or_b64 exec, exec, s[26:27]
	v_lshlrev_b64 v[1:2], 4, v[21:22]
	v_mov_b32_e32 v3, s31
	v_add_co_u32_e32 v1, vcc, s30, v1
	v_addc_co_u32_e32 v2, vcc, v3, v2, vcc
	global_load_dwordx4 v[1:4], v[1:2], off
	v_cmp_le_i32_e64 s[26:27], v13, v23
	v_cmp_gt_i32_e32 vcc, v13, v23
	s_waitcnt vmcnt(0)
	v_add_f64 v[5:6], v[1:2], -v[25:26]
	v_add_f64 v[7:8], v[3:4], -v[27:28]
	s_and_saveexec_b64 s[70:71], vcc
	s_cbranch_execz .LBB49_28
; %bb.19:                               ;   in Loop: Header=BB49_10 Depth=2
	v_lshlrev_b64 v[9:10], 4, v[23:24]
	v_mov_b32_e32 v11, s61
	v_add_co_u32_e32 v9, vcc, s60, v9
	v_addc_co_u32_e32 v10, vcc, v11, v10, vcc
	global_load_dwordx4 v[9:12], v[9:10], off
                                        ; implicit-def: $vgpr35_vgpr36
	s_waitcnt vmcnt(0)
	v_cmp_gt_f64_e32 vcc, 0, v[9:10]
	v_xor_b32_e32 v22, 0x80000000, v10
	v_xor_b32_e32 v33, 0x80000000, v12
	v_mov_b32_e32 v31, v9
	v_cndmask_b32_e32 v32, v10, v22, vcc
	v_cmp_gt_f64_e32 vcc, 0, v[11:12]
	v_cndmask_b32_e32 v34, v12, v33, vcc
	v_mov_b32_e32 v33, v11
	v_cmp_ngt_f64_e32 vcc, v[31:32], v[33:34]
	s_and_saveexec_b64 s[52:53], vcc
	s_xor_b64 s[56:57], exec, s[52:53]
	s_cbranch_execz .LBB49_23
; %bb.20:                               ;   in Loop: Header=BB49_10 Depth=2
	v_cmp_neq_f64_e32 vcc, 0, v[11:12]
	v_mov_b32_e32 v35, 0
	v_mov_b32_e32 v36, 0
	s_and_saveexec_b64 s[58:59], vcc
	s_cbranch_execz .LBB49_22
; %bb.21:                               ;   in Loop: Header=BB49_10 Depth=2
	v_div_scale_f64 v[35:36], s[52:53], v[33:34], v[33:34], v[31:32]
	v_rcp_f64_e32 v[49:50], v[35:36]
	v_fma_f64 v[51:52], -v[35:36], v[49:50], 1.0
	v_fma_f64 v[49:50], v[49:50], v[51:52], v[49:50]
	v_div_scale_f64 v[51:52], vcc, v[31:32], v[33:34], v[31:32]
	v_fma_f64 v[53:54], -v[35:36], v[49:50], 1.0
	v_fma_f64 v[49:50], v[49:50], v[53:54], v[49:50]
	v_mul_f64 v[53:54], v[51:52], v[49:50]
	v_fma_f64 v[35:36], -v[35:36], v[53:54], v[51:52]
	v_div_fmas_f64 v[35:36], v[35:36], v[49:50], v[53:54]
	v_div_fixup_f64 v[31:32], v[35:36], v[33:34], v[31:32]
	v_fma_f64 v[31:32], v[31:32], v[31:32], 1.0
	v_cmp_gt_f64_e32 vcc, s[82:83], v[31:32]
	v_cndmask_b32_e32 v22, 0, v39, vcc
	v_ldexp_f64 v[31:32], v[31:32], v22
	v_cndmask_b32_e32 v22, 0, v40, vcc
	v_rsq_f64_e32 v[35:36], v[31:32]
	v_cmp_class_f64_e32 vcc, v[31:32], v38
	v_mul_f64 v[49:50], v[31:32], v[35:36]
	v_mul_f64 v[35:36], v[35:36], 0.5
	v_fma_f64 v[51:52], -v[35:36], v[49:50], 0.5
	v_fma_f64 v[49:50], v[49:50], v[51:52], v[49:50]
	v_fma_f64 v[35:36], v[35:36], v[51:52], v[35:36]
	v_fma_f64 v[51:52], -v[49:50], v[49:50], v[31:32]
	v_fma_f64 v[49:50], v[51:52], v[35:36], v[49:50]
	v_fma_f64 v[51:52], -v[49:50], v[49:50], v[31:32]
	v_fma_f64 v[35:36], v[51:52], v[35:36], v[49:50]
	v_ldexp_f64 v[35:36], v[35:36], v22
	v_cndmask_b32_e32 v32, v36, v32, vcc
	v_cndmask_b32_e32 v31, v35, v31, vcc
	v_mul_f64 v[35:36], v[33:34], v[31:32]
.LBB49_22:                              ;   in Loop: Header=BB49_10 Depth=2
	s_or_b64 exec, exec, s[58:59]
                                        ; implicit-def: $vgpr31_vgpr32
                                        ; implicit-def: $vgpr33_vgpr34
.LBB49_23:                              ;   in Loop: Header=BB49_10 Depth=2
	s_andn2_saveexec_b64 s[56:57], s[56:57]
	s_cbranch_execz .LBB49_25
; %bb.24:                               ;   in Loop: Header=BB49_10 Depth=2
	v_div_scale_f64 v[35:36], s[52:53], v[31:32], v[31:32], v[33:34]
	v_rcp_f64_e32 v[49:50], v[35:36]
	v_fma_f64 v[51:52], -v[35:36], v[49:50], 1.0
	v_fma_f64 v[49:50], v[49:50], v[51:52], v[49:50]
	v_div_scale_f64 v[51:52], vcc, v[33:34], v[31:32], v[33:34]
	v_fma_f64 v[53:54], -v[35:36], v[49:50], 1.0
	v_fma_f64 v[49:50], v[49:50], v[53:54], v[49:50]
	v_mul_f64 v[53:54], v[51:52], v[49:50]
	v_fma_f64 v[35:36], -v[35:36], v[53:54], v[51:52]
	v_div_fmas_f64 v[35:36], v[35:36], v[49:50], v[53:54]
	v_div_fixup_f64 v[33:34], v[35:36], v[31:32], v[33:34]
	v_fma_f64 v[33:34], v[33:34], v[33:34], 1.0
	v_cmp_gt_f64_e32 vcc, s[82:83], v[33:34]
	v_cndmask_b32_e32 v22, 0, v39, vcc
	v_ldexp_f64 v[33:34], v[33:34], v22
	v_cndmask_b32_e32 v22, 0, v40, vcc
	v_rsq_f64_e32 v[35:36], v[33:34]
	v_cmp_class_f64_e32 vcc, v[33:34], v38
	v_mul_f64 v[49:50], v[33:34], v[35:36]
	v_mul_f64 v[35:36], v[35:36], 0.5
	v_fma_f64 v[51:52], -v[35:36], v[49:50], 0.5
	v_fma_f64 v[49:50], v[49:50], v[51:52], v[49:50]
	v_fma_f64 v[35:36], v[35:36], v[51:52], v[35:36]
	v_fma_f64 v[51:52], -v[49:50], v[49:50], v[33:34]
	v_fma_f64 v[49:50], v[51:52], v[35:36], v[49:50]
	v_fma_f64 v[51:52], -v[49:50], v[49:50], v[33:34]
	v_fma_f64 v[35:36], v[51:52], v[35:36], v[49:50]
	v_ldexp_f64 v[35:36], v[35:36], v22
	v_cndmask_b32_e32 v34, v36, v34, vcc
	v_cndmask_b32_e32 v33, v35, v33, vcc
	v_mul_f64 v[35:36], v[31:32], v[33:34]
.LBB49_25:                              ;   in Loop: Header=BB49_10 Depth=2
	s_or_b64 exec, exec, s[56:57]
	v_cmp_lt_f64_e32 vcc, 0, v[35:36]
	v_mov_b32_e32 v31, 0
	v_mov_b32_e32 v33, 0
	;; [unrolled: 1-line block ×4, first 2 shown]
	s_and_saveexec_b64 s[56:57], vcc
	s_cbranch_execz .LBB49_27
; %bb.26:                               ;   in Loop: Header=BB49_10 Depth=2
	v_mul_f64 v[31:32], v[11:12], v[11:12]
	v_fma_f64 v[31:32], v[9:10], v[9:10], v[31:32]
	v_div_scale_f64 v[33:34], s[52:53], v[31:32], v[31:32], 1.0
	v_rcp_f64_e32 v[35:36], v[33:34]
	v_fma_f64 v[49:50], -v[33:34], v[35:36], 1.0
	v_fma_f64 v[35:36], v[35:36], v[49:50], v[35:36]
	v_div_scale_f64 v[49:50], vcc, 1.0, v[31:32], 1.0
	v_fma_f64 v[51:52], -v[33:34], v[35:36], 1.0
	v_fma_f64 v[35:36], v[35:36], v[51:52], v[35:36]
	v_mul_f64 v[51:52], v[49:50], v[35:36]
	v_fma_f64 v[33:34], -v[33:34], v[51:52], v[49:50]
	v_div_fmas_f64 v[33:34], v[33:34], v[35:36], v[51:52]
	v_mul_f64 v[35:36], v[7:8], v[11:12]
	v_mul_f64 v[11:12], v[11:12], -v[5:6]
	v_fma_f64 v[5:6], v[5:6], v[9:10], v[35:36]
	v_fma_f64 v[7:8], v[7:8], v[9:10], v[11:12]
	v_div_fixup_f64 v[31:32], v[33:34], v[31:32], 1.0
	v_mul_f64 v[33:34], v[5:6], v[31:32]
	v_mul_f64 v[31:32], v[7:8], v[31:32]
.LBB49_27:                              ;   in Loop: Header=BB49_10 Depth=2
	s_or_b64 exec, exec, s[56:57]
	v_mov_b32_e32 v7, v31
	v_mov_b32_e32 v5, v33
	v_mov_b32_e32 v8, v32
	v_mov_b32_e32 v6, v34
.LBB49_28:                              ;   in Loop: Header=BB49_10 Depth=2
	s_or_b64 exec, exec, s[70:71]
	v_cmp_gt_f64_e32 vcc, 0, v[5:6]
	v_xor_b32_e32 v9, 0x80000000, v6
	v_xor_b32_e32 v11, 0x80000000, v8
                                        ; implicit-def: $vgpr31_vgpr32
	v_cndmask_b32_e32 v10, v6, v9, vcc
	v_cmp_gt_f64_e32 vcc, 0, v[7:8]
	v_mov_b32_e32 v9, v5
	v_cndmask_b32_e32 v12, v8, v11, vcc
	v_mov_b32_e32 v11, v7
	v_cmp_ngt_f64_e32 vcc, v[9:10], v[11:12]
	s_and_saveexec_b64 s[52:53], vcc
	s_xor_b64 s[56:57], exec, s[52:53]
	s_cbranch_execnz .LBB49_32
; %bb.29:                               ;   in Loop: Header=BB49_10 Depth=2
	s_andn2_saveexec_b64 s[56:57], s[56:57]
	s_cbranch_execnz .LBB49_35
.LBB49_30:                              ;   in Loop: Header=BB49_10 Depth=2
	s_or_b64 exec, exec, s[56:57]
	v_cmp_class_f64_e64 s[90:91], v[31:32], s0
	s_and_saveexec_b64 s[92:93], s[90:91]
	s_cbranch_execnz .LBB49_36
.LBB49_31:                              ;   in Loop: Header=BB49_10 Depth=2
	s_or_b64 exec, exec, s[92:93]
	s_and_b64 s[52:53], s[34:35], s[90:91]
	s_and_saveexec_b64 s[26:27], s[52:53]
	s_cbranch_execz .LBB49_9
	s_branch .LBB49_77
.LBB49_32:                              ;   in Loop: Header=BB49_10 Depth=2
	v_cmp_neq_f64_e32 vcc, 0, v[7:8]
	v_mov_b32_e32 v31, 0
	v_mov_b32_e32 v32, 0
	s_and_saveexec_b64 s[58:59], vcc
	s_cbranch_execz .LBB49_34
; %bb.33:                               ;   in Loop: Header=BB49_10 Depth=2
	v_div_scale_f64 v[31:32], s[52:53], v[11:12], v[11:12], v[9:10]
	v_rcp_f64_e32 v[33:34], v[31:32]
	v_fma_f64 v[35:36], -v[31:32], v[33:34], 1.0
	v_fma_f64 v[33:34], v[33:34], v[35:36], v[33:34]
	v_div_scale_f64 v[35:36], vcc, v[9:10], v[11:12], v[9:10]
	v_fma_f64 v[49:50], -v[31:32], v[33:34], 1.0
	v_fma_f64 v[33:34], v[33:34], v[49:50], v[33:34]
	v_mul_f64 v[49:50], v[35:36], v[33:34]
	v_fma_f64 v[31:32], -v[31:32], v[49:50], v[35:36]
	v_div_fmas_f64 v[31:32], v[31:32], v[33:34], v[49:50]
	v_div_fixup_f64 v[9:10], v[31:32], v[11:12], v[9:10]
	v_fma_f64 v[9:10], v[9:10], v[9:10], 1.0
	v_cmp_gt_f64_e32 vcc, s[82:83], v[9:10]
	v_cndmask_b32_e32 v22, 0, v39, vcc
	v_ldexp_f64 v[9:10], v[9:10], v22
	v_cndmask_b32_e32 v22, 0, v40, vcc
	v_rsq_f64_e32 v[31:32], v[9:10]
	v_cmp_class_f64_e32 vcc, v[9:10], v38
	v_mul_f64 v[33:34], v[9:10], v[31:32]
	v_mul_f64 v[31:32], v[31:32], 0.5
	v_fma_f64 v[35:36], -v[31:32], v[33:34], 0.5
	v_fma_f64 v[33:34], v[33:34], v[35:36], v[33:34]
	v_fma_f64 v[31:32], v[31:32], v[35:36], v[31:32]
	v_fma_f64 v[35:36], -v[33:34], v[33:34], v[9:10]
	v_fma_f64 v[33:34], v[35:36], v[31:32], v[33:34]
	v_fma_f64 v[35:36], -v[33:34], v[33:34], v[9:10]
	v_fma_f64 v[31:32], v[35:36], v[31:32], v[33:34]
	v_ldexp_f64 v[31:32], v[31:32], v22
	v_cndmask_b32_e32 v10, v32, v10, vcc
	v_cndmask_b32_e32 v9, v31, v9, vcc
	v_mul_f64 v[31:32], v[11:12], v[9:10]
.LBB49_34:                              ;   in Loop: Header=BB49_10 Depth=2
	s_or_b64 exec, exec, s[58:59]
                                        ; implicit-def: $vgpr9_vgpr10
                                        ; implicit-def: $vgpr11_vgpr12
	s_andn2_saveexec_b64 s[56:57], s[56:57]
	s_cbranch_execz .LBB49_30
.LBB49_35:                              ;   in Loop: Header=BB49_10 Depth=2
	v_div_scale_f64 v[31:32], s[52:53], v[9:10], v[9:10], v[11:12]
	v_rcp_f64_e32 v[33:34], v[31:32]
	v_fma_f64 v[35:36], -v[31:32], v[33:34], 1.0
	v_fma_f64 v[33:34], v[33:34], v[35:36], v[33:34]
	v_div_scale_f64 v[35:36], vcc, v[11:12], v[9:10], v[11:12]
	v_fma_f64 v[49:50], -v[31:32], v[33:34], 1.0
	v_fma_f64 v[33:34], v[33:34], v[49:50], v[33:34]
	v_mul_f64 v[49:50], v[35:36], v[33:34]
	v_fma_f64 v[31:32], -v[31:32], v[49:50], v[35:36]
	v_div_fmas_f64 v[31:32], v[31:32], v[33:34], v[49:50]
	v_div_fixup_f64 v[11:12], v[31:32], v[9:10], v[11:12]
	v_fma_f64 v[11:12], v[11:12], v[11:12], 1.0
	v_cmp_gt_f64_e32 vcc, s[82:83], v[11:12]
	v_cndmask_b32_e32 v22, 0, v39, vcc
	v_ldexp_f64 v[11:12], v[11:12], v22
	v_cndmask_b32_e32 v22, 0, v40, vcc
	v_rsq_f64_e32 v[31:32], v[11:12]
	v_cmp_class_f64_e32 vcc, v[11:12], v38
	v_mul_f64 v[33:34], v[11:12], v[31:32]
	v_mul_f64 v[31:32], v[31:32], 0.5
	v_fma_f64 v[35:36], -v[31:32], v[33:34], 0.5
	v_fma_f64 v[33:34], v[33:34], v[35:36], v[33:34]
	v_fma_f64 v[31:32], v[31:32], v[35:36], v[31:32]
	v_fma_f64 v[35:36], -v[33:34], v[33:34], v[11:12]
	v_fma_f64 v[33:34], v[35:36], v[31:32], v[33:34]
	v_fma_f64 v[35:36], -v[33:34], v[33:34], v[11:12]
	v_fma_f64 v[31:32], v[35:36], v[31:32], v[33:34]
	v_ldexp_f64 v[31:32], v[31:32], v22
	v_cndmask_b32_e32 v12, v32, v12, vcc
	v_cndmask_b32_e32 v11, v31, v11, vcc
	v_mul_f64 v[31:32], v[9:10], v[11:12]
	s_or_b64 exec, exec, s[56:57]
	v_cmp_class_f64_e64 s[90:91], v[31:32], s0
	s_and_saveexec_b64 s[92:93], s[90:91]
	s_cbranch_execz .LBB49_31
.LBB49_36:                              ;   in Loop: Header=BB49_10 Depth=2
	s_and_saveexec_b64 s[52:53], s[26:27]
	s_xor_b64 s[26:27], exec, s[52:53]
	s_cbranch_execz .LBB49_61
; %bb.37:                               ;   in Loop: Header=BB49_10 Depth=2
	v_cmp_ge_i32_e32 vcc, v13, v23
	s_and_saveexec_b64 s[52:53], vcc
	s_xor_b64 s[70:71], exec, s[52:53]
	s_cbranch_execz .LBB49_45
; %bb.38:                               ;   in Loop: Header=BB49_10 Depth=2
	v_lshlrev_b64 v[9:10], 4, v[23:24]
	v_mov_b32_e32 v12, s63
	v_add_co_u32_e32 v11, vcc, s62, v9
	v_addc_co_u32_e32 v12, vcc, v12, v10, vcc
	s_andn2_b64 vcc, exec, s[64:65]
	global_store_dwordx4 v[11:12], v[5:8], off
	s_cbranch_vccnz .LBB49_44
; %bb.39:                               ;   in Loop: Header=BB49_10 Depth=2
	v_mov_b32_e32 v11, s61
	v_add_co_u32_e32 v9, vcc, s60, v9
	v_addc_co_u32_e32 v10, vcc, v11, v10, vcc
	global_load_dwordx4 v[9:12], v[9:10], off
	s_waitcnt vmcnt(0)
	v_add_f64 v[5:6], v[9:10], -v[5:6]
	v_add_f64 v[11:12], v[11:12], -v[7:8]
                                        ; implicit-def: $vgpr9_vgpr10
	v_cmp_gt_f64_e32 vcc, 0, v[5:6]
	v_xor_b32_e32 v7, 0x80000000, v6
	v_xor_b32_e32 v8, 0x80000000, v12
	v_cndmask_b32_e32 v6, v6, v7, vcc
	v_cmp_gt_f64_e32 vcc, 0, v[11:12]
	v_mov_b32_e32 v7, v11
	v_cndmask_b32_e32 v8, v12, v8, vcc
	v_cmp_ngt_f64_e32 vcc, v[5:6], v[7:8]
	s_and_saveexec_b64 s[52:53], vcc
	s_xor_b64 s[56:57], exec, s[52:53]
	s_cbranch_execnz .LBB49_105
; %bb.40:                               ;   in Loop: Header=BB49_10 Depth=2
	s_andn2_saveexec_b64 s[56:57], s[56:57]
	s_cbranch_execnz .LBB49_108
.LBB49_41:                              ;   in Loop: Header=BB49_10 Depth=2
	s_or_b64 exec, exec, s[56:57]
	v_cmp_class_f64_e64 s[56:57], v[9:10], s0
	s_and_saveexec_b64 s[52:53], s[56:57]
	s_cbranch_execz .LBB49_43
.LBB49_42:                              ;   in Loop: Header=BB49_10 Depth=2
	v_cmp_lt_f64_e32 vcc, v[16:17], v[9:10]
	v_cndmask_b32_e32 v17, v17, v10, vcc
	v_cndmask_b32_e32 v16, v16, v9, vcc
.LBB49_43:                              ;   in Loop: Header=BB49_10 Depth=2
	s_or_b64 exec, exec, s[52:53]
.LBB49_44:                              ;   in Loop: Header=BB49_10 Depth=2
                                        ; implicit-def: $vgpr5_vgpr6
.LBB49_45:                              ;   in Loop: Header=BB49_10 Depth=2
	s_andn2_saveexec_b64 s[94:95], s[70:71]
	s_cbranch_execz .LBB49_60
; %bb.46:                               ;   in Loop: Header=BB49_10 Depth=2
	v_cmp_lt_i32_e32 vcc, v30, v48
	s_and_saveexec_b64 s[70:71], vcc
	s_cbranch_execz .LBB49_59
; %bb.47:                               ;   in Loop: Header=BB49_10 Depth=2
	s_mov_b64 s[74:75], 0
	v_mov_b32_e32 v11, v30
                                        ; implicit-def: $sgpr84_sgpr85
                                        ; implicit-def: $sgpr58_sgpr59
                                        ; implicit-def: $sgpr56_sgpr57
	s_branch .LBB49_49
.LBB49_48:                              ;   in Loop: Header=BB49_49 Depth=3
	s_or_b64 exec, exec, s[52:53]
	s_and_b64 s[52:53], exec, s[58:59]
	s_or_b64 s[74:75], s[52:53], s[74:75]
	s_andn2_b64 s[52:53], s[84:85], exec
	s_and_b64 s[84:85], s[56:57], exec
	s_or_b64 s[84:85], s[52:53], s[84:85]
	s_andn2_b64 exec, exec, s[74:75]
	s_cbranch_execz .LBB49_51
.LBB49_49:                              ;   Parent Loop BB49_3 Depth=1
                                        ;     Parent Loop BB49_10 Depth=2
                                        ; =>    This Inner Loop Header: Depth=3
	v_add_u32_e32 v9, v29, v11
	v_ashrrev_i32_e32 v10, 31, v9
	v_lshlrev_b64 v[31:32], 2, v[9:10]
	v_mov_b32_e32 v12, s49
	v_add_co_u32_e32 v31, vcc, s48, v31
	v_addc_co_u32_e32 v32, vcc, v12, v32, vcc
	global_load_dword v12, v[31:32], off
	s_or_b64 s[56:57], s[56:57], exec
	s_or_b64 s[58:59], s[58:59], exec
	s_waitcnt vmcnt(0)
	v_subrev_u32_e32 v12, s72, v12
	v_cmp_ne_u32_e32 vcc, v12, v13
	s_and_saveexec_b64 s[52:53], vcc
	s_cbranch_execz .LBB49_48
; %bb.50:                               ;   in Loop: Header=BB49_49 Depth=3
	v_add_u32_e32 v11, 1, v11
	v_cmp_ge_i32_e32 vcc, v11, v48
	s_andn2_b64 s[58:59], s[58:59], exec
	s_and_b64 vcc, vcc, exec
	s_andn2_b64 s[56:57], s[56:57], exec
	s_or_b64 s[58:59], s[58:59], vcc
	s_branch .LBB49_48
.LBB49_51:                              ;   in Loop: Header=BB49_10 Depth=2
	s_or_b64 exec, exec, s[74:75]
	s_and_saveexec_b64 s[52:53], s[84:85]
	s_xor_b64 s[74:75], exec, s[52:53]
	s_cbranch_execz .LBB49_58
; %bb.52:                               ;   in Loop: Header=BB49_10 Depth=2
	v_lshlrev_b64 v[9:10], 4, v[9:10]
	v_mov_b32_e32 v12, s79
	v_add_co_u32_e32 v11, vcc, s78, v9
	v_addc_co_u32_e32 v12, vcc, v12, v10, vcc
	s_andn2_b64 vcc, exec, s[64:65]
	global_store_dwordx4 v[11:12], v[5:8], off
	s_cbranch_vccnz .LBB49_58
; %bb.53:                               ;   in Loop: Header=BB49_10 Depth=2
	v_mov_b32_e32 v11, s51
	v_add_co_u32_e32 v9, vcc, s50, v9
	v_addc_co_u32_e32 v10, vcc, v11, v10, vcc
	global_load_dwordx4 v[9:12], v[9:10], off
	s_waitcnt vmcnt(0)
	v_add_f64 v[5:6], v[9:10], -v[5:6]
	v_add_f64 v[11:12], v[11:12], -v[7:8]
                                        ; implicit-def: $vgpr9_vgpr10
	v_cmp_gt_f64_e32 vcc, 0, v[5:6]
	v_xor_b32_e32 v7, 0x80000000, v6
	v_xor_b32_e32 v8, 0x80000000, v12
	v_cndmask_b32_e32 v6, v6, v7, vcc
	v_cmp_gt_f64_e32 vcc, 0, v[11:12]
	v_mov_b32_e32 v7, v11
	v_cndmask_b32_e32 v8, v12, v8, vcc
	v_cmp_ngt_f64_e32 vcc, v[5:6], v[7:8]
	s_and_saveexec_b64 s[52:53], vcc
	s_xor_b64 s[56:57], exec, s[52:53]
	s_cbranch_execnz .LBB49_113
; %bb.54:                               ;   in Loop: Header=BB49_10 Depth=2
	s_andn2_saveexec_b64 s[56:57], s[56:57]
	s_cbranch_execnz .LBB49_116
.LBB49_55:                              ;   in Loop: Header=BB49_10 Depth=2
	s_or_b64 exec, exec, s[56:57]
	v_cmp_class_f64_e64 s[56:57], v[9:10], s0
	s_and_saveexec_b64 s[52:53], s[56:57]
	s_cbranch_execz .LBB49_57
.LBB49_56:                              ;   in Loop: Header=BB49_10 Depth=2
	v_cmp_lt_f64_e32 vcc, v[16:17], v[9:10]
	v_cndmask_b32_e32 v17, v17, v10, vcc
	v_cndmask_b32_e32 v16, v16, v9, vcc
.LBB49_57:                              ;   in Loop: Header=BB49_10 Depth=2
	s_or_b64 exec, exec, s[52:53]
.LBB49_58:                              ;   in Loop: Header=BB49_10 Depth=2
	s_or_b64 exec, exec, s[74:75]
.LBB49_59:                              ;   in Loop: Header=BB49_10 Depth=2
	s_or_b64 exec, exec, s[70:71]
.LBB49_60:                              ;   in Loop: Header=BB49_10 Depth=2
	s_or_b64 exec, exec, s[94:95]
                                        ; implicit-def: $vgpr5_vgpr6
.LBB49_61:                              ;   in Loop: Header=BB49_10 Depth=2
	s_andn2_saveexec_b64 s[26:27], s[26:27]
	s_cbranch_execz .LBB49_76
; %bb.62:                               ;   in Loop: Header=BB49_10 Depth=2
	v_cmp_lt_i32_e32 vcc, v18, v41
	s_and_saveexec_b64 s[94:95], vcc
	s_cbranch_execz .LBB49_75
; %bb.63:                               ;   in Loop: Header=BB49_10 Depth=2
	s_mov_b64 s[70:71], 0
	v_mov_b32_e32 v11, v18
                                        ; implicit-def: $sgpr74_sgpr75
                                        ; implicit-def: $sgpr58_sgpr59
                                        ; implicit-def: $sgpr56_sgpr57
	s_branch .LBB49_65
.LBB49_64:                              ;   in Loop: Header=BB49_65 Depth=3
	s_or_b64 exec, exec, s[84:85]
	s_and_b64 s[52:53], exec, s[58:59]
	s_or_b64 s[70:71], s[52:53], s[70:71]
	s_andn2_b64 s[52:53], s[74:75], exec
	s_and_b64 s[74:75], s[56:57], exec
	s_or_b64 s[74:75], s[52:53], s[74:75]
	s_andn2_b64 exec, exec, s[70:71]
	s_cbranch_execz .LBB49_67
.LBB49_65:                              ;   Parent Loop BB49_3 Depth=1
                                        ;     Parent Loop BB49_10 Depth=2
                                        ; =>    This Inner Loop Header: Depth=3
	v_add_u32_e32 v9, v20, v11
	v_ashrrev_i32_e32 v10, 31, v9
	v_lshlrev_b64 v[31:32], 2, v[9:10]
	v_mov_b32_e32 v12, s41
	v_add_co_u32_e32 v31, vcc, s40, v31
	v_addc_co_u32_e32 v32, vcc, v12, v32, vcc
	global_load_dword v12, v[31:32], off
	s_or_b64 s[56:57], s[56:57], exec
	s_or_b64 s[58:59], s[58:59], exec
	s_waitcnt vmcnt(0)
	v_subrev_u32_e32 v12, s68, v12
	v_cmp_ne_u32_e32 vcc, v12, v23
	s_and_saveexec_b64 s[84:85], vcc
	s_cbranch_execz .LBB49_64
; %bb.66:                               ;   in Loop: Header=BB49_65 Depth=3
	v_add_u32_e32 v11, 1, v11
	v_cmp_ge_i32_e32 vcc, v11, v41
	s_andn2_b64 s[52:53], s[58:59], exec
	s_and_b64 s[58:59], vcc, exec
	s_andn2_b64 s[56:57], s[56:57], exec
	s_or_b64 s[58:59], s[52:53], s[58:59]
	s_branch .LBB49_64
.LBB49_67:                              ;   in Loop: Header=BB49_10 Depth=2
	s_or_b64 exec, exec, s[70:71]
	s_and_saveexec_b64 s[52:53], s[74:75]
	s_xor_b64 s[70:71], exec, s[52:53]
	s_cbranch_execz .LBB49_74
; %bb.68:                               ;   in Loop: Header=BB49_10 Depth=2
	v_lshlrev_b64 v[9:10], 4, v[9:10]
	v_mov_b32_e32 v12, s77
	v_add_co_u32_e32 v11, vcc, s76, v9
	v_addc_co_u32_e32 v12, vcc, v12, v10, vcc
	s_andn2_b64 vcc, exec, s[64:65]
	global_store_dwordx4 v[11:12], v[5:8], off
	s_cbranch_vccnz .LBB49_74
; %bb.69:                               ;   in Loop: Header=BB49_10 Depth=2
	v_mov_b32_e32 v11, s43
	v_add_co_u32_e32 v9, vcc, s42, v9
	v_addc_co_u32_e32 v10, vcc, v11, v10, vcc
	global_load_dwordx4 v[9:12], v[9:10], off
	s_waitcnt vmcnt(0)
	v_add_f64 v[5:6], v[9:10], -v[5:6]
	v_add_f64 v[11:12], v[11:12], -v[7:8]
                                        ; implicit-def: $vgpr9_vgpr10
	v_cmp_gt_f64_e32 vcc, 0, v[5:6]
	v_xor_b32_e32 v7, 0x80000000, v6
	v_xor_b32_e32 v8, 0x80000000, v12
	v_cndmask_b32_e32 v6, v6, v7, vcc
	v_cmp_gt_f64_e32 vcc, 0, v[11:12]
	v_mov_b32_e32 v7, v11
	v_cndmask_b32_e32 v8, v12, v8, vcc
	v_cmp_ngt_f64_e32 vcc, v[5:6], v[7:8]
	s_and_saveexec_b64 s[52:53], vcc
	s_xor_b64 s[56:57], exec, s[52:53]
	s_cbranch_execnz .LBB49_109
; %bb.70:                               ;   in Loop: Header=BB49_10 Depth=2
	s_andn2_saveexec_b64 s[56:57], s[56:57]
	s_cbranch_execnz .LBB49_112
.LBB49_71:                              ;   in Loop: Header=BB49_10 Depth=2
	s_or_b64 exec, exec, s[56:57]
	v_cmp_class_f64_e64 s[56:57], v[9:10], s0
	s_and_saveexec_b64 s[52:53], s[56:57]
	s_cbranch_execz .LBB49_73
.LBB49_72:                              ;   in Loop: Header=BB49_10 Depth=2
	v_cmp_lt_f64_e32 vcc, v[16:17], v[9:10]
	v_cndmask_b32_e32 v17, v17, v10, vcc
	v_cndmask_b32_e32 v16, v16, v9, vcc
.LBB49_73:                              ;   in Loop: Header=BB49_10 Depth=2
	s_or_b64 exec, exec, s[52:53]
.LBB49_74:                              ;   in Loop: Header=BB49_10 Depth=2
	s_or_b64 exec, exec, s[70:71]
.LBB49_75:                              ;   in Loop: Header=BB49_10 Depth=2
	s_or_b64 exec, exec, s[94:95]
.LBB49_76:                              ;   in Loop: Header=BB49_10 Depth=2
	s_or_b64 exec, exec, s[26:27]
	s_or_b64 exec, exec, s[92:93]
	s_and_b64 s[52:53], s[34:35], s[90:91]
	s_and_saveexec_b64 s[26:27], s[52:53]
	s_cbranch_execz .LBB49_9
.LBB49_77:                              ;   in Loop: Header=BB49_10 Depth=2
	v_cmp_ge_i32_e32 vcc, v30, v48
	s_and_saveexec_b64 s[52:53], vcc
	s_xor_b64 s[70:71], exec, s[52:53]
	s_cbranch_execnz .LBB49_84
; %bb.78:                               ;   in Loop: Header=BB49_10 Depth=2
	s_andn2_saveexec_b64 s[70:71], s[70:71]
	s_cbranch_execnz .LBB49_98
.LBB49_79:                              ;   in Loop: Header=BB49_10 Depth=2
	s_or_b64 exec, exec, s[70:71]
	v_cmp_eq_u32_e32 vcc, v13, v23
	s_and_saveexec_b64 s[56:57], vcc
	s_cbranch_execz .LBB49_81
.LBB49_80:                              ;   in Loop: Header=BB49_10 Depth=2
	v_lshlrev_b64 v[5:6], 4, v[23:24]
	v_mov_b32_e32 v7, s61
	v_add_co_u32_e32 v5, vcc, s60, v5
	v_addc_co_u32_e32 v6, vcc, v7, v6, vcc
	global_load_dwordx4 v[5:8], v[5:6], off
	s_waitcnt vmcnt(0)
	v_add_f64 v[25:26], v[25:26], v[5:6]
	v_add_f64 v[27:28], v[27:28], v[7:8]
.LBB49_81:                              ;   in Loop: Header=BB49_10 Depth=2
	s_or_b64 exec, exec, s[56:57]
	v_add_f64 v[1:2], v[1:2], -v[25:26]
	v_add_f64 v[7:8], v[3:4], -v[27:28]
                                        ; implicit-def: $vgpr5_vgpr6
	v_cmp_gt_f64_e32 vcc, 0, v[1:2]
	v_xor_b32_e32 v3, 0x80000000, v2
	v_xor_b32_e32 v4, 0x80000000, v8
	v_cndmask_b32_e32 v2, v2, v3, vcc
	v_cmp_gt_f64_e32 vcc, 0, v[7:8]
	v_mov_b32_e32 v3, v7
	v_cndmask_b32_e32 v4, v8, v4, vcc
	v_cmp_ngt_f64_e32 vcc, v[1:2], v[3:4]
	s_and_saveexec_b64 s[52:53], vcc
	s_xor_b64 s[56:57], exec, s[52:53]
	s_cbranch_execnz .LBB49_89
; %bb.82:                               ;   in Loop: Header=BB49_10 Depth=2
	s_andn2_saveexec_b64 s[56:57], s[56:57]
	s_cbranch_execnz .LBB49_92
.LBB49_83:                              ;   in Loop: Header=BB49_10 Depth=2
	s_or_b64 exec, exec, s[56:57]
	v_cmp_class_f64_e64 s[56:57], v[5:6], s0
	s_and_saveexec_b64 s[52:53], s[56:57]
	s_cbranch_execz .LBB49_8
	s_branch .LBB49_93
.LBB49_84:                              ;   in Loop: Header=BB49_10 Depth=2
	v_cmp_lt_i32_e32 vcc, v18, v41
	s_and_saveexec_b64 s[74:75], vcc
	s_cbranch_execz .LBB49_97
; %bb.85:                               ;   in Loop: Header=BB49_10 Depth=2
	s_mov_b64 s[92:93], 0
                                        ; implicit-def: $sgpr90_sgpr91
                                        ; implicit-def: $sgpr58_sgpr59
                                        ; implicit-def: $sgpr56_sgpr57
	s_branch .LBB49_87
.LBB49_86:                              ;   in Loop: Header=BB49_87 Depth=3
	s_or_b64 exec, exec, s[52:53]
	s_and_b64 s[52:53], exec, s[58:59]
	s_or_b64 s[92:93], s[52:53], s[92:93]
	s_andn2_b64 s[52:53], s[90:91], exec
	s_and_b64 s[84:85], s[56:57], exec
	s_or_b64 s[90:91], s[52:53], s[84:85]
	s_andn2_b64 exec, exec, s[92:93]
	s_cbranch_execz .LBB49_94
.LBB49_87:                              ;   Parent Loop BB49_3 Depth=1
                                        ;     Parent Loop BB49_10 Depth=2
                                        ; =>    This Inner Loop Header: Depth=3
	v_add_u32_e32 v5, v20, v18
	v_ashrrev_i32_e32 v6, 31, v5
	v_lshlrev_b64 v[7:8], 2, v[5:6]
	v_mov_b32_e32 v9, s41
	v_add_co_u32_e32 v7, vcc, s40, v7
	v_addc_co_u32_e32 v8, vcc, v9, v8, vcc
	global_load_dword v7, v[7:8], off
	s_or_b64 s[56:57], s[56:57], exec
	s_or_b64 s[58:59], s[58:59], exec
	s_waitcnt vmcnt(0)
	v_subrev_u32_e32 v7, s68, v7
	v_cmp_ne_u32_e32 vcc, v7, v23
	s_and_saveexec_b64 s[52:53], vcc
	s_cbranch_execz .LBB49_86
; %bb.88:                               ;   in Loop: Header=BB49_87 Depth=3
	v_add_u32_e32 v18, 1, v18
	v_cmp_ge_i32_e32 vcc, v18, v41
	s_andn2_b64 s[58:59], s[58:59], exec
	s_and_b64 s[84:85], vcc, exec
	s_andn2_b64 s[56:57], s[56:57], exec
	s_or_b64 s[58:59], s[58:59], s[84:85]
	s_branch .LBB49_86
.LBB49_89:                              ;   in Loop: Header=BB49_10 Depth=2
	v_cmp_neq_f64_e32 vcc, 0, v[7:8]
	v_mov_b32_e32 v5, 0
	v_mov_b32_e32 v6, 0
	s_and_saveexec_b64 s[58:59], vcc
	s_cbranch_execz .LBB49_91
; %bb.90:                               ;   in Loop: Header=BB49_10 Depth=2
	v_div_scale_f64 v[5:6], s[52:53], v[3:4], v[3:4], v[1:2]
	v_rcp_f64_e32 v[7:8], v[5:6]
	v_fma_f64 v[9:10], -v[5:6], v[7:8], 1.0
	v_fma_f64 v[7:8], v[7:8], v[9:10], v[7:8]
	v_div_scale_f64 v[9:10], vcc, v[1:2], v[3:4], v[1:2]
	v_fma_f64 v[11:12], -v[5:6], v[7:8], 1.0
	v_fma_f64 v[7:8], v[7:8], v[11:12], v[7:8]
	v_mul_f64 v[11:12], v[9:10], v[7:8]
	v_fma_f64 v[5:6], -v[5:6], v[11:12], v[9:10]
	v_div_fmas_f64 v[5:6], v[5:6], v[7:8], v[11:12]
	v_div_fixup_f64 v[1:2], v[5:6], v[3:4], v[1:2]
	v_fma_f64 v[1:2], v[1:2], v[1:2], 1.0
	v_cmp_gt_f64_e32 vcc, s[82:83], v[1:2]
	v_cndmask_b32_e32 v5, 0, v39, vcc
	v_ldexp_f64 v[1:2], v[1:2], v5
	v_rsq_f64_e32 v[5:6], v[1:2]
	v_mul_f64 v[7:8], v[1:2], v[5:6]
	v_mul_f64 v[5:6], v[5:6], 0.5
	v_fma_f64 v[9:10], -v[5:6], v[7:8], 0.5
	v_fma_f64 v[7:8], v[7:8], v[9:10], v[7:8]
	v_fma_f64 v[5:6], v[5:6], v[9:10], v[5:6]
	v_fma_f64 v[9:10], -v[7:8], v[7:8], v[1:2]
	v_fma_f64 v[7:8], v[9:10], v[5:6], v[7:8]
	v_fma_f64 v[9:10], -v[7:8], v[7:8], v[1:2]
	v_fma_f64 v[5:6], v[9:10], v[5:6], v[7:8]
	v_cndmask_b32_e32 v7, 0, v40, vcc
	v_cmp_class_f64_e32 vcc, v[1:2], v38
	v_ldexp_f64 v[5:6], v[5:6], v7
	v_cndmask_b32_e32 v2, v6, v2, vcc
	v_cndmask_b32_e32 v1, v5, v1, vcc
	v_mul_f64 v[5:6], v[3:4], v[1:2]
.LBB49_91:                              ;   in Loop: Header=BB49_10 Depth=2
	s_or_b64 exec, exec, s[58:59]
                                        ; implicit-def: $vgpr1_vgpr2
                                        ; implicit-def: $vgpr3_vgpr4
	s_andn2_saveexec_b64 s[56:57], s[56:57]
	s_cbranch_execz .LBB49_83
.LBB49_92:                              ;   in Loop: Header=BB49_10 Depth=2
	v_div_scale_f64 v[5:6], s[52:53], v[1:2], v[1:2], v[3:4]
	v_rcp_f64_e32 v[7:8], v[5:6]
	v_fma_f64 v[9:10], -v[5:6], v[7:8], 1.0
	v_fma_f64 v[7:8], v[7:8], v[9:10], v[7:8]
	v_div_scale_f64 v[9:10], vcc, v[3:4], v[1:2], v[3:4]
	v_fma_f64 v[11:12], -v[5:6], v[7:8], 1.0
	v_fma_f64 v[7:8], v[7:8], v[11:12], v[7:8]
	v_mul_f64 v[11:12], v[9:10], v[7:8]
	v_fma_f64 v[5:6], -v[5:6], v[11:12], v[9:10]
	v_div_fmas_f64 v[5:6], v[5:6], v[7:8], v[11:12]
	v_div_fixup_f64 v[3:4], v[5:6], v[1:2], v[3:4]
	v_fma_f64 v[3:4], v[3:4], v[3:4], 1.0
	v_cmp_gt_f64_e32 vcc, s[82:83], v[3:4]
	v_cndmask_b32_e32 v5, 0, v39, vcc
	v_ldexp_f64 v[3:4], v[3:4], v5
	v_rsq_f64_e32 v[5:6], v[3:4]
	v_mul_f64 v[7:8], v[3:4], v[5:6]
	v_mul_f64 v[5:6], v[5:6], 0.5
	v_fma_f64 v[9:10], -v[5:6], v[7:8], 0.5
	v_fma_f64 v[7:8], v[7:8], v[9:10], v[7:8]
	v_fma_f64 v[5:6], v[5:6], v[9:10], v[5:6]
	v_fma_f64 v[9:10], -v[7:8], v[7:8], v[3:4]
	v_fma_f64 v[7:8], v[9:10], v[5:6], v[7:8]
	v_fma_f64 v[9:10], -v[7:8], v[7:8], v[3:4]
	v_fma_f64 v[5:6], v[9:10], v[5:6], v[7:8]
	v_cndmask_b32_e32 v7, 0, v40, vcc
	v_cmp_class_f64_e32 vcc, v[3:4], v38
	v_ldexp_f64 v[5:6], v[5:6], v7
	v_cndmask_b32_e32 v4, v6, v4, vcc
	v_cndmask_b32_e32 v3, v5, v3, vcc
	v_mul_f64 v[5:6], v[1:2], v[3:4]
	s_or_b64 exec, exec, s[56:57]
	v_cmp_class_f64_e64 s[56:57], v[5:6], s0
	s_and_saveexec_b64 s[52:53], s[56:57]
	s_cbranch_execz .LBB49_8
.LBB49_93:                              ;   in Loop: Header=BB49_10 Depth=2
	v_cmp_lt_f64_e32 vcc, v[14:15], v[5:6]
	v_cndmask_b32_e32 v15, v15, v6, vcc
	v_cndmask_b32_e32 v14, v14, v5, vcc
	s_branch .LBB49_8
.LBB49_94:                              ;   in Loop: Header=BB49_10 Depth=2
	s_or_b64 exec, exec, s[92:93]
	s_and_saveexec_b64 s[52:53], s[90:91]
	s_xor_b64 s[56:57], exec, s[52:53]
	s_cbranch_execz .LBB49_96
; %bb.95:                               ;   in Loop: Header=BB49_10 Depth=2
	v_lshlrev_b64 v[5:6], 4, v[5:6]
	v_mov_b32_e32 v7, s43
	v_add_co_u32_e32 v9, vcc, s42, v5
	v_addc_co_u32_e32 v10, vcc, v7, v6, vcc
	v_lshlrev_b64 v[5:6], 4, v[23:24]
	v_mov_b32_e32 v7, s61
	v_add_co_u32_e32 v5, vcc, s60, v5
	v_addc_co_u32_e32 v6, vcc, v7, v6, vcc
	global_load_dwordx4 v[5:8], v[5:6], off
	s_nop 0
	global_load_dwordx4 v[9:12], v[9:10], off
	s_waitcnt vmcnt(0)
	v_mul_f64 v[29:30], v[7:8], -v[11:12]
	v_mul_f64 v[7:8], v[7:8], v[9:10]
	v_fma_f64 v[9:10], v[9:10], v[5:6], v[29:30]
	v_fma_f64 v[5:6], v[11:12], v[5:6], v[7:8]
	v_add_f64 v[25:26], v[25:26], v[9:10]
	v_add_f64 v[27:28], v[27:28], v[5:6]
.LBB49_96:                              ;   in Loop: Header=BB49_10 Depth=2
	s_or_b64 exec, exec, s[56:57]
.LBB49_97:                              ;   in Loop: Header=BB49_10 Depth=2
	s_or_b64 exec, exec, s[74:75]
                                        ; implicit-def: $vgpr30
                                        ; implicit-def: $vgpr29
                                        ; implicit-def: $vgpr48
	s_andn2_saveexec_b64 s[70:71], s[70:71]
	s_cbranch_execz .LBB49_79
.LBB49_98:                              ;   in Loop: Header=BB49_10 Depth=2
	s_mov_b64 s[90:91], 0
                                        ; implicit-def: $sgpr74_sgpr75
                                        ; implicit-def: $sgpr58_sgpr59
                                        ; implicit-def: $sgpr56_sgpr57
	s_branch .LBB49_100
.LBB49_99:                              ;   in Loop: Header=BB49_100 Depth=3
	s_or_b64 exec, exec, s[52:53]
	s_and_b64 s[52:53], exec, s[58:59]
	s_or_b64 s[90:91], s[52:53], s[90:91]
	s_andn2_b64 s[52:53], s[74:75], exec
	s_and_b64 s[74:75], s[56:57], exec
	s_or_b64 s[74:75], s[52:53], s[74:75]
	s_andn2_b64 exec, exec, s[90:91]
	s_cbranch_execz .LBB49_102
.LBB49_100:                             ;   Parent Loop BB49_3 Depth=1
                                        ;     Parent Loop BB49_10 Depth=2
                                        ; =>    This Inner Loop Header: Depth=3
	v_add_u32_e32 v5, v29, v30
	v_ashrrev_i32_e32 v6, 31, v5
	v_lshlrev_b64 v[7:8], 2, v[5:6]
	v_mov_b32_e32 v9, s49
	v_add_co_u32_e32 v7, vcc, s48, v7
	v_addc_co_u32_e32 v8, vcc, v9, v8, vcc
	global_load_dword v7, v[7:8], off
	s_or_b64 s[56:57], s[56:57], exec
	s_or_b64 s[58:59], s[58:59], exec
	s_waitcnt vmcnt(0)
	v_subrev_u32_e32 v7, s72, v7
	v_cmp_ne_u32_e32 vcc, v7, v13
	s_and_saveexec_b64 s[52:53], vcc
	s_cbranch_execz .LBB49_99
; %bb.101:                              ;   in Loop: Header=BB49_100 Depth=3
	v_add_u32_e32 v30, 1, v30
	v_cmp_ge_i32_e32 vcc, v30, v48
	s_andn2_b64 s[58:59], s[58:59], exec
	s_and_b64 s[84:85], vcc, exec
	s_andn2_b64 s[56:57], s[56:57], exec
	s_or_b64 s[58:59], s[58:59], s[84:85]
	s_branch .LBB49_99
.LBB49_102:                             ;   in Loop: Header=BB49_10 Depth=2
	s_or_b64 exec, exec, s[90:91]
	s_and_saveexec_b64 s[52:53], s[74:75]
	s_xor_b64 s[56:57], exec, s[52:53]
	s_cbranch_execz .LBB49_104
; %bb.103:                              ;   in Loop: Header=BB49_10 Depth=2
	v_lshlrev_b64 v[5:6], 4, v[5:6]
	v_mov_b32_e32 v7, s51
	v_add_co_u32_e32 v5, vcc, s50, v5
	v_addc_co_u32_e32 v6, vcc, v7, v6, vcc
	global_load_dwordx4 v[5:8], v[5:6], off
	s_waitcnt vmcnt(0)
	v_add_f64 v[25:26], v[25:26], v[5:6]
	v_add_f64 v[27:28], v[27:28], v[7:8]
.LBB49_104:                             ;   in Loop: Header=BB49_10 Depth=2
	s_or_b64 exec, exec, s[56:57]
	s_or_b64 exec, exec, s[70:71]
	v_cmp_eq_u32_e32 vcc, v13, v23
	s_and_saveexec_b64 s[56:57], vcc
	s_cbranch_execnz .LBB49_80
	s_branch .LBB49_81
.LBB49_105:                             ;   in Loop: Header=BB49_10 Depth=2
	v_cmp_neq_f64_e32 vcc, 0, v[11:12]
	v_mov_b32_e32 v9, 0
	v_mov_b32_e32 v10, 0
	s_and_saveexec_b64 s[58:59], vcc
	s_cbranch_execz .LBB49_107
; %bb.106:                              ;   in Loop: Header=BB49_10 Depth=2
	v_div_scale_f64 v[9:10], s[52:53], v[7:8], v[7:8], v[5:6]
	v_rcp_f64_e32 v[11:12], v[9:10]
	v_fma_f64 v[31:32], -v[9:10], v[11:12], 1.0
	v_fma_f64 v[11:12], v[11:12], v[31:32], v[11:12]
	v_div_scale_f64 v[31:32], vcc, v[5:6], v[7:8], v[5:6]
	v_fma_f64 v[33:34], -v[9:10], v[11:12], 1.0
	v_fma_f64 v[11:12], v[11:12], v[33:34], v[11:12]
	v_mul_f64 v[33:34], v[31:32], v[11:12]
	v_fma_f64 v[9:10], -v[9:10], v[33:34], v[31:32]
	v_div_fmas_f64 v[9:10], v[9:10], v[11:12], v[33:34]
	v_div_fixup_f64 v[5:6], v[9:10], v[7:8], v[5:6]
	v_fma_f64 v[5:6], v[5:6], v[5:6], 1.0
	v_cmp_gt_f64_e32 vcc, s[82:83], v[5:6]
	v_cndmask_b32_e32 v9, 0, v39, vcc
	v_ldexp_f64 v[5:6], v[5:6], v9
	v_rsq_f64_e32 v[9:10], v[5:6]
	v_mul_f64 v[11:12], v[5:6], v[9:10]
	v_mul_f64 v[9:10], v[9:10], 0.5
	v_fma_f64 v[31:32], -v[9:10], v[11:12], 0.5
	v_fma_f64 v[11:12], v[11:12], v[31:32], v[11:12]
	v_fma_f64 v[9:10], v[9:10], v[31:32], v[9:10]
	v_fma_f64 v[31:32], -v[11:12], v[11:12], v[5:6]
	v_fma_f64 v[11:12], v[31:32], v[9:10], v[11:12]
	v_fma_f64 v[31:32], -v[11:12], v[11:12], v[5:6]
	v_fma_f64 v[9:10], v[31:32], v[9:10], v[11:12]
	v_cndmask_b32_e32 v11, 0, v40, vcc
	v_cmp_class_f64_e32 vcc, v[5:6], v38
	v_ldexp_f64 v[9:10], v[9:10], v11
	v_cndmask_b32_e32 v6, v10, v6, vcc
	v_cndmask_b32_e32 v5, v9, v5, vcc
	v_mul_f64 v[9:10], v[7:8], v[5:6]
.LBB49_107:                             ;   in Loop: Header=BB49_10 Depth=2
	s_or_b64 exec, exec, s[58:59]
                                        ; implicit-def: $vgpr5_vgpr6
                                        ; implicit-def: $vgpr7_vgpr8
	s_andn2_saveexec_b64 s[56:57], s[56:57]
	s_cbranch_execz .LBB49_41
.LBB49_108:                             ;   in Loop: Header=BB49_10 Depth=2
	v_div_scale_f64 v[9:10], s[52:53], v[5:6], v[5:6], v[7:8]
	v_rcp_f64_e32 v[11:12], v[9:10]
	v_fma_f64 v[31:32], -v[9:10], v[11:12], 1.0
	v_fma_f64 v[11:12], v[11:12], v[31:32], v[11:12]
	v_div_scale_f64 v[31:32], vcc, v[7:8], v[5:6], v[7:8]
	v_fma_f64 v[33:34], -v[9:10], v[11:12], 1.0
	v_fma_f64 v[11:12], v[11:12], v[33:34], v[11:12]
	v_mul_f64 v[33:34], v[31:32], v[11:12]
	v_fma_f64 v[9:10], -v[9:10], v[33:34], v[31:32]
	v_div_fmas_f64 v[9:10], v[9:10], v[11:12], v[33:34]
	v_div_fixup_f64 v[7:8], v[9:10], v[5:6], v[7:8]
	v_fma_f64 v[7:8], v[7:8], v[7:8], 1.0
	v_cmp_gt_f64_e32 vcc, s[82:83], v[7:8]
	v_cndmask_b32_e32 v9, 0, v39, vcc
	v_ldexp_f64 v[7:8], v[7:8], v9
	v_rsq_f64_e32 v[9:10], v[7:8]
	v_mul_f64 v[11:12], v[7:8], v[9:10]
	v_mul_f64 v[9:10], v[9:10], 0.5
	v_fma_f64 v[31:32], -v[9:10], v[11:12], 0.5
	v_fma_f64 v[11:12], v[11:12], v[31:32], v[11:12]
	v_fma_f64 v[9:10], v[9:10], v[31:32], v[9:10]
	v_fma_f64 v[31:32], -v[11:12], v[11:12], v[7:8]
	v_fma_f64 v[11:12], v[31:32], v[9:10], v[11:12]
	v_fma_f64 v[31:32], -v[11:12], v[11:12], v[7:8]
	v_fma_f64 v[9:10], v[31:32], v[9:10], v[11:12]
	v_cndmask_b32_e32 v11, 0, v40, vcc
	v_cmp_class_f64_e32 vcc, v[7:8], v38
	v_ldexp_f64 v[9:10], v[9:10], v11
	v_cndmask_b32_e32 v8, v10, v8, vcc
	v_cndmask_b32_e32 v7, v9, v7, vcc
	v_mul_f64 v[9:10], v[5:6], v[7:8]
	s_or_b64 exec, exec, s[56:57]
	v_cmp_class_f64_e64 s[56:57], v[9:10], s0
	s_and_saveexec_b64 s[52:53], s[56:57]
	s_cbranch_execnz .LBB49_42
	s_branch .LBB49_43
.LBB49_109:                             ;   in Loop: Header=BB49_10 Depth=2
	v_cmp_neq_f64_e32 vcc, 0, v[11:12]
	v_mov_b32_e32 v9, 0
	v_mov_b32_e32 v10, 0
	s_and_saveexec_b64 s[58:59], vcc
	s_cbranch_execz .LBB49_111
; %bb.110:                              ;   in Loop: Header=BB49_10 Depth=2
	v_div_scale_f64 v[9:10], s[52:53], v[7:8], v[7:8], v[5:6]
	v_rcp_f64_e32 v[11:12], v[9:10]
	v_fma_f64 v[31:32], -v[9:10], v[11:12], 1.0
	v_fma_f64 v[11:12], v[11:12], v[31:32], v[11:12]
	v_div_scale_f64 v[31:32], vcc, v[5:6], v[7:8], v[5:6]
	v_fma_f64 v[33:34], -v[9:10], v[11:12], 1.0
	v_fma_f64 v[11:12], v[11:12], v[33:34], v[11:12]
	v_mul_f64 v[33:34], v[31:32], v[11:12]
	v_fma_f64 v[9:10], -v[9:10], v[33:34], v[31:32]
	v_div_fmas_f64 v[9:10], v[9:10], v[11:12], v[33:34]
	v_div_fixup_f64 v[5:6], v[9:10], v[7:8], v[5:6]
	v_fma_f64 v[5:6], v[5:6], v[5:6], 1.0
	v_cmp_gt_f64_e32 vcc, s[82:83], v[5:6]
	v_cndmask_b32_e32 v9, 0, v39, vcc
	v_ldexp_f64 v[5:6], v[5:6], v9
	v_rsq_f64_e32 v[9:10], v[5:6]
	v_mul_f64 v[11:12], v[5:6], v[9:10]
	v_mul_f64 v[9:10], v[9:10], 0.5
	v_fma_f64 v[31:32], -v[9:10], v[11:12], 0.5
	v_fma_f64 v[11:12], v[11:12], v[31:32], v[11:12]
	v_fma_f64 v[9:10], v[9:10], v[31:32], v[9:10]
	v_fma_f64 v[31:32], -v[11:12], v[11:12], v[5:6]
	v_fma_f64 v[11:12], v[31:32], v[9:10], v[11:12]
	v_fma_f64 v[31:32], -v[11:12], v[11:12], v[5:6]
	v_fma_f64 v[9:10], v[31:32], v[9:10], v[11:12]
	v_cndmask_b32_e32 v11, 0, v40, vcc
	v_cmp_class_f64_e32 vcc, v[5:6], v38
	v_ldexp_f64 v[9:10], v[9:10], v11
	v_cndmask_b32_e32 v6, v10, v6, vcc
	v_cndmask_b32_e32 v5, v9, v5, vcc
	v_mul_f64 v[9:10], v[7:8], v[5:6]
.LBB49_111:                             ;   in Loop: Header=BB49_10 Depth=2
	s_or_b64 exec, exec, s[58:59]
                                        ; implicit-def: $vgpr5_vgpr6
                                        ; implicit-def: $vgpr7_vgpr8
	s_andn2_saveexec_b64 s[56:57], s[56:57]
	s_cbranch_execz .LBB49_71
.LBB49_112:                             ;   in Loop: Header=BB49_10 Depth=2
	v_div_scale_f64 v[9:10], s[52:53], v[5:6], v[5:6], v[7:8]
	v_rcp_f64_e32 v[11:12], v[9:10]
	v_fma_f64 v[31:32], -v[9:10], v[11:12], 1.0
	v_fma_f64 v[11:12], v[11:12], v[31:32], v[11:12]
	v_div_scale_f64 v[31:32], vcc, v[7:8], v[5:6], v[7:8]
	v_fma_f64 v[33:34], -v[9:10], v[11:12], 1.0
	v_fma_f64 v[11:12], v[11:12], v[33:34], v[11:12]
	v_mul_f64 v[33:34], v[31:32], v[11:12]
	v_fma_f64 v[9:10], -v[9:10], v[33:34], v[31:32]
	v_div_fmas_f64 v[9:10], v[9:10], v[11:12], v[33:34]
	v_div_fixup_f64 v[7:8], v[9:10], v[5:6], v[7:8]
	v_fma_f64 v[7:8], v[7:8], v[7:8], 1.0
	v_cmp_gt_f64_e32 vcc, s[82:83], v[7:8]
	v_cndmask_b32_e32 v9, 0, v39, vcc
	v_ldexp_f64 v[7:8], v[7:8], v9
	v_rsq_f64_e32 v[9:10], v[7:8]
	v_mul_f64 v[11:12], v[7:8], v[9:10]
	v_mul_f64 v[9:10], v[9:10], 0.5
	v_fma_f64 v[31:32], -v[9:10], v[11:12], 0.5
	v_fma_f64 v[11:12], v[11:12], v[31:32], v[11:12]
	v_fma_f64 v[9:10], v[9:10], v[31:32], v[9:10]
	v_fma_f64 v[31:32], -v[11:12], v[11:12], v[7:8]
	v_fma_f64 v[11:12], v[31:32], v[9:10], v[11:12]
	v_fma_f64 v[31:32], -v[11:12], v[11:12], v[7:8]
	v_fma_f64 v[9:10], v[31:32], v[9:10], v[11:12]
	v_cndmask_b32_e32 v11, 0, v40, vcc
	v_cmp_class_f64_e32 vcc, v[7:8], v38
	v_ldexp_f64 v[9:10], v[9:10], v11
	v_cndmask_b32_e32 v8, v10, v8, vcc
	v_cndmask_b32_e32 v7, v9, v7, vcc
	v_mul_f64 v[9:10], v[5:6], v[7:8]
	s_or_b64 exec, exec, s[56:57]
	v_cmp_class_f64_e64 s[56:57], v[9:10], s0
	s_and_saveexec_b64 s[52:53], s[56:57]
	s_cbranch_execnz .LBB49_72
	s_branch .LBB49_73
.LBB49_113:                             ;   in Loop: Header=BB49_10 Depth=2
	v_cmp_neq_f64_e32 vcc, 0, v[11:12]
	v_mov_b32_e32 v9, 0
	v_mov_b32_e32 v10, 0
	s_and_saveexec_b64 s[58:59], vcc
	s_cbranch_execz .LBB49_115
; %bb.114:                              ;   in Loop: Header=BB49_10 Depth=2
	v_div_scale_f64 v[9:10], s[52:53], v[7:8], v[7:8], v[5:6]
	v_rcp_f64_e32 v[11:12], v[9:10]
	v_fma_f64 v[31:32], -v[9:10], v[11:12], 1.0
	v_fma_f64 v[11:12], v[11:12], v[31:32], v[11:12]
	v_div_scale_f64 v[31:32], vcc, v[5:6], v[7:8], v[5:6]
	v_fma_f64 v[33:34], -v[9:10], v[11:12], 1.0
	v_fma_f64 v[11:12], v[11:12], v[33:34], v[11:12]
	v_mul_f64 v[33:34], v[31:32], v[11:12]
	v_fma_f64 v[9:10], -v[9:10], v[33:34], v[31:32]
	v_div_fmas_f64 v[9:10], v[9:10], v[11:12], v[33:34]
	v_div_fixup_f64 v[5:6], v[9:10], v[7:8], v[5:6]
	v_fma_f64 v[5:6], v[5:6], v[5:6], 1.0
	v_cmp_gt_f64_e32 vcc, s[82:83], v[5:6]
	v_cndmask_b32_e32 v9, 0, v39, vcc
	v_ldexp_f64 v[5:6], v[5:6], v9
	v_rsq_f64_e32 v[9:10], v[5:6]
	v_mul_f64 v[11:12], v[5:6], v[9:10]
	v_mul_f64 v[9:10], v[9:10], 0.5
	v_fma_f64 v[31:32], -v[9:10], v[11:12], 0.5
	v_fma_f64 v[11:12], v[11:12], v[31:32], v[11:12]
	v_fma_f64 v[9:10], v[9:10], v[31:32], v[9:10]
	v_fma_f64 v[31:32], -v[11:12], v[11:12], v[5:6]
	v_fma_f64 v[11:12], v[31:32], v[9:10], v[11:12]
	v_fma_f64 v[31:32], -v[11:12], v[11:12], v[5:6]
	v_fma_f64 v[9:10], v[31:32], v[9:10], v[11:12]
	v_cndmask_b32_e32 v11, 0, v40, vcc
	v_cmp_class_f64_e32 vcc, v[5:6], v38
	v_ldexp_f64 v[9:10], v[9:10], v11
	v_cndmask_b32_e32 v6, v10, v6, vcc
	v_cndmask_b32_e32 v5, v9, v5, vcc
	v_mul_f64 v[9:10], v[7:8], v[5:6]
.LBB49_115:                             ;   in Loop: Header=BB49_10 Depth=2
	s_or_b64 exec, exec, s[58:59]
                                        ; implicit-def: $vgpr5_vgpr6
                                        ; implicit-def: $vgpr7_vgpr8
	s_andn2_saveexec_b64 s[56:57], s[56:57]
	s_cbranch_execz .LBB49_55
.LBB49_116:                             ;   in Loop: Header=BB49_10 Depth=2
	v_div_scale_f64 v[9:10], s[52:53], v[5:6], v[5:6], v[7:8]
	v_rcp_f64_e32 v[11:12], v[9:10]
	v_fma_f64 v[31:32], -v[9:10], v[11:12], 1.0
	v_fma_f64 v[11:12], v[11:12], v[31:32], v[11:12]
	v_div_scale_f64 v[31:32], vcc, v[7:8], v[5:6], v[7:8]
	v_fma_f64 v[33:34], -v[9:10], v[11:12], 1.0
	v_fma_f64 v[11:12], v[11:12], v[33:34], v[11:12]
	v_mul_f64 v[33:34], v[31:32], v[11:12]
	v_fma_f64 v[9:10], -v[9:10], v[33:34], v[31:32]
	v_div_fmas_f64 v[9:10], v[9:10], v[11:12], v[33:34]
	v_div_fixup_f64 v[7:8], v[9:10], v[5:6], v[7:8]
	v_fma_f64 v[7:8], v[7:8], v[7:8], 1.0
	v_cmp_gt_f64_e32 vcc, s[82:83], v[7:8]
	v_cndmask_b32_e32 v9, 0, v39, vcc
	v_ldexp_f64 v[7:8], v[7:8], v9
	v_rsq_f64_e32 v[9:10], v[7:8]
	v_mul_f64 v[11:12], v[7:8], v[9:10]
	v_mul_f64 v[9:10], v[9:10], 0.5
	v_fma_f64 v[31:32], -v[9:10], v[11:12], 0.5
	v_fma_f64 v[11:12], v[11:12], v[31:32], v[11:12]
	v_fma_f64 v[9:10], v[9:10], v[31:32], v[9:10]
	v_fma_f64 v[31:32], -v[11:12], v[11:12], v[7:8]
	v_fma_f64 v[11:12], v[31:32], v[9:10], v[11:12]
	v_fma_f64 v[31:32], -v[11:12], v[11:12], v[7:8]
	v_fma_f64 v[9:10], v[31:32], v[9:10], v[11:12]
	v_cndmask_b32_e32 v11, 0, v40, vcc
	v_cmp_class_f64_e32 vcc, v[7:8], v38
	v_ldexp_f64 v[9:10], v[9:10], v11
	v_cndmask_b32_e32 v8, v10, v8, vcc
	v_cndmask_b32_e32 v7, v9, v7, vcc
	v_mul_f64 v[9:10], v[5:6], v[7:8]
	s_or_b64 exec, exec, s[56:57]
	v_cmp_class_f64_e64 s[56:57], v[9:10], s0
	s_and_saveexec_b64 s[52:53], s[56:57]
	s_cbranch_execnz .LBB49_56
	s_branch .LBB49_57
.LBB49_117:                             ;   in Loop: Header=BB49_3 Depth=1
	s_or_b64 exec, exec, s[88:89]
	s_or_b64 exec, exec, s[86:87]
	s_andn2_b64 vcc, exec, s[64:65]
	s_cbranch_vccnz .LBB49_5
.LBB49_118:                             ;   in Loop: Header=BB49_3 Depth=1
	ds_write_b64 v37, v[16:17]
	s_waitcnt vmcnt(0) lgkmcnt(0)
	s_barrier
	s_and_saveexec_b64 s[26:27], s[16:17]
	s_cbranch_execz .LBB49_120
; %bb.119:                              ;   in Loop: Header=BB49_3 Depth=1
	ds_read2st64_b64 v[1:4], v37 offset1:8
	s_waitcnt lgkmcnt(0)
	v_cmp_lt_f64_e32 vcc, v[1:2], v[3:4]
	v_cndmask_b32_e32 v2, v2, v4, vcc
	v_cndmask_b32_e32 v1, v1, v3, vcc
	ds_write_b64 v37, v[1:2]
.LBB49_120:                             ;   in Loop: Header=BB49_3 Depth=1
	s_or_b64 exec, exec, s[26:27]
	s_waitcnt lgkmcnt(0)
	s_barrier
	s_and_saveexec_b64 s[26:27], s[18:19]
	s_cbranch_execz .LBB49_122
; %bb.121:                              ;   in Loop: Header=BB49_3 Depth=1
	ds_read2st64_b64 v[1:4], v37 offset1:4
	s_waitcnt lgkmcnt(0)
	v_cmp_lt_f64_e32 vcc, v[1:2], v[3:4]
	v_cndmask_b32_e32 v2, v2, v4, vcc
	v_cndmask_b32_e32 v1, v1, v3, vcc
	ds_write_b64 v37, v[1:2]
.LBB49_122:                             ;   in Loop: Header=BB49_3 Depth=1
	s_or_b64 exec, exec, s[26:27]
	s_waitcnt lgkmcnt(0)
	;; [unrolled: 13-line block ×3, first 2 shown]
	s_barrier
	s_mov_b64 s[26:27], exec
	v_readlane_b32 s52, v55, 14
	v_readlane_b32 s53, v55, 15
	s_and_b64 s[52:53], s[26:27], s[52:53]
	s_mov_b64 exec, s[52:53]
	s_cbranch_execz .LBB49_126
; %bb.125:                              ;   in Loop: Header=BB49_3 Depth=1
	ds_read2st64_b64 v[1:4], v37 offset1:1
	s_waitcnt lgkmcnt(0)
	v_cmp_lt_f64_e32 vcc, v[1:2], v[3:4]
	v_cndmask_b32_e32 v2, v2, v4, vcc
	v_cndmask_b32_e32 v1, v1, v3, vcc
	ds_write_b64 v37, v[1:2]
.LBB49_126:                             ;   in Loop: Header=BB49_3 Depth=1
	s_or_b64 exec, exec, s[26:27]
	s_waitcnt lgkmcnt(0)
	s_barrier
	s_and_saveexec_b64 s[26:27], s[2:3]
	s_cbranch_execz .LBB49_128
; %bb.127:                              ;   in Loop: Header=BB49_3 Depth=1
	ds_read2_b64 v[1:4], v37 offset1:32
	s_waitcnt lgkmcnt(0)
	v_cmp_lt_f64_e32 vcc, v[1:2], v[3:4]
	v_cndmask_b32_e32 v2, v2, v4, vcc
	v_cndmask_b32_e32 v1, v1, v3, vcc
	ds_write_b64 v37, v[1:2]
.LBB49_128:                             ;   in Loop: Header=BB49_3 Depth=1
	s_or_b64 exec, exec, s[26:27]
	s_waitcnt lgkmcnt(0)
	s_barrier
	s_and_saveexec_b64 s[26:27], s[4:5]
	s_cbranch_execz .LBB49_130
; %bb.129:                              ;   in Loop: Header=BB49_3 Depth=1
	ds_read2_b64 v[1:4], v37 offset1:16
	s_waitcnt lgkmcnt(0)
	v_cmp_lt_f64_e32 vcc, v[1:2], v[3:4]
	v_cndmask_b32_e32 v2, v2, v4, vcc
	v_cndmask_b32_e32 v1, v1, v3, vcc
	ds_write_b64 v37, v[1:2]
.LBB49_130:                             ;   in Loop: Header=BB49_3 Depth=1
	;; [unrolled: 13-line block ×5, first 2 shown]
	s_or_b64 exec, exec, s[26:27]
	s_waitcnt lgkmcnt(0)
	s_barrier
	s_and_saveexec_b64 s[26:27], s[12:13]
	s_cbranch_execz .LBB49_138
; %bb.137:                              ;   in Loop: Header=BB49_3 Depth=1
	ds_read_b128 v[1:4], v19
	s_waitcnt lgkmcnt(0)
	v_cmp_lt_f64_e32 vcc, v[1:2], v[3:4]
	v_cndmask_b32_e32 v2, v2, v4, vcc
	v_cndmask_b32_e32 v1, v1, v3, vcc
	ds_write_b64 v19, v[1:2]
.LBB49_138:                             ;   in Loop: Header=BB49_3 Depth=1
	s_or_b64 exec, exec, s[26:27]
	v_readlane_b32 s26, v55, 10
	v_readlane_b32 s27, v55, 11
	s_waitcnt lgkmcnt(0)
	s_barrier
	ds_read_b64 v[1:2], v19
	s_load_dwordx2 s[26:27], s[26:27], 0x0
	s_waitcnt lgkmcnt(0)
	v_div_scale_f64 v[3:4], s[52:53], s[26:27], s[26:27], v[1:2]
	v_div_scale_f64 v[9:10], vcc, v[1:2], s[26:27], v[1:2]
	v_rcp_f64_e32 v[5:6], v[3:4]
	v_fma_f64 v[7:8], -v[3:4], v[5:6], 1.0
	v_fma_f64 v[5:6], v[5:6], v[7:8], v[5:6]
	v_fma_f64 v[7:8], -v[3:4], v[5:6], 1.0
	v_fma_f64 v[5:6], v[5:6], v[7:8], v[5:6]
	v_mul_f64 v[7:8], v[9:10], v[5:6]
	v_fma_f64 v[3:4], -v[3:4], v[7:8], v[9:10]
	v_div_fmas_f64 v[3:4], v[3:4], v[5:6], v[7:8]
	v_div_fixup_f64 v[16:17], v[3:4], s[26:27], v[1:2]
	s_andn2_b64 vcc, exec, s[34:35]
	s_cbranch_vccnz .LBB49_6
.LBB49_139:                             ;   in Loop: Header=BB49_3 Depth=1
	ds_write_b64 v37, v[14:15]
	s_waitcnt vmcnt(0) lgkmcnt(0)
	s_barrier
	s_and_saveexec_b64 s[26:27], s[16:17]
	s_cbranch_execz .LBB49_141
; %bb.140:                              ;   in Loop: Header=BB49_3 Depth=1
	ds_read2st64_b64 v[1:4], v37 offset1:8
	s_waitcnt lgkmcnt(0)
	v_cmp_lt_f64_e32 vcc, v[1:2], v[3:4]
	v_cndmask_b32_e32 v2, v2, v4, vcc
	v_cndmask_b32_e32 v1, v1, v3, vcc
	ds_write_b64 v37, v[1:2]
.LBB49_141:                             ;   in Loop: Header=BB49_3 Depth=1
	s_or_b64 exec, exec, s[26:27]
	s_waitcnt lgkmcnt(0)
	s_barrier
	s_and_saveexec_b64 s[26:27], s[18:19]
	s_cbranch_execz .LBB49_143
; %bb.142:                              ;   in Loop: Header=BB49_3 Depth=1
	ds_read2st64_b64 v[1:4], v37 offset1:4
	s_waitcnt lgkmcnt(0)
	v_cmp_lt_f64_e32 vcc, v[1:2], v[3:4]
	v_cndmask_b32_e32 v2, v2, v4, vcc
	v_cndmask_b32_e32 v1, v1, v3, vcc
	ds_write_b64 v37, v[1:2]
.LBB49_143:                             ;   in Loop: Header=BB49_3 Depth=1
	s_or_b64 exec, exec, s[26:27]
	s_waitcnt lgkmcnt(0)
	s_barrier
	s_and_saveexec_b64 s[26:27], s[20:21]
	s_cbranch_execz .LBB49_145
; %bb.144:                              ;   in Loop: Header=BB49_3 Depth=1
	ds_read2st64_b64 v[1:4], v37 offset1:2
	s_waitcnt lgkmcnt(0)
	v_cmp_lt_f64_e32 vcc, v[1:2], v[3:4]
	v_cndmask_b32_e32 v2, v2, v4, vcc
	v_cndmask_b32_e32 v1, v1, v3, vcc
	ds_write_b64 v37, v[1:2]
.LBB49_145:                             ;   in Loop: Header=BB49_3 Depth=1
	s_or_b64 exec, exec, s[26:27]
	s_waitcnt lgkmcnt(0)
	s_barrier
	s_mov_b64 s[26:27], exec
	v_readlane_b32 s52, v55, 14
	v_readlane_b32 s53, v55, 15
	s_and_b64 s[52:53], s[26:27], s[52:53]
	s_mov_b64 exec, s[52:53]
	s_cbranch_execz .LBB49_147
; %bb.146:                              ;   in Loop: Header=BB49_3 Depth=1
	ds_read2st64_b64 v[1:4], v37 offset1:1
	s_waitcnt lgkmcnt(0)
	v_cmp_lt_f64_e32 vcc, v[1:2], v[3:4]
	v_cndmask_b32_e32 v2, v2, v4, vcc
	v_cndmask_b32_e32 v1, v1, v3, vcc
	ds_write_b64 v37, v[1:2]
.LBB49_147:                             ;   in Loop: Header=BB49_3 Depth=1
	s_or_b64 exec, exec, s[26:27]
	s_waitcnt lgkmcnt(0)
	s_barrier
	s_and_saveexec_b64 s[26:27], s[2:3]
	s_cbranch_execz .LBB49_149
; %bb.148:                              ;   in Loop: Header=BB49_3 Depth=1
	ds_read2_b64 v[1:4], v37 offset1:32
	s_waitcnt lgkmcnt(0)
	v_cmp_lt_f64_e32 vcc, v[1:2], v[3:4]
	v_cndmask_b32_e32 v2, v2, v4, vcc
	v_cndmask_b32_e32 v1, v1, v3, vcc
	ds_write_b64 v37, v[1:2]
.LBB49_149:                             ;   in Loop: Header=BB49_3 Depth=1
	s_or_b64 exec, exec, s[26:27]
	s_waitcnt lgkmcnt(0)
	s_barrier
	s_and_saveexec_b64 s[26:27], s[4:5]
	s_cbranch_execz .LBB49_151
; %bb.150:                              ;   in Loop: Header=BB49_3 Depth=1
	ds_read2_b64 v[1:4], v37 offset1:16
	s_waitcnt lgkmcnt(0)
	v_cmp_lt_f64_e32 vcc, v[1:2], v[3:4]
	v_cndmask_b32_e32 v2, v2, v4, vcc
	v_cndmask_b32_e32 v1, v1, v3, vcc
	ds_write_b64 v37, v[1:2]
.LBB49_151:                             ;   in Loop: Header=BB49_3 Depth=1
	;; [unrolled: 13-line block ×5, first 2 shown]
	s_or_b64 exec, exec, s[26:27]
	s_waitcnt lgkmcnt(0)
	s_barrier
	s_and_saveexec_b64 s[26:27], s[12:13]
	s_cbranch_execz .LBB49_159
; %bb.158:                              ;   in Loop: Header=BB49_3 Depth=1
	ds_read_b128 v[1:4], v19
	s_waitcnt lgkmcnt(0)
	v_cmp_lt_f64_e32 vcc, v[1:2], v[3:4]
	v_cndmask_b32_e32 v2, v2, v4, vcc
	v_cndmask_b32_e32 v1, v1, v3, vcc
	ds_write_b64 v19, v[1:2]
.LBB49_159:                             ;   in Loop: Header=BB49_3 Depth=1
	s_or_b64 exec, exec, s[26:27]
	v_readlane_b32 s26, v55, 10
	v_readlane_b32 s27, v55, 11
	s_waitcnt lgkmcnt(0)
	s_barrier
	ds_read_b64 v[1:2], v19
	s_load_dwordx2 s[26:27], s[26:27], 0x0
	s_waitcnt lgkmcnt(0)
	v_div_scale_f64 v[3:4], s[52:53], s[26:27], s[26:27], v[1:2]
	v_div_scale_f64 v[9:10], vcc, v[1:2], s[26:27], v[1:2]
	v_rcp_f64_e32 v[5:6], v[3:4]
	v_fma_f64 v[7:8], -v[3:4], v[5:6], 1.0
	v_fma_f64 v[5:6], v[5:6], v[7:8], v[5:6]
	v_fma_f64 v[7:8], -v[3:4], v[5:6], 1.0
	v_fma_f64 v[5:6], v[5:6], v[7:8], v[5:6]
	v_mul_f64 v[7:8], v[9:10], v[5:6]
	v_fma_f64 v[3:4], -v[3:4], v[7:8], v[9:10]
	v_div_fmas_f64 v[3:4], v[3:4], v[5:6], v[7:8]
	v_div_fixup_f64 v[14:15], v[3:4], s[26:27], v[1:2]
	s_and_saveexec_b64 s[26:27], s[14:15]
	s_cbranch_execz .LBB49_170
.LBB49_160:                             ;   in Loop: Header=BB49_3 Depth=1
	s_mov_b64 s[70:71], 0
	v_mov_b32_e32 v1, v13
	s_branch .LBB49_163
.LBB49_161:                             ;   in Loop: Header=BB49_163 Depth=2
	s_or_b64 exec, exec, s[56:57]
	v_lshlrev_b64 v[6:7], 4, v[1:2]
	v_mov_b32_e32 v3, s63
	v_add_co_u32_e32 v2, vcc, s62, v6
	v_addc_co_u32_e32 v3, vcc, v3, v7, vcc
	global_load_dwordx4 v[2:5], v[2:3], off
	v_mov_b32_e32 v8, s61
	v_add_co_u32_e32 v6, vcc, s60, v6
	v_addc_co_u32_e32 v7, vcc, v8, v7, vcc
	s_waitcnt vmcnt(0)
	global_store_dwordx4 v[6:7], v[2:5], off
.LBB49_162:                             ;   in Loop: Header=BB49_163 Depth=2
	s_or_b64 exec, exec, s[74:75]
	v_add_u32_e32 v1, 0x400, v1
	v_cmp_le_u32_e32 vcc, s73, v1
	s_or_b64 s[70:71], vcc, s[70:71]
	s_andn2_b64 exec, exec, s[70:71]
	s_cbranch_execz .LBB49_170
.LBB49_163:                             ;   Parent Loop BB49_3 Depth=1
                                        ; =>  This Loop Header: Depth=2
                                        ;       Child Loop BB49_166 Depth 3
                                        ;       Child Loop BB49_169 Depth 3
	v_cmp_gt_i32_e32 vcc, s33, v1
	s_and_saveexec_b64 s[74:75], vcc
	s_cbranch_execz .LBB49_162
; %bb.164:                              ;   in Loop: Header=BB49_163 Depth=2
	v_ashrrev_i32_e32 v2, 31, v1
	v_lshlrev_b64 v[3:4], 2, v[1:2]
	v_mov_b32_e32 v6, s37
	v_add_co_u32_e32 v5, vcc, s36, v3
	v_addc_co_u32_e32 v6, vcc, v6, v4, vcc
	global_load_dword v5, v[5:6], off
	v_mov_b32_e32 v7, s39
	v_add_co_u32_e32 v6, vcc, s38, v3
	v_addc_co_u32_e32 v7, vcc, v7, v4, vcc
	global_load_dword v6, v[6:7], off
	s_waitcnt vmcnt(0)
	v_cmp_lt_i32_e32 vcc, v5, v6
	s_and_saveexec_b64 s[56:57], vcc
	s_cbranch_execz .LBB49_167
; %bb.165:                              ;   in Loop: Header=BB49_163 Depth=2
	v_subrev_u32_e32 v5, s68, v5
	v_subrev_u32_e32 v10, s68, v6
	v_ashrrev_i32_e32 v6, 31, v5
	v_lshlrev_b64 v[8:9], 4, v[5:6]
	v_mov_b32_e32 v7, s43
	v_add_co_u32_e32 v6, vcc, s42, v8
	v_addc_co_u32_e32 v7, vcc, v7, v9, vcc
	v_mov_b32_e32 v11, s77
	v_add_co_u32_e32 v8, vcc, s76, v8
	v_addc_co_u32_e32 v9, vcc, v11, v9, vcc
	s_mov_b64 s[58:59], 0
.LBB49_166:                             ;   Parent Loop BB49_3 Depth=1
                                        ;     Parent Loop BB49_163 Depth=2
                                        ; =>    This Inner Loop Header: Depth=3
	global_load_dwordx4 v[21:24], v[8:9], off
	v_add_co_u32_e32 v8, vcc, 16, v8
	v_add_u32_e32 v5, 1, v5
	v_addc_co_u32_e32 v9, vcc, 0, v9, vcc
	v_cmp_ge_i32_e32 vcc, v5, v10
	s_or_b64 s[58:59], vcc, s[58:59]
	s_waitcnt vmcnt(0)
	global_store_dwordx4 v[6:7], v[21:24], off
	v_add_co_u32_e32 v6, vcc, 16, v6
	v_addc_co_u32_e32 v7, vcc, 0, v7, vcc
	s_andn2_b64 exec, exec, s[58:59]
	s_cbranch_execnz .LBB49_166
.LBB49_167:                             ;   in Loop: Header=BB49_163 Depth=2
	s_or_b64 exec, exec, s[56:57]
	v_mov_b32_e32 v6, s45
	v_add_co_u32_e32 v5, vcc, s44, v3
	v_addc_co_u32_e32 v6, vcc, v6, v4, vcc
	global_load_dword v5, v[5:6], off
	v_mov_b32_e32 v6, s47
	v_add_co_u32_e32 v3, vcc, s46, v3
	v_addc_co_u32_e32 v4, vcc, v6, v4, vcc
	global_load_dword v3, v[3:4], off
	s_waitcnt vmcnt(0)
	v_cmp_lt_i32_e32 vcc, v5, v3
	s_and_saveexec_b64 s[56:57], vcc
	s_cbranch_execz .LBB49_161
; %bb.168:                              ;   in Loop: Header=BB49_163 Depth=2
	v_subrev_u32_e32 v8, s72, v3
	v_subrev_u32_e32 v3, s72, v5
	v_ashrrev_i32_e32 v4, 31, v3
	v_lshlrev_b64 v[6:7], 4, v[3:4]
	v_mov_b32_e32 v5, s51
	v_add_co_u32_e32 v4, vcc, s50, v6
	v_addc_co_u32_e32 v5, vcc, v5, v7, vcc
	v_mov_b32_e32 v9, s79
	v_add_co_u32_e32 v6, vcc, s78, v6
	v_addc_co_u32_e32 v7, vcc, v9, v7, vcc
	s_mov_b64 s[58:59], 0
.LBB49_169:                             ;   Parent Loop BB49_3 Depth=1
                                        ;     Parent Loop BB49_163 Depth=2
                                        ; =>    This Inner Loop Header: Depth=3
	global_load_dwordx4 v[9:12], v[6:7], off
	v_add_co_u32_e32 v6, vcc, 16, v6
	v_add_u32_e32 v3, 1, v3
	v_addc_co_u32_e32 v7, vcc, 0, v7, vcc
	v_cmp_ge_i32_e32 vcc, v3, v8
	s_or_b64 s[58:59], vcc, s[58:59]
	s_waitcnt vmcnt(0)
	global_store_dwordx4 v[4:5], v[9:12], off
	v_add_co_u32_e32 v4, vcc, 16, v4
	v_addc_co_u32_e32 v5, vcc, 0, v5, vcc
	s_andn2_b64 exec, exec, s[58:59]
	s_cbranch_execnz .LBB49_169
	s_branch .LBB49_161
.LBB49_170:                             ;   in Loop: Header=BB49_3 Depth=1
	s_or_b64 exec, exec, s[26:27]
	s_mov_b64 s[70:71], -1
	s_and_b64 vcc, exec, s[66:67]
	s_mov_b64 s[52:53], -1
	s_cbranch_vccz .LBB49_180
; %bb.171:                              ;   in Loop: Header=BB49_3 Depth=1
	v_readlane_b32 s52, v55, 16
	v_readlane_b32 s53, v55, 17
	s_mov_b64 s[26:27], -1
	s_and_b64 vcc, exec, s[52:53]
                                        ; implicit-def: $sgpr56_sgpr57
	s_cbranch_vccz .LBB49_177
; %bb.172:                              ;   in Loop: Header=BB49_3 Depth=1
	v_readlane_b32 s52, v55, 12
	v_readlane_b32 s53, v55, 13
	s_and_b64 vcc, exec, s[52:53]
                                        ; implicit-def: $sgpr56_sgpr57
	s_cbranch_vccz .LBB49_174
; %bb.173:                              ;   in Loop: Header=BB49_3 Depth=1
	v_readlane_b32 s56, v55, 0
	v_readlane_b32 s57, v55, 1
	;; [unrolled: 1-line block ×4, first 2 shown]
	v_cmp_ge_f64_e64 s[56:57], s[58:59], v[14:15]
	s_mov_b64 s[26:27], 0
.LBB49_174:                             ;   in Loop: Header=BB49_3 Depth=1
	s_andn2_b64 vcc, exec, s[26:27]
	s_cbranch_vccnz .LBB49_176
; %bb.175:                              ;   in Loop: Header=BB49_3 Depth=1
	v_readlane_b32 s84, v55, 0
	v_readlane_b32 s86, v55, 2
	;; [unrolled: 1-line block ×3, first 2 shown]
	v_cmp_ge_f64_e32 vcc, s[86:87], v[16:17]
	s_andn2_b64 s[26:27], s[56:57], exec
	v_readlane_b32 s85, v55, 1
	s_and_b64 s[52:53], vcc, exec
	s_or_b64 s[56:57], s[26:27], s[52:53]
.LBB49_176:                             ;   in Loop: Header=BB49_3 Depth=1
	s_mov_b64 s[26:27], 0
.LBB49_177:                             ;   in Loop: Header=BB49_3 Depth=1
	s_andn2_b64 vcc, exec, s[26:27]
	s_cbranch_vccnz .LBB49_179
; %bb.178:                              ;   in Loop: Header=BB49_3 Depth=1
	v_readlane_b32 s84, v55, 0
	v_readlane_b32 s86, v55, 2
	;; [unrolled: 1-line block ×3, first 2 shown]
	v_cmp_ge_f64_e32 vcc, s[86:87], v[16:17]
	v_cmp_ge_f64_e64 s[26:27], s[86:87], v[14:15]
	s_andn2_b64 s[52:53], s[56:57], exec
	v_readlane_b32 s85, v55, 1
	s_and_b64 s[26:27], vcc, s[26:27]
	s_and_b64 s[26:27], s[26:27], exec
	s_or_b64 s[56:57], s[52:53], s[26:27]
.LBB49_179:                             ;   in Loop: Header=BB49_3 Depth=1
	s_xor_b64 s[52:53], s[56:57], -1
.LBB49_180:                             ;   in Loop: Header=BB49_3 Depth=1
	v_mov_b32_e32 v1, s54
	s_and_saveexec_b64 s[26:27], s[52:53]
	s_cbranch_execz .LBB49_2
; %bb.181:                              ;   in Loop: Header=BB49_3 Depth=1
	s_add_i32 s54, s54, 1
	s_cmp_eq_u32 s54, s69
	s_cselect_b64 s[52:53], -1, 0
	v_mov_b32_e32 v1, s69
	s_orn2_b64 s[70:71], s[52:53], exec
	s_branch .LBB49_2
.LBB49_182:
	s_or_b64 exec, exec, s[80:81]
	v_readlane_b32 s8, v55, 6
	v_readlane_b32 s9, v55, 7
	;; [unrolled: 1-line block ×4, first 2 shown]
.LBB49_183:
	v_readlane_b32 s0, v55, 4
	v_readlane_b32 s1, v55, 5
	s_or_b64 exec, exec, s[0:1]
	s_andn2_b64 vcc, exec, s[66:67]
	s_cbranch_vccnz .LBB49_208
; %bb.184:
	v_lshlrev_b32_e32 v3, 2, v0
	s_movk_i32 s0, 0x200
	v_or_b32_e32 v2, 0x2000, v3
	v_cmp_gt_u32_e32 vcc, s0, v0
	ds_write_b32 v3, v1 offset:8192
	s_waitcnt vmcnt(0) lgkmcnt(0)
	s_barrier
	s_and_saveexec_b64 s[0:1], vcc
	s_cbranch_execz .LBB49_186
; %bb.185:
	ds_read2st64_b32 v[3:4], v2 offset1:8
	s_waitcnt lgkmcnt(0)
	v_max_i32_e32 v1, v3, v4
	ds_write_b32 v2, v1
.LBB49_186:
	s_or_b64 exec, exec, s[0:1]
	s_movk_i32 s0, 0x100
	v_cmp_gt_u32_e32 vcc, s0, v0
	s_waitcnt lgkmcnt(0)
	s_barrier
	s_and_saveexec_b64 s[0:1], vcc
	s_cbranch_execz .LBB49_188
; %bb.187:
	ds_read2st64_b32 v[3:4], v2 offset1:4
	s_waitcnt lgkmcnt(0)
	v_max_i32_e32 v1, v3, v4
	ds_write_b32 v2, v1
.LBB49_188:
	s_or_b64 exec, exec, s[0:1]
	s_movk_i32 s0, 0x80
	v_cmp_gt_u32_e32 vcc, s0, v0
	s_waitcnt lgkmcnt(0)
	s_barrier
	s_and_saveexec_b64 s[0:1], vcc
	s_cbranch_execz .LBB49_190
; %bb.189:
	ds_read2st64_b32 v[3:4], v2 offset1:2
	s_waitcnt lgkmcnt(0)
	v_max_i32_e32 v1, v3, v4
	ds_write_b32 v2, v1
.LBB49_190:
	s_or_b64 exec, exec, s[0:1]
	v_cmp_gt_u32_e32 vcc, 64, v0
	s_waitcnt lgkmcnt(0)
	s_barrier
	s_and_saveexec_b64 s[0:1], vcc
	s_cbranch_execz .LBB49_192
; %bb.191:
	ds_read2st64_b32 v[3:4], v2 offset1:1
	s_waitcnt lgkmcnt(0)
	v_max_i32_e32 v1, v3, v4
	ds_write_b32 v2, v1
.LBB49_192:
	s_or_b64 exec, exec, s[0:1]
	v_cmp_gt_u32_e32 vcc, 32, v0
	s_waitcnt lgkmcnt(0)
	s_barrier
	s_and_saveexec_b64 s[0:1], vcc
	s_cbranch_execz .LBB49_194
; %bb.193:
	ds_read2_b32 v[3:4], v2 offset1:32
	s_waitcnt lgkmcnt(0)
	v_max_i32_e32 v1, v3, v4
	ds_write_b32 v2, v1
.LBB49_194:
	s_or_b64 exec, exec, s[0:1]
	v_cmp_gt_u32_e32 vcc, 16, v0
	s_waitcnt lgkmcnt(0)
	s_barrier
	s_and_saveexec_b64 s[0:1], vcc
	s_cbranch_execz .LBB49_196
; %bb.195:
	ds_read2_b32 v[3:4], v2 offset1:16
	s_waitcnt lgkmcnt(0)
	v_max_i32_e32 v1, v3, v4
	ds_write_b32 v2, v1
.LBB49_196:
	;; [unrolled: 12-line block ×5, first 2 shown]
	s_or_b64 exec, exec, s[0:1]
	v_cmp_eq_u32_e32 vcc, 0, v0
	s_waitcnt lgkmcnt(0)
	s_barrier
	s_and_saveexec_b64 s[0:1], vcc
	s_cbranch_execz .LBB49_204
; %bb.203:
	v_mov_b32_e32 v3, 0
	ds_read_b64 v[1:2], v3 offset:8192
	s_waitcnt lgkmcnt(0)
	v_max_i32_e32 v1, v1, v2
	ds_write_b32 v3, v1 offset:8192
.LBB49_204:
	s_or_b64 exec, exec, s[0:1]
	s_waitcnt lgkmcnt(0)
	s_barrier
	s_and_saveexec_b64 s[0:1], vcc
	s_cbranch_execz .LBB49_207
; %bb.205:
	v_mbcnt_lo_u32_b32 v1, exec_lo, 0
	v_mbcnt_hi_u32_b32 v1, exec_hi, v1
	v_cmp_eq_u32_e32 vcc, 0, v1
	s_and_b64 exec, exec, vcc
	s_cbranch_execz .LBB49_207
; %bb.206:
	v_mov_b32_e32 v1, 0
	ds_read_b32 v2, v1 offset:8192
	v_readlane_b32 s4, v55, 0
	v_readlane_b32 s5, v55, 1
	;; [unrolled: 1-line block ×4, first 2 shown]
	s_waitcnt lgkmcnt(0)
	v_add_u32_e32 v2, 1, v2
	s_nop 0
	global_atomic_smax v1, v2, s[4:5]
.LBB49_207:
	s_or_b64 exec, exec, s[0:1]
.LBB49_208:
	v_cmp_eq_u32_e32 vcc, 0, v0
	s_and_b64 s[0:1], vcc, s[64:65]
	s_and_saveexec_b64 s[2:3], s[0:1]
	s_cbranch_execz .LBB49_215
; %bb.209:
	v_mov_b32_e32 v0, 0
	s_mov_b64 s[0:1], exec
	v_mov_b32_e32 v1, 0x7ff80000
.LBB49_210:                             ; =>This Inner Loop Header: Depth=1
	s_ff1_i32_b64 s6, s[0:1]
	v_readlane_b32 s5, v17, s6
	v_readlane_b32 s4, v16, s6
	v_max_f64 v[0:1], v[0:1], v[0:1]
	v_max_f64 v[2:3], s[4:5], s[4:5]
	s_lshl_b64 s[4:5], 1, s6
	s_andn2_b64 s[0:1], s[0:1], s[4:5]
	s_cmp_lg_u64 s[0:1], 0
	v_max_f64 v[0:1], v[0:1], v[2:3]
	s_cbranch_scc1 .LBB49_210
; %bb.211:
	v_mbcnt_lo_u32_b32 v2, exec_lo, 0
	v_mbcnt_hi_u32_b32 v2, exec_hi, v2
	v_cmp_eq_u32_e64 s[0:1], 0, v2
	s_and_saveexec_b64 s[4:5], s[0:1]
	s_xor_b64 s[4:5], exec, s[4:5]
	s_cbranch_execz .LBB49_215
; %bb.212:
	v_mov_b32_e32 v6, 0
	global_load_dwordx2 v[2:3], v6, s[8:9]
	v_max_f64 v[4:5], v[0:1], v[0:1]
	s_mov_b64 s[4:5], 0
.LBB49_213:                             ; =>This Inner Loop Header: Depth=1
	s_waitcnt vmcnt(0)
	v_max_f64 v[0:1], v[2:3], v[2:3]
	v_max_f64 v[0:1], v[0:1], v[4:5]
	global_atomic_cmpswap_x2 v[0:1], v6, v[0:3], s[8:9] glc
	s_waitcnt vmcnt(0)
	v_cmp_eq_u64_e64 s[0:1], v[0:1], v[2:3]
	v_mov_b32_e32 v3, v1
	s_or_b64 s[4:5], s[0:1], s[4:5]
	v_mov_b32_e32 v2, v0
	s_andn2_b64 exec, exec, s[4:5]
	s_cbranch_execnz .LBB49_213
; %bb.214:
	s_or_b64 exec, exec, s[4:5]
.LBB49_215:
	s_or_b64 exec, exec, s[2:3]
	s_and_b64 s[0:1], vcc, s[34:35]
	s_and_saveexec_b64 s[2:3], s[0:1]
	s_cbranch_execz .LBB49_221
; %bb.216:
	v_mov_b32_e32 v0, 0
	s_mov_b64 s[0:1], exec
	v_mov_b32_e32 v1, 0x7ff80000
.LBB49_217:                             ; =>This Inner Loop Header: Depth=1
	s_ff1_i32_b64 s4, s[0:1]
	v_readlane_b32 s3, v15, s4
	v_readlane_b32 s2, v14, s4
	v_max_f64 v[0:1], v[0:1], v[0:1]
	v_max_f64 v[2:3], s[2:3], s[2:3]
	s_lshl_b64 s[2:3], 1, s4
	s_andn2_b64 s[0:1], s[0:1], s[2:3]
	s_cmp_lg_u64 s[0:1], 0
	v_max_f64 v[0:1], v[0:1], v[2:3]
	s_cbranch_scc1 .LBB49_217
; %bb.218:
	v_mbcnt_lo_u32_b32 v2, exec_lo, 0
	v_mbcnt_hi_u32_b32 v2, exec_hi, v2
	v_cmp_eq_u32_e32 vcc, 0, v2
	s_and_saveexec_b64 s[0:1], vcc
	s_xor_b64 s[0:1], exec, s[0:1]
	s_cbranch_execz .LBB49_221
; %bb.219:
	v_mov_b32_e32 v6, 0
	global_load_dwordx2 v[2:3], v6, s[10:11]
	v_max_f64 v[4:5], v[0:1], v[0:1]
	s_mov_b64 s[0:1], 0
.LBB49_220:                             ; =>This Inner Loop Header: Depth=1
	s_waitcnt vmcnt(0)
	v_max_f64 v[0:1], v[2:3], v[2:3]
	v_max_f64 v[0:1], v[0:1], v[4:5]
	global_atomic_cmpswap_x2 v[0:1], v6, v[0:3], s[10:11] glc
	s_waitcnt vmcnt(0)
	v_cmp_eq_u64_e32 vcc, v[0:1], v[2:3]
	v_mov_b32_e32 v3, v1
	s_or_b64 s[0:1], vcc, s[0:1]
	v_mov_b32_e32 v2, v0
	s_andn2_b64 exec, exec, s[0:1]
	s_cbranch_execnz .LBB49_220
.LBB49_221:
	s_endpgm
	.section	.rodata,"a",@progbits
	.p2align	6, 0x0
	.amdhsa_kernel _ZN9rocsparseL6kernelILi1024ELi1E21rocsparse_complex_numIdEiiEEvbbbT3_PS3_NS_15floating_traitsIT1_E6data_tES3_T2_PKS9_SB_PKS3_PKS6_21rocsparse_index_base_SB_SB_SD_PS6_SH_SG_SB_SB_SD_SH_SH_SG_SH_SH_PS8_SI_PKS8_
		.amdhsa_group_segment_fixed_size 12288
		.amdhsa_private_segment_fixed_size 0
		.amdhsa_kernarg_size 208
		.amdhsa_user_sgpr_count 6
		.amdhsa_user_sgpr_private_segment_buffer 1
		.amdhsa_user_sgpr_dispatch_ptr 0
		.amdhsa_user_sgpr_queue_ptr 0
		.amdhsa_user_sgpr_kernarg_segment_ptr 1
		.amdhsa_user_sgpr_dispatch_id 0
		.amdhsa_user_sgpr_flat_scratch_init 0
		.amdhsa_user_sgpr_private_segment_size 0
		.amdhsa_uses_dynamic_stack 0
		.amdhsa_system_sgpr_private_segment_wavefront_offset 0
		.amdhsa_system_sgpr_workgroup_id_x 1
		.amdhsa_system_sgpr_workgroup_id_y 0
		.amdhsa_system_sgpr_workgroup_id_z 0
		.amdhsa_system_sgpr_workgroup_info 0
		.amdhsa_system_vgpr_workitem_id 0
		.amdhsa_next_free_vgpr 56
		.amdhsa_next_free_sgpr 96
		.amdhsa_reserve_vcc 1
		.amdhsa_reserve_flat_scratch 0
		.amdhsa_float_round_mode_32 0
		.amdhsa_float_round_mode_16_64 0
		.amdhsa_float_denorm_mode_32 3
		.amdhsa_float_denorm_mode_16_64 3
		.amdhsa_dx10_clamp 1
		.amdhsa_ieee_mode 1
		.amdhsa_fp16_overflow 0
		.amdhsa_exception_fp_ieee_invalid_op 0
		.amdhsa_exception_fp_denorm_src 0
		.amdhsa_exception_fp_ieee_div_zero 0
		.amdhsa_exception_fp_ieee_overflow 0
		.amdhsa_exception_fp_ieee_underflow 0
		.amdhsa_exception_fp_ieee_inexact 0
		.amdhsa_exception_int_div_zero 0
	.end_amdhsa_kernel
	.section	.text._ZN9rocsparseL6kernelILi1024ELi1E21rocsparse_complex_numIdEiiEEvbbbT3_PS3_NS_15floating_traitsIT1_E6data_tES3_T2_PKS9_SB_PKS3_PKS6_21rocsparse_index_base_SB_SB_SD_PS6_SH_SG_SB_SB_SD_SH_SH_SG_SH_SH_PS8_SI_PKS8_,"axG",@progbits,_ZN9rocsparseL6kernelILi1024ELi1E21rocsparse_complex_numIdEiiEEvbbbT3_PS3_NS_15floating_traitsIT1_E6data_tES3_T2_PKS9_SB_PKS3_PKS6_21rocsparse_index_base_SB_SB_SD_PS6_SH_SG_SB_SB_SD_SH_SH_SG_SH_SH_PS8_SI_PKS8_,comdat
.Lfunc_end49:
	.size	_ZN9rocsparseL6kernelILi1024ELi1E21rocsparse_complex_numIdEiiEEvbbbT3_PS3_NS_15floating_traitsIT1_E6data_tES3_T2_PKS9_SB_PKS3_PKS6_21rocsparse_index_base_SB_SB_SD_PS6_SH_SG_SB_SB_SD_SH_SH_SG_SH_SH_PS8_SI_PKS8_, .Lfunc_end49-_ZN9rocsparseL6kernelILi1024ELi1E21rocsparse_complex_numIdEiiEEvbbbT3_PS3_NS_15floating_traitsIT1_E6data_tES3_T2_PKS9_SB_PKS3_PKS6_21rocsparse_index_base_SB_SB_SD_PS6_SH_SG_SB_SB_SD_SH_SH_SG_SH_SH_PS8_SI_PKS8_
                                        ; -- End function
	.set _ZN9rocsparseL6kernelILi1024ELi1E21rocsparse_complex_numIdEiiEEvbbbT3_PS3_NS_15floating_traitsIT1_E6data_tES3_T2_PKS9_SB_PKS3_PKS6_21rocsparse_index_base_SB_SB_SD_PS6_SH_SG_SB_SB_SD_SH_SH_SG_SH_SH_PS8_SI_PKS8_.num_vgpr, 56
	.set _ZN9rocsparseL6kernelILi1024ELi1E21rocsparse_complex_numIdEiiEEvbbbT3_PS3_NS_15floating_traitsIT1_E6data_tES3_T2_PKS9_SB_PKS3_PKS6_21rocsparse_index_base_SB_SB_SD_PS6_SH_SG_SB_SB_SD_SH_SH_SG_SH_SH_PS8_SI_PKS8_.num_agpr, 0
	.set _ZN9rocsparseL6kernelILi1024ELi1E21rocsparse_complex_numIdEiiEEvbbbT3_PS3_NS_15floating_traitsIT1_E6data_tES3_T2_PKS9_SB_PKS3_PKS6_21rocsparse_index_base_SB_SB_SD_PS6_SH_SG_SB_SB_SD_SH_SH_SG_SH_SH_PS8_SI_PKS8_.numbered_sgpr, 96
	.set _ZN9rocsparseL6kernelILi1024ELi1E21rocsparse_complex_numIdEiiEEvbbbT3_PS3_NS_15floating_traitsIT1_E6data_tES3_T2_PKS9_SB_PKS3_PKS6_21rocsparse_index_base_SB_SB_SD_PS6_SH_SG_SB_SB_SD_SH_SH_SG_SH_SH_PS8_SI_PKS8_.num_named_barrier, 0
	.set _ZN9rocsparseL6kernelILi1024ELi1E21rocsparse_complex_numIdEiiEEvbbbT3_PS3_NS_15floating_traitsIT1_E6data_tES3_T2_PKS9_SB_PKS3_PKS6_21rocsparse_index_base_SB_SB_SD_PS6_SH_SG_SB_SB_SD_SH_SH_SG_SH_SH_PS8_SI_PKS8_.private_seg_size, 0
	.set _ZN9rocsparseL6kernelILi1024ELi1E21rocsparse_complex_numIdEiiEEvbbbT3_PS3_NS_15floating_traitsIT1_E6data_tES3_T2_PKS9_SB_PKS3_PKS6_21rocsparse_index_base_SB_SB_SD_PS6_SH_SG_SB_SB_SD_SH_SH_SG_SH_SH_PS8_SI_PKS8_.uses_vcc, 1
	.set _ZN9rocsparseL6kernelILi1024ELi1E21rocsparse_complex_numIdEiiEEvbbbT3_PS3_NS_15floating_traitsIT1_E6data_tES3_T2_PKS9_SB_PKS3_PKS6_21rocsparse_index_base_SB_SB_SD_PS6_SH_SG_SB_SB_SD_SH_SH_SG_SH_SH_PS8_SI_PKS8_.uses_flat_scratch, 0
	.set _ZN9rocsparseL6kernelILi1024ELi1E21rocsparse_complex_numIdEiiEEvbbbT3_PS3_NS_15floating_traitsIT1_E6data_tES3_T2_PKS9_SB_PKS3_PKS6_21rocsparse_index_base_SB_SB_SD_PS6_SH_SG_SB_SB_SD_SH_SH_SG_SH_SH_PS8_SI_PKS8_.has_dyn_sized_stack, 0
	.set _ZN9rocsparseL6kernelILi1024ELi1E21rocsparse_complex_numIdEiiEEvbbbT3_PS3_NS_15floating_traitsIT1_E6data_tES3_T2_PKS9_SB_PKS3_PKS6_21rocsparse_index_base_SB_SB_SD_PS6_SH_SG_SB_SB_SD_SH_SH_SG_SH_SH_PS8_SI_PKS8_.has_recursion, 0
	.set _ZN9rocsparseL6kernelILi1024ELi1E21rocsparse_complex_numIdEiiEEvbbbT3_PS3_NS_15floating_traitsIT1_E6data_tES3_T2_PKS9_SB_PKS3_PKS6_21rocsparse_index_base_SB_SB_SD_PS6_SH_SG_SB_SB_SD_SH_SH_SG_SH_SH_PS8_SI_PKS8_.has_indirect_call, 0
	.section	.AMDGPU.csdata,"",@progbits
; Kernel info:
; codeLenInByte = 9592
; TotalNumSgprs: 100
; NumVgprs: 56
; ScratchSize: 0
; MemoryBound: 1
; FloatMode: 240
; IeeeMode: 1
; LDSByteSize: 12288 bytes/workgroup (compile time only)
; SGPRBlocks: 12
; VGPRBlocks: 13
; NumSGPRsForWavesPerEU: 100
; NumVGPRsForWavesPerEU: 56
; Occupancy: 4
; WaveLimiterHint : 1
; COMPUTE_PGM_RSRC2:SCRATCH_EN: 0
; COMPUTE_PGM_RSRC2:USER_SGPR: 6
; COMPUTE_PGM_RSRC2:TRAP_HANDLER: 0
; COMPUTE_PGM_RSRC2:TGID_X_EN: 1
; COMPUTE_PGM_RSRC2:TGID_Y_EN: 0
; COMPUTE_PGM_RSRC2:TGID_Z_EN: 0
; COMPUTE_PGM_RSRC2:TIDIG_COMP_CNT: 0
	.section	.text._ZN9rocsparseL6kernelILi1024ELi2E21rocsparse_complex_numIdEiiEEvbbbT3_PS3_NS_15floating_traitsIT1_E6data_tES3_T2_PKS9_SB_PKS3_PKS6_21rocsparse_index_base_SB_SB_SD_PS6_SH_SG_SB_SB_SD_SH_SH_SG_SH_SH_PS8_SI_PKS8_,"axG",@progbits,_ZN9rocsparseL6kernelILi1024ELi2E21rocsparse_complex_numIdEiiEEvbbbT3_PS3_NS_15floating_traitsIT1_E6data_tES3_T2_PKS9_SB_PKS3_PKS6_21rocsparse_index_base_SB_SB_SD_PS6_SH_SG_SB_SB_SD_SH_SH_SG_SH_SH_PS8_SI_PKS8_,comdat
	.globl	_ZN9rocsparseL6kernelILi1024ELi2E21rocsparse_complex_numIdEiiEEvbbbT3_PS3_NS_15floating_traitsIT1_E6data_tES3_T2_PKS9_SB_PKS3_PKS6_21rocsparse_index_base_SB_SB_SD_PS6_SH_SG_SB_SB_SD_SH_SH_SG_SH_SH_PS8_SI_PKS8_ ; -- Begin function _ZN9rocsparseL6kernelILi1024ELi2E21rocsparse_complex_numIdEiiEEvbbbT3_PS3_NS_15floating_traitsIT1_E6data_tES3_T2_PKS9_SB_PKS3_PKS6_21rocsparse_index_base_SB_SB_SD_PS6_SH_SG_SB_SB_SD_SH_SH_SG_SH_SH_PS8_SI_PKS8_
	.p2align	8
	.type	_ZN9rocsparseL6kernelILi1024ELi2E21rocsparse_complex_numIdEiiEEvbbbT3_PS3_NS_15floating_traitsIT1_E6data_tES3_T2_PKS9_SB_PKS3_PKS6_21rocsparse_index_base_SB_SB_SD_PS6_SH_SG_SB_SB_SD_SH_SH_SG_SH_SH_PS8_SI_PKS8_,@function
_ZN9rocsparseL6kernelILi1024ELi2E21rocsparse_complex_numIdEiiEEvbbbT3_PS3_NS_15floating_traitsIT1_E6data_tES3_T2_PKS9_SB_PKS3_PKS6_21rocsparse_index_base_SB_SB_SD_PS6_SH_SG_SB_SB_SD_SH_SH_SG_SH_SH_PS8_SI_PKS8_: ; @_ZN9rocsparseL6kernelILi1024ELi2E21rocsparse_complex_numIdEiiEEvbbbT3_PS3_NS_15floating_traitsIT1_E6data_tES3_T2_PKS9_SB_PKS3_PKS6_21rocsparse_index_base_SB_SB_SD_PS6_SH_SG_SB_SB_SD_SH_SH_SG_SH_SH_PS8_SI_PKS8_
; %bb.0:
	s_load_dword s0, s[4:5], 0x0
	s_load_dwordx2 s[72:73], s[4:5], 0x0
	s_load_dwordx4 s[12:15], s[4:5], 0xb8
	s_load_dwordx4 s[8:11], s[4:5], 0x8
                                        ; implicit-def: $vgpr61 : SGPR spill to VGPR lane
	s_load_dword s33, s[4:5], 0x18
	s_waitcnt lgkmcnt(0)
	s_bitcmp1_b32 s0, 0
	s_cselect_b64 s[70:71], -1, 0
	s_bitcmp1_b32 s0, 8
	v_writelane_b32 v61, s8, 0
	v_writelane_b32 v61, s9, 1
	;; [unrolled: 1-line block ×3, first 2 shown]
	s_cselect_b64 s[68:69], -1, 0
	s_bitcmp1_b32 s72, 16
	v_writelane_b32 v61, s11, 3
	s_cselect_b64 s[34:35], -1, 0
	v_lshrrev_b32_e32 v37, 1, v0
	s_lshl_b32 s9, s6, 10
	v_or_b32_e32 v39, s9, v37
	v_mov_b32_e32 v1, 0
	s_cmp_gt_i32 s73, 0
	v_mov_b32_e32 v15, 0
	v_mov_b32_e32 v13, 0
	v_and_b32_e32 v38, 1, v0
	v_lshlrev_b32_e32 v40, 3, v0
	s_mov_b32 s72, 0
	v_mov_b32_e32 v2, v1
	v_cmp_gt_i32_e32 vcc, s33, v39
	s_cselect_b64 s[0:1], -1, 0
	v_mov_b32_e32 v16, 0
	v_mov_b32_e32 v14, 0
	ds_write_b64 v40, v[1:2]
	s_waitcnt lgkmcnt(0)
	s_barrier
	s_and_b64 s[0:1], s[0:1], vcc
	s_mov_b64 s[2:3], exec
	v_writelane_b32 v61, s2, 4
	s_and_b64 s[0:1], s[2:3], s[0:1]
	v_writelane_b32 v61, s3, 5
	s_mov_b64 exec, s[0:1]
	s_cbranch_execz .LBB50_188
; %bb.1:
	s_load_dwordx2 s[0:1], s[4:5], 0xc8
	v_writelane_b32 v61, s12, 6
	v_writelane_b32 v61, s13, 7
	;; [unrolled: 1-line block ×4, first 2 shown]
	s_waitcnt lgkmcnt(0)
	v_writelane_b32 v61, s0, 10
	v_writelane_b32 v61, s1, 11
	s_xor_b64 s[0:1], s[68:69], -1
	v_writelane_b32 v61, s0, 12
	s_addk_i32 s9, 0x400
	v_writelane_b32 v61, s1, 13
	v_cmp_gt_u32_e64 s[0:1], s9, v39
	v_writelane_b32 v61, s0, 14
	v_writelane_b32 v61, s1, 15
	v_cmp_ne_u32_e64 s[0:1], 0, v38
	v_writelane_b32 v61, s0, 16
	v_writelane_b32 v61, s1, 17
	s_movk_i32 s0, 0x100
	v_cmp_gt_u32_e64 s[0:1], s0, v0
	v_writelane_b32 v61, s0, 18
	v_writelane_b32 v61, s1, 19
	s_movk_i32 s0, 0x80
	s_load_dwordx4 s[64:67], s[4:5], 0xa8
	s_load_dwordx8 s[36:43], s[4:5], 0x78
	s_load_dwordx8 s[44:51], s[4:5], 0x48
	;; [unrolled: 1-line block ×3, first 2 shown]
	v_cmp_gt_u32_e64 s[0:1], s0, v0
	s_load_dword s6, s[4:5], 0x40
	s_load_dwordx2 s[80:81], s[4:5], 0x68
	s_load_dword s7, s[4:5], 0x70
	s_load_dwordx2 s[82:83], s[4:5], 0x98
	s_load_dword s8, s[4:5], 0xa0
	v_writelane_b32 v61, s0, 20
	v_writelane_b32 v61, s1, 21
	v_cmp_gt_u32_e64 s[0:1], 64, v0
	v_writelane_b32 v61, s0, 22
	v_writelane_b32 v61, s1, 23
	s_and_b64 s[0:1], s[68:69], s[34:35]
	s_xor_b64 s[0:1], s[0:1], -1
	v_mov_b32_e32 v13, 0
	s_mov_b32 s88, 0
	v_mov_b32_e32 v15, 0
	s_waitcnt lgkmcnt(0)
	v_subrev_u32_e32 v41, s6, v38
	v_cmp_eq_u32_e64 s[2:3], 0, v38
	v_lshlrev_b32_e32 v42, 3, v37
	v_cmp_gt_u32_e64 s[12:13], 32, v0
	v_cmp_gt_u32_e64 s[14:15], 16, v0
	;; [unrolled: 1-line block ×5, first 2 shown]
	v_cmp_eq_u32_e64 s[22:23], 0, v0
	v_subrev_u32_e32 v43, s7, v38
	v_subrev_u32_e32 v44, s8, v38
	v_writelane_b32 v61, s0, 24
	v_mov_b32_e32 v14, 0
	s_mov_b64 s[86:87], 0
	v_mov_b32_e32 v18, 0
	s_brev_b32 s89, 8
	v_mov_b32_e32 v45, 0x260
	s_movk_i32 s10, 0x1f8
	v_mov_b32_e32 v46, 0x100
	v_mov_b32_e32 v16, 0
	;; [unrolled: 1-line block ×3, first 2 shown]
	v_writelane_b32 v61, s1, 25
	s_branch .LBB50_3
.LBB50_2:                               ;   in Loop: Header=BB50_3 Depth=1
	s_or_b64 exec, exec, s[0:1]
	s_and_b64 s[0:1], exec, s[26:27]
	s_or_b64 s[86:87], s[0:1], s[86:87]
	s_andn2_b64 exec, exec, s[86:87]
	s_cbranch_execz .LBB50_187
.LBB50_3:                               ; =>This Loop Header: Depth=1
                                        ;     Child Loop BB50_7 Depth 2
                                        ;       Child Loop BB50_12 Depth 3
                                        ;         Child Loop BB50_16 Depth 4
                                        ;         Child Loop BB50_51 Depth 4
	;; [unrolled: 1-line block ×5, first 2 shown]
                                        ;     Child Loop BB50_166 Depth 2
                                        ;       Child Loop BB50_169 Depth 3
                                        ;       Child Loop BB50_172 Depth 3
	s_mov_b32 s0, 0
	v_cndmask_b32_e64 v16, v16, 0, s[68:69]
	v_cndmask_b32_e64 v15, v15, 0, s[68:69]
	;; [unrolled: 1-line block ×4, first 2 shown]
	s_mov_b64 s[90:91], -1
	s_branch .LBB50_7
.LBB50_4:                               ;   in Loop: Header=BB50_7 Depth=2
	s_or_b64 exec, exec, s[74:75]
.LBB50_5:                               ;   in Loop: Header=BB50_7 Depth=2
	s_or_b64 exec, exec, s[94:95]
.LBB50_6:                               ;   in Loop: Header=BB50_7 Depth=2
	s_or_b64 exec, exec, s[92:93]
	s_xor_b64 s[4:5], s[90:91], -1
	s_movk_i32 s0, 0x200
	s_mov_b64 s[90:91], 0
	s_and_b64 vcc, exec, s[4:5]
	s_cbranch_vccnz .LBB50_119
.LBB50_7:                               ;   Parent Loop BB50_3 Depth=1
                                        ; =>  This Loop Header: Depth=2
                                        ;       Child Loop BB50_12 Depth 3
                                        ;         Child Loop BB50_16 Depth 4
                                        ;         Child Loop BB50_51 Depth 4
	;; [unrolled: 1-line block ×5, first 2 shown]
	v_or_b32_e32 v19, s0, v39
	v_cmp_gt_i32_e32 vcc, s33, v19
	s_and_saveexec_b64 s[92:93], vcc
	s_cbranch_execz .LBB50_6
; %bb.8:                                ;   in Loop: Header=BB50_7 Depth=2
	v_ashrrev_i32_e32 v20, 31, v19
	v_lshlrev_b64 v[1:2], 2, v[19:20]
	v_mov_b32_e32 v4, s53
	v_add_co_u32_e32 v3, vcc, s52, v1
	v_addc_co_u32_e32 v4, vcc, v4, v2, vcc
	global_load_dword v5, v[3:4], off
	v_mov_b32_e32 v4, s55
	v_add_co_u32_e32 v3, vcc, s54, v1
	v_addc_co_u32_e32 v4, vcc, v4, v2, vcc
	global_load_dword v3, v[3:4], off
	s_waitcnt vmcnt(1)
	v_add_u32_e32 v20, v41, v5
	s_waitcnt vmcnt(0)
	v_subrev_u32_e32 v48, s6, v3
	v_cmp_lt_i32_e32 vcc, v20, v48
	s_and_saveexec_b64 s[94:95], vcc
	s_cbranch_execz .LBB50_5
; %bb.9:                                ;   in Loop: Header=BB50_7 Depth=2
	v_mov_b32_e32 v4, s47
	v_add_co_u32_e32 v3, vcc, s46, v1
	v_addc_co_u32_e32 v4, vcc, v4, v2, vcc
	v_mov_b32_e32 v5, s45
	v_add_co_u32_e32 v1, vcc, s44, v1
	v_addc_co_u32_e32 v2, vcc, v5, v2, vcc
	global_load_dword v1, v[1:2], off
	s_nop 0
	global_load_dword v2, v[3:4], off
	v_mov_b32_e32 v5, s49
	v_mov_b32_e32 v6, s51
	s_mov_b64 s[74:75], 0
	s_waitcnt vmcnt(1)
	v_subrev_u32_e32 v22, s7, v1
	v_ashrrev_i32_e32 v23, 31, v22
	s_waitcnt vmcnt(0)
	v_sub_u32_e32 v49, v2, v1
	v_lshlrev_b64 v[1:2], 2, v[22:23]
	v_lshlrev_b64 v[3:4], 4, v[22:23]
	v_add_co_u32_e32 v50, vcc, s48, v1
	v_addc_co_u32_e32 v51, vcc, v5, v2, vcc
	v_add_co_u32_e32 v52, vcc, s50, v3
	v_cmp_lt_i32_e64 s[24:25], 0, v49
	v_addc_co_u32_e32 v53, vcc, v6, v4, vcc
	s_branch .LBB50_12
.LBB50_10:                              ;   in Loop: Header=BB50_12 Depth=3
	s_or_b64 exec, exec, s[0:1]
.LBB50_11:                              ;   in Loop: Header=BB50_12 Depth=3
	s_or_b64 exec, exec, s[26:27]
	v_add_u32_e32 v20, 2, v20
	v_cmp_ge_i32_e32 vcc, v20, v48
	s_or_b64 s[74:75], vcc, s[74:75]
	s_andn2_b64 exec, exec, s[74:75]
	s_cbranch_execz .LBB50_4
.LBB50_12:                              ;   Parent Loop BB50_3 Depth=1
                                        ;     Parent Loop BB50_7 Depth=2
                                        ; =>    This Loop Header: Depth=3
                                        ;         Child Loop BB50_16 Depth 4
                                        ;         Child Loop BB50_51 Depth 4
	;; [unrolled: 1-line block ×5, first 2 shown]
	v_ashrrev_i32_e32 v21, 31, v20
	v_lshlrev_b64 v[1:2], 2, v[20:21]
	v_mov_b32_e32 v3, s57
	v_add_co_u32_e32 v1, vcc, s56, v1
	v_addc_co_u32_e32 v2, vcc, v3, v2, vcc
	global_load_dword v1, v[1:2], off
	v_mov_b32_e32 v4, s37
	v_mov_b32_e32 v5, s39
	;; [unrolled: 1-line block ×8, first 2 shown]
	s_waitcnt vmcnt(0)
	v_subrev_u32_e32 v23, s6, v1
	v_ashrrev_i32_e32 v24, 31, v23
	v_lshlrev_b64 v[1:2], 2, v[23:24]
	v_add_co_u32_e32 v3, vcc, s36, v1
	v_addc_co_u32_e32 v4, vcc, v4, v2, vcc
	v_add_co_u32_e32 v1, vcc, s38, v1
	v_addc_co_u32_e32 v2, vcc, v5, v2, vcc
	global_load_dword v3, v[3:4], off
	s_nop 0
	global_load_dword v1, v[1:2], off
	s_waitcnt vmcnt(1)
	v_subrev_u32_e32 v29, s8, v3
	s_waitcnt vmcnt(0)
	v_sub_u32_e32 v54, v1, v3
	s_and_saveexec_b64 s[26:27], s[24:25]
	s_cbranch_execz .LBB50_20
; %bb.13:                               ;   in Loop: Header=BB50_12 Depth=3
	v_ashrrev_i32_e32 v30, 31, v29
	v_lshlrev_b64 v[1:2], 2, v[29:30]
	v_mov_b32_e32 v3, s41
	v_add_co_u32_e32 v1, vcc, s40, v1
	v_addc_co_u32_e32 v2, vcc, v3, v2, vcc
	v_lshlrev_b64 v[3:4], 4, v[29:30]
	v_mov_b32_e32 v5, s43
	v_add_co_u32_e32 v3, vcc, s42, v3
	v_mov_b32_e32 v25, 0
	v_mov_b32_e32 v30, 0
	;; [unrolled: 1-line block ×3, first 2 shown]
	v_addc_co_u32_e32 v4, vcc, v5, v4, vcc
	v_mov_b32_e32 v26, 0
	s_mov_b64 s[28:29], 0
	v_mov_b32_e32 v28, 0
	v_mov_b32_e32 v17, v30
                                        ; implicit-def: $sgpr30_sgpr31
	s_branch .LBB50_16
.LBB50_14:                              ;   in Loop: Header=BB50_16 Depth=4
	s_or_b64 exec, exec, s[0:1]
	v_cmp_le_i32_e32 vcc, v5, v6
	v_addc_co_u32_e32 v17, vcc, 0, v17, vcc
	v_cmp_ge_i32_e32 vcc, v5, v6
	v_addc_co_u32_e32 v30, vcc, 0, v30, vcc
	v_cmp_ge_i32_e32 vcc, v17, v49
	s_andn2_b64 s[0:1], s[30:31], exec
	s_and_b64 s[4:5], vcc, exec
	s_or_b64 s[30:31], s[0:1], s[4:5]
.LBB50_15:                              ;   in Loop: Header=BB50_16 Depth=4
	s_or_b64 exec, exec, s[60:61]
	s_and_b64 s[0:1], exec, s[30:31]
	s_or_b64 s[28:29], s[0:1], s[28:29]
	s_andn2_b64 exec, exec, s[28:29]
	s_cbranch_execz .LBB50_19
.LBB50_16:                              ;   Parent Loop BB50_3 Depth=1
                                        ;     Parent Loop BB50_7 Depth=2
                                        ;       Parent Loop BB50_12 Depth=3
                                        ; =>      This Inner Loop Header: Depth=4
	v_cmp_lt_i32_e32 vcc, v30, v54
	s_or_b64 s[30:31], s[30:31], exec
	s_and_saveexec_b64 s[60:61], vcc
	s_cbranch_execz .LBB50_15
; %bb.17:                               ;   in Loop: Header=BB50_16 Depth=4
	v_lshlrev_b64 v[5:6], 2, v[17:18]
	v_mov_b32_e32 v31, v18
	v_add_co_u32_e32 v5, vcc, v50, v5
	v_addc_co_u32_e32 v6, vcc, v51, v6, vcc
	global_load_dword v7, v[5:6], off
	v_lshlrev_b64 v[5:6], 2, v[30:31]
	v_add_co_u32_e32 v5, vcc, v1, v5
	v_addc_co_u32_e32 v6, vcc, v2, v6, vcc
	global_load_dword v6, v[5:6], off
	s_waitcnt vmcnt(1)
	v_subrev_u32_e32 v5, s7, v7
	s_waitcnt vmcnt(0)
	v_subrev_u32_e32 v6, s8, v6
	v_cmp_eq_u32_e32 vcc, v5, v6
	s_and_saveexec_b64 s[0:1], vcc
	s_cbranch_execz .LBB50_14
; %bb.18:                               ;   in Loop: Header=BB50_16 Depth=4
	v_lshlrev_b64 v[7:8], 4, v[17:18]
	v_lshlrev_b64 v[11:12], 4, v[30:31]
	v_add_co_u32_e32 v7, vcc, v52, v7
	v_addc_co_u32_e32 v8, vcc, v53, v8, vcc
	v_add_co_u32_e32 v11, vcc, v3, v11
	v_addc_co_u32_e32 v12, vcc, v4, v12, vcc
	global_load_dwordx4 v[7:10], v[7:8], off
	s_nop 0
	global_load_dwordx4 v[31:34], v[11:12], off
	s_waitcnt vmcnt(0)
	v_fma_f64 v[11:12], v[7:8], v[31:32], v[25:26]
	v_fma_f64 v[27:28], v[9:10], v[31:32], v[27:28]
	v_fma_f64 v[25:26], -v[9:10], v[33:34], v[11:12]
	v_fma_f64 v[27:28], v[7:8], v[33:34], v[27:28]
	s_branch .LBB50_14
.LBB50_19:                              ;   in Loop: Header=BB50_12 Depth=3
	s_or_b64 exec, exec, s[28:29]
.LBB50_20:                              ;   in Loop: Header=BB50_12 Depth=3
	s_or_b64 exec, exec, s[26:27]
	v_lshlrev_b64 v[1:2], 4, v[20:21]
	v_mov_b32_e32 v3, s59
	v_add_co_u32_e32 v1, vcc, s58, v1
	v_addc_co_u32_e32 v2, vcc, v3, v2, vcc
	global_load_dwordx4 v[1:4], v[1:2], off
	v_cmp_le_i32_e64 s[26:27], v19, v23
	v_cmp_gt_i32_e32 vcc, v19, v23
	s_waitcnt vmcnt(0)
	v_add_f64 v[5:6], v[1:2], -v[25:26]
	v_add_f64 v[7:8], v[3:4], -v[27:28]
	s_and_saveexec_b64 s[60:61], vcc
	s_cbranch_execz .LBB50_30
; %bb.21:                               ;   in Loop: Header=BB50_12 Depth=3
	v_lshlrev_b64 v[9:10], 4, v[23:24]
	v_mov_b32_e32 v11, s65
	v_add_co_u32_e32 v9, vcc, s64, v9
	v_addc_co_u32_e32 v10, vcc, v11, v10, vcc
	global_load_dwordx4 v[9:12], v[9:10], off
                                        ; implicit-def: $vgpr35_vgpr36
	s_waitcnt vmcnt(0)
	v_cmp_gt_f64_e32 vcc, 0, v[9:10]
	v_xor_b32_e32 v21, 0x80000000, v10
	v_xor_b32_e32 v33, 0x80000000, v12
	v_mov_b32_e32 v31, v9
	v_cndmask_b32_e32 v32, v10, v21, vcc
	v_cmp_gt_f64_e32 vcc, 0, v[11:12]
	v_cndmask_b32_e32 v34, v12, v33, vcc
	v_mov_b32_e32 v33, v11
	v_cmp_ngt_f64_e32 vcc, v[31:32], v[33:34]
	s_and_saveexec_b64 s[0:1], vcc
	s_xor_b64 s[0:1], exec, s[0:1]
	s_cbranch_execz .LBB50_25
; %bb.22:                               ;   in Loop: Header=BB50_12 Depth=3
	v_cmp_neq_f64_e32 vcc, 0, v[11:12]
	v_mov_b32_e32 v35, 0
	v_mov_b32_e32 v36, 0
	s_and_saveexec_b64 s[28:29], vcc
	s_cbranch_execz .LBB50_24
; %bb.23:                               ;   in Loop: Header=BB50_12 Depth=3
	v_div_scale_f64 v[35:36], s[4:5], v[33:34], v[33:34], v[31:32]
	v_rcp_f64_e32 v[55:56], v[35:36]
	v_fma_f64 v[57:58], -v[35:36], v[55:56], 1.0
	v_fma_f64 v[55:56], v[55:56], v[57:58], v[55:56]
	v_div_scale_f64 v[57:58], vcc, v[31:32], v[33:34], v[31:32]
	v_fma_f64 v[59:60], -v[35:36], v[55:56], 1.0
	v_fma_f64 v[55:56], v[55:56], v[59:60], v[55:56]
	v_mul_f64 v[59:60], v[57:58], v[55:56]
	v_fma_f64 v[35:36], -v[35:36], v[59:60], v[57:58]
	v_div_fmas_f64 v[35:36], v[35:36], v[55:56], v[59:60]
	v_div_fixup_f64 v[31:32], v[35:36], v[33:34], v[31:32]
	v_fma_f64 v[31:32], v[31:32], v[31:32], 1.0
	v_cmp_gt_f64_e32 vcc, s[88:89], v[31:32]
	v_cndmask_b32_e32 v21, 0, v46, vcc
	v_ldexp_f64 v[31:32], v[31:32], v21
	v_cndmask_b32_e32 v21, 0, v47, vcc
	v_rsq_f64_e32 v[35:36], v[31:32]
	v_cmp_class_f64_e32 vcc, v[31:32], v45
	v_mul_f64 v[55:56], v[31:32], v[35:36]
	v_mul_f64 v[35:36], v[35:36], 0.5
	v_fma_f64 v[57:58], -v[35:36], v[55:56], 0.5
	v_fma_f64 v[55:56], v[55:56], v[57:58], v[55:56]
	v_fma_f64 v[35:36], v[35:36], v[57:58], v[35:36]
	v_fma_f64 v[57:58], -v[55:56], v[55:56], v[31:32]
	v_fma_f64 v[55:56], v[57:58], v[35:36], v[55:56]
	v_fma_f64 v[57:58], -v[55:56], v[55:56], v[31:32]
	v_fma_f64 v[35:36], v[57:58], v[35:36], v[55:56]
	v_ldexp_f64 v[35:36], v[35:36], v21
	v_cndmask_b32_e32 v32, v36, v32, vcc
	v_cndmask_b32_e32 v31, v35, v31, vcc
	v_mul_f64 v[35:36], v[33:34], v[31:32]
.LBB50_24:                              ;   in Loop: Header=BB50_12 Depth=3
	s_or_b64 exec, exec, s[28:29]
                                        ; implicit-def: $vgpr31_vgpr32
                                        ; implicit-def: $vgpr33_vgpr34
.LBB50_25:                              ;   in Loop: Header=BB50_12 Depth=3
	s_andn2_saveexec_b64 s[0:1], s[0:1]
	s_cbranch_execz .LBB50_27
; %bb.26:                               ;   in Loop: Header=BB50_12 Depth=3
	v_div_scale_f64 v[35:36], s[4:5], v[31:32], v[31:32], v[33:34]
	v_rcp_f64_e32 v[55:56], v[35:36]
	v_fma_f64 v[57:58], -v[35:36], v[55:56], 1.0
	v_fma_f64 v[55:56], v[55:56], v[57:58], v[55:56]
	v_div_scale_f64 v[57:58], vcc, v[33:34], v[31:32], v[33:34]
	v_fma_f64 v[59:60], -v[35:36], v[55:56], 1.0
	v_fma_f64 v[55:56], v[55:56], v[59:60], v[55:56]
	v_mul_f64 v[59:60], v[57:58], v[55:56]
	v_fma_f64 v[35:36], -v[35:36], v[59:60], v[57:58]
	v_div_fmas_f64 v[35:36], v[35:36], v[55:56], v[59:60]
	v_div_fixup_f64 v[33:34], v[35:36], v[31:32], v[33:34]
	v_fma_f64 v[33:34], v[33:34], v[33:34], 1.0
	v_cmp_gt_f64_e32 vcc, s[88:89], v[33:34]
	v_cndmask_b32_e32 v21, 0, v46, vcc
	v_ldexp_f64 v[33:34], v[33:34], v21
	v_cndmask_b32_e32 v21, 0, v47, vcc
	v_rsq_f64_e32 v[35:36], v[33:34]
	v_cmp_class_f64_e32 vcc, v[33:34], v45
	v_mul_f64 v[55:56], v[33:34], v[35:36]
	v_mul_f64 v[35:36], v[35:36], 0.5
	v_fma_f64 v[57:58], -v[35:36], v[55:56], 0.5
	v_fma_f64 v[55:56], v[55:56], v[57:58], v[55:56]
	v_fma_f64 v[35:36], v[35:36], v[57:58], v[35:36]
	v_fma_f64 v[57:58], -v[55:56], v[55:56], v[33:34]
	v_fma_f64 v[55:56], v[57:58], v[35:36], v[55:56]
	v_fma_f64 v[57:58], -v[55:56], v[55:56], v[33:34]
	v_fma_f64 v[35:36], v[57:58], v[35:36], v[55:56]
	v_ldexp_f64 v[35:36], v[35:36], v21
	v_cndmask_b32_e32 v34, v36, v34, vcc
	v_cndmask_b32_e32 v33, v35, v33, vcc
	v_mul_f64 v[35:36], v[31:32], v[33:34]
.LBB50_27:                              ;   in Loop: Header=BB50_12 Depth=3
	s_or_b64 exec, exec, s[0:1]
	v_cmp_lt_f64_e32 vcc, 0, v[35:36]
	v_mov_b32_e32 v31, 0
	v_mov_b32_e32 v33, 0
	;; [unrolled: 1-line block ×4, first 2 shown]
	s_and_saveexec_b64 s[0:1], vcc
	s_cbranch_execz .LBB50_29
; %bb.28:                               ;   in Loop: Header=BB50_12 Depth=3
	v_mul_f64 v[31:32], v[11:12], v[11:12]
	v_fma_f64 v[31:32], v[9:10], v[9:10], v[31:32]
	v_div_scale_f64 v[33:34], s[4:5], v[31:32], v[31:32], 1.0
	v_rcp_f64_e32 v[35:36], v[33:34]
	v_fma_f64 v[55:56], -v[33:34], v[35:36], 1.0
	v_fma_f64 v[35:36], v[35:36], v[55:56], v[35:36]
	v_div_scale_f64 v[55:56], vcc, 1.0, v[31:32], 1.0
	v_fma_f64 v[57:58], -v[33:34], v[35:36], 1.0
	v_fma_f64 v[35:36], v[35:36], v[57:58], v[35:36]
	v_mul_f64 v[57:58], v[55:56], v[35:36]
	v_fma_f64 v[33:34], -v[33:34], v[57:58], v[55:56]
	v_div_fmas_f64 v[33:34], v[33:34], v[35:36], v[57:58]
	v_mul_f64 v[35:36], v[7:8], v[11:12]
	v_mul_f64 v[11:12], v[11:12], -v[5:6]
	v_fma_f64 v[5:6], v[5:6], v[9:10], v[35:36]
	v_fma_f64 v[7:8], v[7:8], v[9:10], v[11:12]
	v_div_fixup_f64 v[31:32], v[33:34], v[31:32], 1.0
	v_mul_f64 v[33:34], v[5:6], v[31:32]
	v_mul_f64 v[31:32], v[7:8], v[31:32]
.LBB50_29:                              ;   in Loop: Header=BB50_12 Depth=3
	s_or_b64 exec, exec, s[0:1]
	v_mov_b32_e32 v7, v31
	v_mov_b32_e32 v5, v33
	v_mov_b32_e32 v8, v32
	v_mov_b32_e32 v6, v34
.LBB50_30:                              ;   in Loop: Header=BB50_12 Depth=3
	s_or_b64 exec, exec, s[60:61]
	v_cmp_gt_f64_e32 vcc, 0, v[5:6]
	v_xor_b32_e32 v9, 0x80000000, v6
	v_xor_b32_e32 v11, 0x80000000, v8
                                        ; implicit-def: $vgpr31_vgpr32
	v_cndmask_b32_e32 v10, v6, v9, vcc
	v_cmp_gt_f64_e32 vcc, 0, v[7:8]
	v_mov_b32_e32 v9, v5
	v_cndmask_b32_e32 v12, v8, v11, vcc
	v_mov_b32_e32 v11, v7
	v_cmp_ngt_f64_e32 vcc, v[9:10], v[11:12]
	s_and_saveexec_b64 s[0:1], vcc
	s_xor_b64 s[0:1], exec, s[0:1]
	s_cbranch_execnz .LBB50_34
; %bb.31:                               ;   in Loop: Header=BB50_12 Depth=3
	s_andn2_saveexec_b64 s[0:1], s[0:1]
	s_cbranch_execnz .LBB50_37
.LBB50_32:                              ;   in Loop: Header=BB50_12 Depth=3
	s_or_b64 exec, exec, s[0:1]
	v_cmp_class_f64_e64 s[78:79], v[31:32], s10
	s_and_saveexec_b64 s[84:85], s[78:79]
	s_cbranch_execnz .LBB50_38
.LBB50_33:                              ;   in Loop: Header=BB50_12 Depth=3
	s_or_b64 exec, exec, s[84:85]
	s_and_b64 s[0:1], s[34:35], s[78:79]
	s_and_saveexec_b64 s[26:27], s[0:1]
	s_cbranch_execz .LBB50_11
	s_branch .LBB50_79
.LBB50_34:                              ;   in Loop: Header=BB50_12 Depth=3
	v_cmp_neq_f64_e32 vcc, 0, v[7:8]
	v_mov_b32_e32 v31, 0
	v_mov_b32_e32 v32, 0
	s_and_saveexec_b64 s[28:29], vcc
	s_cbranch_execz .LBB50_36
; %bb.35:                               ;   in Loop: Header=BB50_12 Depth=3
	v_div_scale_f64 v[31:32], s[4:5], v[11:12], v[11:12], v[9:10]
	v_rcp_f64_e32 v[33:34], v[31:32]
	v_fma_f64 v[35:36], -v[31:32], v[33:34], 1.0
	v_fma_f64 v[33:34], v[33:34], v[35:36], v[33:34]
	v_div_scale_f64 v[35:36], vcc, v[9:10], v[11:12], v[9:10]
	v_fma_f64 v[55:56], -v[31:32], v[33:34], 1.0
	v_fma_f64 v[33:34], v[33:34], v[55:56], v[33:34]
	v_mul_f64 v[55:56], v[35:36], v[33:34]
	v_fma_f64 v[31:32], -v[31:32], v[55:56], v[35:36]
	v_div_fmas_f64 v[31:32], v[31:32], v[33:34], v[55:56]
	v_div_fixup_f64 v[9:10], v[31:32], v[11:12], v[9:10]
	v_fma_f64 v[9:10], v[9:10], v[9:10], 1.0
	v_cmp_gt_f64_e32 vcc, s[88:89], v[9:10]
	v_cndmask_b32_e32 v21, 0, v46, vcc
	v_ldexp_f64 v[9:10], v[9:10], v21
	v_cndmask_b32_e32 v21, 0, v47, vcc
	v_rsq_f64_e32 v[31:32], v[9:10]
	v_cmp_class_f64_e32 vcc, v[9:10], v45
	v_mul_f64 v[33:34], v[9:10], v[31:32]
	v_mul_f64 v[31:32], v[31:32], 0.5
	v_fma_f64 v[35:36], -v[31:32], v[33:34], 0.5
	v_fma_f64 v[33:34], v[33:34], v[35:36], v[33:34]
	v_fma_f64 v[31:32], v[31:32], v[35:36], v[31:32]
	v_fma_f64 v[35:36], -v[33:34], v[33:34], v[9:10]
	v_fma_f64 v[33:34], v[35:36], v[31:32], v[33:34]
	v_fma_f64 v[35:36], -v[33:34], v[33:34], v[9:10]
	v_fma_f64 v[31:32], v[35:36], v[31:32], v[33:34]
	v_ldexp_f64 v[31:32], v[31:32], v21
	v_cndmask_b32_e32 v10, v32, v10, vcc
	v_cndmask_b32_e32 v9, v31, v9, vcc
	v_mul_f64 v[31:32], v[11:12], v[9:10]
.LBB50_36:                              ;   in Loop: Header=BB50_12 Depth=3
	s_or_b64 exec, exec, s[28:29]
                                        ; implicit-def: $vgpr9_vgpr10
                                        ; implicit-def: $vgpr11_vgpr12
	s_andn2_saveexec_b64 s[0:1], s[0:1]
	s_cbranch_execz .LBB50_32
.LBB50_37:                              ;   in Loop: Header=BB50_12 Depth=3
	v_div_scale_f64 v[31:32], s[4:5], v[9:10], v[9:10], v[11:12]
	v_rcp_f64_e32 v[33:34], v[31:32]
	v_fma_f64 v[35:36], -v[31:32], v[33:34], 1.0
	v_fma_f64 v[33:34], v[33:34], v[35:36], v[33:34]
	v_div_scale_f64 v[35:36], vcc, v[11:12], v[9:10], v[11:12]
	v_fma_f64 v[55:56], -v[31:32], v[33:34], 1.0
	v_fma_f64 v[33:34], v[33:34], v[55:56], v[33:34]
	v_mul_f64 v[55:56], v[35:36], v[33:34]
	v_fma_f64 v[31:32], -v[31:32], v[55:56], v[35:36]
	v_div_fmas_f64 v[31:32], v[31:32], v[33:34], v[55:56]
	v_div_fixup_f64 v[11:12], v[31:32], v[9:10], v[11:12]
	v_fma_f64 v[11:12], v[11:12], v[11:12], 1.0
	v_cmp_gt_f64_e32 vcc, s[88:89], v[11:12]
	v_cndmask_b32_e32 v21, 0, v46, vcc
	v_ldexp_f64 v[11:12], v[11:12], v21
	v_cndmask_b32_e32 v21, 0, v47, vcc
	v_rsq_f64_e32 v[31:32], v[11:12]
	v_cmp_class_f64_e32 vcc, v[11:12], v45
	v_mul_f64 v[33:34], v[11:12], v[31:32]
	v_mul_f64 v[31:32], v[31:32], 0.5
	v_fma_f64 v[35:36], -v[31:32], v[33:34], 0.5
	v_fma_f64 v[33:34], v[33:34], v[35:36], v[33:34]
	v_fma_f64 v[31:32], v[31:32], v[35:36], v[31:32]
	v_fma_f64 v[35:36], -v[33:34], v[33:34], v[11:12]
	v_fma_f64 v[33:34], v[35:36], v[31:32], v[33:34]
	v_fma_f64 v[35:36], -v[33:34], v[33:34], v[11:12]
	v_fma_f64 v[31:32], v[35:36], v[31:32], v[33:34]
	v_ldexp_f64 v[31:32], v[31:32], v21
	v_cndmask_b32_e32 v12, v32, v12, vcc
	v_cndmask_b32_e32 v11, v31, v11, vcc
	v_mul_f64 v[31:32], v[9:10], v[11:12]
	s_or_b64 exec, exec, s[0:1]
	v_cmp_class_f64_e64 s[78:79], v[31:32], s10
	s_and_saveexec_b64 s[84:85], s[78:79]
	s_cbranch_execz .LBB50_33
.LBB50_38:                              ;   in Loop: Header=BB50_12 Depth=3
	s_and_saveexec_b64 s[0:1], s[26:27]
	s_xor_b64 s[26:27], exec, s[0:1]
	s_cbranch_execz .LBB50_63
; %bb.39:                               ;   in Loop: Header=BB50_12 Depth=3
	v_cmp_ge_i32_e32 vcc, v19, v23
	s_and_saveexec_b64 s[0:1], vcc
	s_xor_b64 s[60:61], exec, s[0:1]
	s_cbranch_execz .LBB50_47
; %bb.40:                               ;   in Loop: Header=BB50_12 Depth=3
	v_lshlrev_b64 v[9:10], 4, v[23:24]
	v_mov_b32_e32 v12, s67
	v_add_co_u32_e32 v11, vcc, s66, v9
	v_addc_co_u32_e32 v12, vcc, v12, v10, vcc
	s_andn2_b64 vcc, exec, s[68:69]
	global_store_dwordx4 v[11:12], v[5:8], off
	s_cbranch_vccnz .LBB50_46
; %bb.41:                               ;   in Loop: Header=BB50_12 Depth=3
	v_mov_b32_e32 v11, s65
	v_add_co_u32_e32 v9, vcc, s64, v9
	v_addc_co_u32_e32 v10, vcc, v11, v10, vcc
	global_load_dwordx4 v[9:12], v[9:10], off
	s_waitcnt vmcnt(0)
	v_add_f64 v[5:6], v[9:10], -v[5:6]
	v_add_f64 v[11:12], v[11:12], -v[7:8]
                                        ; implicit-def: $vgpr9_vgpr10
	v_cmp_gt_f64_e32 vcc, 0, v[5:6]
	v_xor_b32_e32 v7, 0x80000000, v6
	v_xor_b32_e32 v8, 0x80000000, v12
	v_cndmask_b32_e32 v6, v6, v7, vcc
	v_cmp_gt_f64_e32 vcc, 0, v[11:12]
	v_mov_b32_e32 v7, v11
	v_cndmask_b32_e32 v8, v12, v8, vcc
	v_cmp_ngt_f64_e32 vcc, v[5:6], v[7:8]
	s_and_saveexec_b64 s[0:1], vcc
	s_xor_b64 s[0:1], exec, s[0:1]
	s_cbranch_execnz .LBB50_107
; %bb.42:                               ;   in Loop: Header=BB50_12 Depth=3
	s_andn2_saveexec_b64 s[0:1], s[0:1]
	s_cbranch_execnz .LBB50_110
.LBB50_43:                              ;   in Loop: Header=BB50_12 Depth=3
	s_or_b64 exec, exec, s[0:1]
	v_cmp_class_f64_e64 s[4:5], v[9:10], s10
	s_and_saveexec_b64 s[0:1], s[4:5]
	s_cbranch_execz .LBB50_45
.LBB50_44:                              ;   in Loop: Header=BB50_12 Depth=3
	v_cmp_lt_f64_e32 vcc, v[15:16], v[9:10]
	v_cndmask_b32_e32 v16, v16, v10, vcc
	v_cndmask_b32_e32 v15, v15, v9, vcc
.LBB50_45:                              ;   in Loop: Header=BB50_12 Depth=3
	s_or_b64 exec, exec, s[0:1]
.LBB50_46:                              ;   in Loop: Header=BB50_12 Depth=3
                                        ; implicit-def: $vgpr5_vgpr6
.LBB50_47:                              ;   in Loop: Header=BB50_12 Depth=3
	s_andn2_saveexec_b64 s[60:61], s[60:61]
	s_cbranch_execz .LBB50_62
; %bb.48:                               ;   in Loop: Header=BB50_12 Depth=3
	v_cmp_lt_i32_e32 vcc, v30, v54
	s_and_saveexec_b64 s[62:63], vcc
	s_cbranch_execz .LBB50_61
; %bb.49:                               ;   in Loop: Header=BB50_12 Depth=3
	s_mov_b64 s[28:29], 0
	v_mov_b32_e32 v11, v30
                                        ; implicit-def: $sgpr30_sgpr31
                                        ; implicit-def: $sgpr0_sgpr1
                                        ; implicit-def: $sgpr76_sgpr77
	s_branch .LBB50_51
.LBB50_50:                              ;   in Loop: Header=BB50_51 Depth=4
	s_or_b64 exec, exec, s[4:5]
	s_and_b64 s[4:5], exec, s[0:1]
	s_or_b64 s[28:29], s[4:5], s[28:29]
	s_andn2_b64 s[4:5], s[30:31], exec
	s_and_b64 s[30:31], s[76:77], exec
	s_or_b64 s[30:31], s[4:5], s[30:31]
	s_andn2_b64 exec, exec, s[28:29]
	s_cbranch_execz .LBB50_53
.LBB50_51:                              ;   Parent Loop BB50_3 Depth=1
                                        ;     Parent Loop BB50_7 Depth=2
                                        ;       Parent Loop BB50_12 Depth=3
                                        ; =>      This Inner Loop Header: Depth=4
	v_add_u32_e32 v9, v29, v11
	v_ashrrev_i32_e32 v10, 31, v9
	v_lshlrev_b64 v[31:32], 2, v[9:10]
	v_mov_b32_e32 v12, s41
	v_add_co_u32_e32 v31, vcc, s40, v31
	v_addc_co_u32_e32 v32, vcc, v12, v32, vcc
	global_load_dword v12, v[31:32], off
	s_or_b64 s[76:77], s[76:77], exec
	s_or_b64 s[0:1], s[0:1], exec
	s_waitcnt vmcnt(0)
	v_subrev_u32_e32 v12, s8, v12
	v_cmp_ne_u32_e32 vcc, v12, v19
	s_and_saveexec_b64 s[4:5], vcc
	s_cbranch_execz .LBB50_50
; %bb.52:                               ;   in Loop: Header=BB50_51 Depth=4
	v_add_u32_e32 v11, 1, v11
	v_cmp_ge_i32_e32 vcc, v11, v54
	s_andn2_b64 s[0:1], s[0:1], exec
	s_and_b64 vcc, vcc, exec
	s_andn2_b64 s[76:77], s[76:77], exec
	s_or_b64 s[0:1], s[0:1], vcc
	s_branch .LBB50_50
.LBB50_53:                              ;   in Loop: Header=BB50_12 Depth=3
	s_or_b64 exec, exec, s[28:29]
	s_and_saveexec_b64 s[0:1], s[30:31]
	s_xor_b64 s[28:29], exec, s[0:1]
	s_cbranch_execz .LBB50_60
; %bb.54:                               ;   in Loop: Header=BB50_12 Depth=3
	v_lshlrev_b64 v[9:10], 4, v[9:10]
	v_mov_b32_e32 v12, s83
	v_add_co_u32_e32 v11, vcc, s82, v9
	v_addc_co_u32_e32 v12, vcc, v12, v10, vcc
	s_andn2_b64 vcc, exec, s[68:69]
	global_store_dwordx4 v[11:12], v[5:8], off
	s_cbranch_vccnz .LBB50_60
; %bb.55:                               ;   in Loop: Header=BB50_12 Depth=3
	v_mov_b32_e32 v11, s43
	v_add_co_u32_e32 v9, vcc, s42, v9
	v_addc_co_u32_e32 v10, vcc, v11, v10, vcc
	global_load_dwordx4 v[9:12], v[9:10], off
	s_waitcnt vmcnt(0)
	v_add_f64 v[5:6], v[9:10], -v[5:6]
	v_add_f64 v[11:12], v[11:12], -v[7:8]
                                        ; implicit-def: $vgpr9_vgpr10
	v_cmp_gt_f64_e32 vcc, 0, v[5:6]
	v_xor_b32_e32 v7, 0x80000000, v6
	v_xor_b32_e32 v8, 0x80000000, v12
	v_cndmask_b32_e32 v6, v6, v7, vcc
	v_cmp_gt_f64_e32 vcc, 0, v[11:12]
	v_mov_b32_e32 v7, v11
	v_cndmask_b32_e32 v8, v12, v8, vcc
	v_cmp_ngt_f64_e32 vcc, v[5:6], v[7:8]
	s_and_saveexec_b64 s[0:1], vcc
	s_xor_b64 s[0:1], exec, s[0:1]
	s_cbranch_execnz .LBB50_115
; %bb.56:                               ;   in Loop: Header=BB50_12 Depth=3
	s_andn2_saveexec_b64 s[0:1], s[0:1]
	s_cbranch_execnz .LBB50_118
.LBB50_57:                              ;   in Loop: Header=BB50_12 Depth=3
	s_or_b64 exec, exec, s[0:1]
	v_cmp_class_f64_e64 s[4:5], v[9:10], s10
	s_and_saveexec_b64 s[0:1], s[4:5]
	s_cbranch_execz .LBB50_59
.LBB50_58:                              ;   in Loop: Header=BB50_12 Depth=3
	v_cmp_lt_f64_e32 vcc, v[15:16], v[9:10]
	v_cndmask_b32_e32 v16, v16, v10, vcc
	v_cndmask_b32_e32 v15, v15, v9, vcc
.LBB50_59:                              ;   in Loop: Header=BB50_12 Depth=3
	s_or_b64 exec, exec, s[0:1]
.LBB50_60:                              ;   in Loop: Header=BB50_12 Depth=3
	s_or_b64 exec, exec, s[28:29]
.LBB50_61:                              ;   in Loop: Header=BB50_12 Depth=3
	s_or_b64 exec, exec, s[62:63]
.LBB50_62:                              ;   in Loop: Header=BB50_12 Depth=3
	s_or_b64 exec, exec, s[60:61]
                                        ; implicit-def: $vgpr5_vgpr6
.LBB50_63:                              ;   in Loop: Header=BB50_12 Depth=3
	s_andn2_saveexec_b64 s[26:27], s[26:27]
	s_cbranch_execz .LBB50_78
; %bb.64:                               ;   in Loop: Header=BB50_12 Depth=3
	v_cmp_lt_i32_e32 vcc, v17, v49
	s_and_saveexec_b64 s[60:61], vcc
	s_cbranch_execz .LBB50_77
; %bb.65:                               ;   in Loop: Header=BB50_12 Depth=3
	s_mov_b64 s[28:29], 0
	v_mov_b32_e32 v11, v17
                                        ; implicit-def: $sgpr30_sgpr31
                                        ; implicit-def: $sgpr0_sgpr1
                                        ; implicit-def: $sgpr62_sgpr63
	s_branch .LBB50_67
.LBB50_66:                              ;   in Loop: Header=BB50_67 Depth=4
	s_or_b64 exec, exec, s[76:77]
	s_and_b64 s[4:5], exec, s[0:1]
	s_or_b64 s[28:29], s[4:5], s[28:29]
	s_andn2_b64 s[4:5], s[30:31], exec
	s_and_b64 s[30:31], s[62:63], exec
	s_or_b64 s[30:31], s[4:5], s[30:31]
	s_andn2_b64 exec, exec, s[28:29]
	s_cbranch_execz .LBB50_69
.LBB50_67:                              ;   Parent Loop BB50_3 Depth=1
                                        ;     Parent Loop BB50_7 Depth=2
                                        ;       Parent Loop BB50_12 Depth=3
                                        ; =>      This Inner Loop Header: Depth=4
	v_add_u32_e32 v9, v22, v11
	v_ashrrev_i32_e32 v10, 31, v9
	v_lshlrev_b64 v[31:32], 2, v[9:10]
	v_mov_b32_e32 v12, s49
	v_add_co_u32_e32 v31, vcc, s48, v31
	v_addc_co_u32_e32 v32, vcc, v12, v32, vcc
	global_load_dword v12, v[31:32], off
	s_or_b64 s[62:63], s[62:63], exec
	s_or_b64 s[0:1], s[0:1], exec
	s_waitcnt vmcnt(0)
	v_subrev_u32_e32 v12, s7, v12
	v_cmp_ne_u32_e32 vcc, v12, v23
	s_and_saveexec_b64 s[76:77], vcc
	s_cbranch_execz .LBB50_66
; %bb.68:                               ;   in Loop: Header=BB50_67 Depth=4
	v_add_u32_e32 v11, 1, v11
	v_cmp_ge_i32_e32 vcc, v11, v49
	s_andn2_b64 s[0:1], s[0:1], exec
	s_and_b64 s[4:5], vcc, exec
	s_andn2_b64 s[62:63], s[62:63], exec
	s_or_b64 s[0:1], s[0:1], s[4:5]
	s_branch .LBB50_66
.LBB50_69:                              ;   in Loop: Header=BB50_12 Depth=3
	s_or_b64 exec, exec, s[28:29]
	s_and_saveexec_b64 s[0:1], s[30:31]
	s_xor_b64 s[28:29], exec, s[0:1]
	s_cbranch_execz .LBB50_76
; %bb.70:                               ;   in Loop: Header=BB50_12 Depth=3
	v_lshlrev_b64 v[9:10], 4, v[9:10]
	v_mov_b32_e32 v12, s81
	v_add_co_u32_e32 v11, vcc, s80, v9
	v_addc_co_u32_e32 v12, vcc, v12, v10, vcc
	s_andn2_b64 vcc, exec, s[68:69]
	global_store_dwordx4 v[11:12], v[5:8], off
	s_cbranch_vccnz .LBB50_76
; %bb.71:                               ;   in Loop: Header=BB50_12 Depth=3
	v_mov_b32_e32 v11, s51
	v_add_co_u32_e32 v9, vcc, s50, v9
	v_addc_co_u32_e32 v10, vcc, v11, v10, vcc
	global_load_dwordx4 v[9:12], v[9:10], off
	s_waitcnt vmcnt(0)
	v_add_f64 v[5:6], v[9:10], -v[5:6]
	v_add_f64 v[11:12], v[11:12], -v[7:8]
                                        ; implicit-def: $vgpr9_vgpr10
	v_cmp_gt_f64_e32 vcc, 0, v[5:6]
	v_xor_b32_e32 v7, 0x80000000, v6
	v_xor_b32_e32 v8, 0x80000000, v12
	v_cndmask_b32_e32 v6, v6, v7, vcc
	v_cmp_gt_f64_e32 vcc, 0, v[11:12]
	v_mov_b32_e32 v7, v11
	v_cndmask_b32_e32 v8, v12, v8, vcc
	v_cmp_ngt_f64_e32 vcc, v[5:6], v[7:8]
	s_and_saveexec_b64 s[0:1], vcc
	s_xor_b64 s[0:1], exec, s[0:1]
	s_cbranch_execnz .LBB50_111
; %bb.72:                               ;   in Loop: Header=BB50_12 Depth=3
	s_andn2_saveexec_b64 s[0:1], s[0:1]
	s_cbranch_execnz .LBB50_114
.LBB50_73:                              ;   in Loop: Header=BB50_12 Depth=3
	s_or_b64 exec, exec, s[0:1]
	v_cmp_class_f64_e64 s[4:5], v[9:10], s10
	s_and_saveexec_b64 s[0:1], s[4:5]
	s_cbranch_execz .LBB50_75
.LBB50_74:                              ;   in Loop: Header=BB50_12 Depth=3
	v_cmp_lt_f64_e32 vcc, v[15:16], v[9:10]
	v_cndmask_b32_e32 v16, v16, v10, vcc
	v_cndmask_b32_e32 v15, v15, v9, vcc
.LBB50_75:                              ;   in Loop: Header=BB50_12 Depth=3
	s_or_b64 exec, exec, s[0:1]
.LBB50_76:                              ;   in Loop: Header=BB50_12 Depth=3
	s_or_b64 exec, exec, s[28:29]
.LBB50_77:                              ;   in Loop: Header=BB50_12 Depth=3
	s_or_b64 exec, exec, s[60:61]
.LBB50_78:                              ;   in Loop: Header=BB50_12 Depth=3
	s_or_b64 exec, exec, s[26:27]
	s_or_b64 exec, exec, s[84:85]
	s_and_b64 s[0:1], s[34:35], s[78:79]
	s_and_saveexec_b64 s[26:27], s[0:1]
	s_cbranch_execz .LBB50_11
.LBB50_79:                              ;   in Loop: Header=BB50_12 Depth=3
	v_cmp_ge_i32_e32 vcc, v30, v54
	s_and_saveexec_b64 s[0:1], vcc
	s_xor_b64 s[28:29], exec, s[0:1]
	s_cbranch_execnz .LBB50_86
; %bb.80:                               ;   in Loop: Header=BB50_12 Depth=3
	s_andn2_saveexec_b64 s[28:29], s[28:29]
	s_cbranch_execnz .LBB50_100
.LBB50_81:                              ;   in Loop: Header=BB50_12 Depth=3
	s_or_b64 exec, exec, s[28:29]
	v_cmp_eq_u32_e32 vcc, v19, v23
	s_and_saveexec_b64 s[0:1], vcc
	s_cbranch_execz .LBB50_83
.LBB50_82:                              ;   in Loop: Header=BB50_12 Depth=3
	v_lshlrev_b64 v[5:6], 4, v[23:24]
	v_mov_b32_e32 v7, s65
	v_add_co_u32_e32 v5, vcc, s64, v5
	v_addc_co_u32_e32 v6, vcc, v7, v6, vcc
	global_load_dwordx4 v[5:8], v[5:6], off
	s_waitcnt vmcnt(0)
	v_add_f64 v[25:26], v[25:26], v[5:6]
	v_add_f64 v[27:28], v[27:28], v[7:8]
.LBB50_83:                              ;   in Loop: Header=BB50_12 Depth=3
	s_or_b64 exec, exec, s[0:1]
	v_add_f64 v[1:2], v[1:2], -v[25:26]
	v_add_f64 v[7:8], v[3:4], -v[27:28]
                                        ; implicit-def: $vgpr5_vgpr6
	v_cmp_gt_f64_e32 vcc, 0, v[1:2]
	v_xor_b32_e32 v3, 0x80000000, v2
	v_xor_b32_e32 v4, 0x80000000, v8
	v_cndmask_b32_e32 v2, v2, v3, vcc
	v_cmp_gt_f64_e32 vcc, 0, v[7:8]
	v_mov_b32_e32 v3, v7
	v_cndmask_b32_e32 v4, v8, v4, vcc
	v_cmp_ngt_f64_e32 vcc, v[1:2], v[3:4]
	s_and_saveexec_b64 s[0:1], vcc
	s_xor_b64 s[0:1], exec, s[0:1]
	s_cbranch_execnz .LBB50_91
; %bb.84:                               ;   in Loop: Header=BB50_12 Depth=3
	s_andn2_saveexec_b64 s[0:1], s[0:1]
	s_cbranch_execnz .LBB50_94
.LBB50_85:                              ;   in Loop: Header=BB50_12 Depth=3
	s_or_b64 exec, exec, s[0:1]
	v_cmp_class_f64_e64 s[4:5], v[5:6], s10
	s_and_saveexec_b64 s[0:1], s[4:5]
	s_cbranch_execz .LBB50_10
	s_branch .LBB50_95
.LBB50_86:                              ;   in Loop: Header=BB50_12 Depth=3
	v_cmp_lt_i32_e32 vcc, v17, v49
	s_and_saveexec_b64 s[30:31], vcc
	s_cbranch_execz .LBB50_99
; %bb.87:                               ;   in Loop: Header=BB50_12 Depth=3
	s_mov_b64 s[62:63], 0
                                        ; implicit-def: $sgpr60_sgpr61
                                        ; implicit-def: $sgpr0_sgpr1
                                        ; implicit-def: $sgpr76_sgpr77
	s_branch .LBB50_89
.LBB50_88:                              ;   in Loop: Header=BB50_89 Depth=4
	s_or_b64 exec, exec, s[4:5]
	s_and_b64 s[4:5], exec, s[0:1]
	s_or_b64 s[62:63], s[4:5], s[62:63]
	s_andn2_b64 s[4:5], s[60:61], exec
	s_and_b64 s[60:61], s[76:77], exec
	s_or_b64 s[60:61], s[4:5], s[60:61]
	s_andn2_b64 exec, exec, s[62:63]
	s_cbranch_execz .LBB50_96
.LBB50_89:                              ;   Parent Loop BB50_3 Depth=1
                                        ;     Parent Loop BB50_7 Depth=2
                                        ;       Parent Loop BB50_12 Depth=3
                                        ; =>      This Inner Loop Header: Depth=4
	v_add_u32_e32 v5, v22, v17
	v_ashrrev_i32_e32 v6, 31, v5
	v_lshlrev_b64 v[7:8], 2, v[5:6]
	v_mov_b32_e32 v9, s49
	v_add_co_u32_e32 v7, vcc, s48, v7
	v_addc_co_u32_e32 v8, vcc, v9, v8, vcc
	global_load_dword v7, v[7:8], off
	s_or_b64 s[76:77], s[76:77], exec
	s_or_b64 s[0:1], s[0:1], exec
	s_waitcnt vmcnt(0)
	v_subrev_u32_e32 v7, s7, v7
	v_cmp_ne_u32_e32 vcc, v7, v23
	s_and_saveexec_b64 s[4:5], vcc
	s_cbranch_execz .LBB50_88
; %bb.90:                               ;   in Loop: Header=BB50_89 Depth=4
	v_add_u32_e32 v17, 1, v17
	v_cmp_ge_i32_e32 vcc, v17, v49
	s_andn2_b64 s[0:1], s[0:1], exec
	s_and_b64 s[78:79], vcc, exec
	s_andn2_b64 s[76:77], s[76:77], exec
	s_or_b64 s[0:1], s[0:1], s[78:79]
	s_branch .LBB50_88
.LBB50_91:                              ;   in Loop: Header=BB50_12 Depth=3
	v_cmp_neq_f64_e32 vcc, 0, v[7:8]
	v_mov_b32_e32 v5, 0
	v_mov_b32_e32 v6, 0
	s_and_saveexec_b64 s[28:29], vcc
	s_cbranch_execz .LBB50_93
; %bb.92:                               ;   in Loop: Header=BB50_12 Depth=3
	v_div_scale_f64 v[5:6], s[4:5], v[3:4], v[3:4], v[1:2]
	v_rcp_f64_e32 v[7:8], v[5:6]
	v_fma_f64 v[9:10], -v[5:6], v[7:8], 1.0
	v_fma_f64 v[7:8], v[7:8], v[9:10], v[7:8]
	v_div_scale_f64 v[9:10], vcc, v[1:2], v[3:4], v[1:2]
	v_fma_f64 v[11:12], -v[5:6], v[7:8], 1.0
	v_fma_f64 v[7:8], v[7:8], v[11:12], v[7:8]
	v_mul_f64 v[11:12], v[9:10], v[7:8]
	v_fma_f64 v[5:6], -v[5:6], v[11:12], v[9:10]
	v_div_fmas_f64 v[5:6], v[5:6], v[7:8], v[11:12]
	v_div_fixup_f64 v[1:2], v[5:6], v[3:4], v[1:2]
	v_fma_f64 v[1:2], v[1:2], v[1:2], 1.0
	v_cmp_gt_f64_e32 vcc, s[88:89], v[1:2]
	v_cndmask_b32_e32 v5, 0, v46, vcc
	v_ldexp_f64 v[1:2], v[1:2], v5
	v_rsq_f64_e32 v[5:6], v[1:2]
	v_mul_f64 v[7:8], v[1:2], v[5:6]
	v_mul_f64 v[5:6], v[5:6], 0.5
	v_fma_f64 v[9:10], -v[5:6], v[7:8], 0.5
	v_fma_f64 v[7:8], v[7:8], v[9:10], v[7:8]
	v_fma_f64 v[5:6], v[5:6], v[9:10], v[5:6]
	v_fma_f64 v[9:10], -v[7:8], v[7:8], v[1:2]
	v_fma_f64 v[7:8], v[9:10], v[5:6], v[7:8]
	v_fma_f64 v[9:10], -v[7:8], v[7:8], v[1:2]
	v_fma_f64 v[5:6], v[9:10], v[5:6], v[7:8]
	v_cndmask_b32_e32 v7, 0, v47, vcc
	v_cmp_class_f64_e32 vcc, v[1:2], v45
	v_ldexp_f64 v[5:6], v[5:6], v7
	v_cndmask_b32_e32 v2, v6, v2, vcc
	v_cndmask_b32_e32 v1, v5, v1, vcc
	v_mul_f64 v[5:6], v[3:4], v[1:2]
.LBB50_93:                              ;   in Loop: Header=BB50_12 Depth=3
	s_or_b64 exec, exec, s[28:29]
                                        ; implicit-def: $vgpr1_vgpr2
                                        ; implicit-def: $vgpr3_vgpr4
	s_andn2_saveexec_b64 s[0:1], s[0:1]
	s_cbranch_execz .LBB50_85
.LBB50_94:                              ;   in Loop: Header=BB50_12 Depth=3
	v_div_scale_f64 v[5:6], s[4:5], v[1:2], v[1:2], v[3:4]
	v_rcp_f64_e32 v[7:8], v[5:6]
	v_fma_f64 v[9:10], -v[5:6], v[7:8], 1.0
	v_fma_f64 v[7:8], v[7:8], v[9:10], v[7:8]
	v_div_scale_f64 v[9:10], vcc, v[3:4], v[1:2], v[3:4]
	v_fma_f64 v[11:12], -v[5:6], v[7:8], 1.0
	v_fma_f64 v[7:8], v[7:8], v[11:12], v[7:8]
	v_mul_f64 v[11:12], v[9:10], v[7:8]
	v_fma_f64 v[5:6], -v[5:6], v[11:12], v[9:10]
	v_div_fmas_f64 v[5:6], v[5:6], v[7:8], v[11:12]
	v_div_fixup_f64 v[3:4], v[5:6], v[1:2], v[3:4]
	v_fma_f64 v[3:4], v[3:4], v[3:4], 1.0
	v_cmp_gt_f64_e32 vcc, s[88:89], v[3:4]
	v_cndmask_b32_e32 v5, 0, v46, vcc
	v_ldexp_f64 v[3:4], v[3:4], v5
	v_rsq_f64_e32 v[5:6], v[3:4]
	v_mul_f64 v[7:8], v[3:4], v[5:6]
	v_mul_f64 v[5:6], v[5:6], 0.5
	v_fma_f64 v[9:10], -v[5:6], v[7:8], 0.5
	v_fma_f64 v[7:8], v[7:8], v[9:10], v[7:8]
	v_fma_f64 v[5:6], v[5:6], v[9:10], v[5:6]
	v_fma_f64 v[9:10], -v[7:8], v[7:8], v[3:4]
	v_fma_f64 v[7:8], v[9:10], v[5:6], v[7:8]
	v_fma_f64 v[9:10], -v[7:8], v[7:8], v[3:4]
	v_fma_f64 v[5:6], v[9:10], v[5:6], v[7:8]
	v_cndmask_b32_e32 v7, 0, v47, vcc
	v_cmp_class_f64_e32 vcc, v[3:4], v45
	v_ldexp_f64 v[5:6], v[5:6], v7
	v_cndmask_b32_e32 v4, v6, v4, vcc
	v_cndmask_b32_e32 v3, v5, v3, vcc
	v_mul_f64 v[5:6], v[1:2], v[3:4]
	s_or_b64 exec, exec, s[0:1]
	v_cmp_class_f64_e64 s[4:5], v[5:6], s10
	s_and_saveexec_b64 s[0:1], s[4:5]
	s_cbranch_execz .LBB50_10
.LBB50_95:                              ;   in Loop: Header=BB50_12 Depth=3
	v_cmp_lt_f64_e32 vcc, v[13:14], v[5:6]
	v_cndmask_b32_e32 v14, v14, v6, vcc
	v_cndmask_b32_e32 v13, v13, v5, vcc
	s_branch .LBB50_10
.LBB50_96:                              ;   in Loop: Header=BB50_12 Depth=3
	s_or_b64 exec, exec, s[62:63]
	s_and_saveexec_b64 s[0:1], s[60:61]
	s_xor_b64 s[0:1], exec, s[0:1]
	s_cbranch_execz .LBB50_98
; %bb.97:                               ;   in Loop: Header=BB50_12 Depth=3
	v_lshlrev_b64 v[5:6], 4, v[5:6]
	v_mov_b32_e32 v7, s51
	v_add_co_u32_e32 v9, vcc, s50, v5
	v_addc_co_u32_e32 v10, vcc, v7, v6, vcc
	v_lshlrev_b64 v[5:6], 4, v[23:24]
	v_mov_b32_e32 v7, s65
	v_add_co_u32_e32 v5, vcc, s64, v5
	v_addc_co_u32_e32 v6, vcc, v7, v6, vcc
	global_load_dwordx4 v[5:8], v[5:6], off
	s_nop 0
	global_load_dwordx4 v[9:12], v[9:10], off
	s_waitcnt vmcnt(0)
	v_mul_f64 v[29:30], v[7:8], -v[11:12]
	v_mul_f64 v[7:8], v[7:8], v[9:10]
	v_fma_f64 v[9:10], v[9:10], v[5:6], v[29:30]
	v_fma_f64 v[5:6], v[11:12], v[5:6], v[7:8]
	v_add_f64 v[25:26], v[25:26], v[9:10]
	v_add_f64 v[27:28], v[27:28], v[5:6]
.LBB50_98:                              ;   in Loop: Header=BB50_12 Depth=3
	s_or_b64 exec, exec, s[0:1]
.LBB50_99:                              ;   in Loop: Header=BB50_12 Depth=3
	s_or_b64 exec, exec, s[30:31]
                                        ; implicit-def: $vgpr30
                                        ; implicit-def: $vgpr29
                                        ; implicit-def: $vgpr54
	s_andn2_saveexec_b64 s[28:29], s[28:29]
	s_cbranch_execz .LBB50_81
.LBB50_100:                             ;   in Loop: Header=BB50_12 Depth=3
	s_mov_b64 s[60:61], 0
                                        ; implicit-def: $sgpr30_sgpr31
                                        ; implicit-def: $sgpr0_sgpr1
                                        ; implicit-def: $sgpr62_sgpr63
	s_branch .LBB50_102
.LBB50_101:                             ;   in Loop: Header=BB50_102 Depth=4
	s_or_b64 exec, exec, s[4:5]
	s_and_b64 s[4:5], exec, s[0:1]
	s_or_b64 s[60:61], s[4:5], s[60:61]
	s_andn2_b64 s[4:5], s[30:31], exec
	s_and_b64 s[30:31], s[62:63], exec
	s_or_b64 s[30:31], s[4:5], s[30:31]
	s_andn2_b64 exec, exec, s[60:61]
	s_cbranch_execz .LBB50_104
.LBB50_102:                             ;   Parent Loop BB50_3 Depth=1
                                        ;     Parent Loop BB50_7 Depth=2
                                        ;       Parent Loop BB50_12 Depth=3
                                        ; =>      This Inner Loop Header: Depth=4
	v_add_u32_e32 v5, v29, v30
	v_ashrrev_i32_e32 v6, 31, v5
	v_lshlrev_b64 v[7:8], 2, v[5:6]
	v_mov_b32_e32 v9, s41
	v_add_co_u32_e32 v7, vcc, s40, v7
	v_addc_co_u32_e32 v8, vcc, v9, v8, vcc
	global_load_dword v7, v[7:8], off
	s_or_b64 s[62:63], s[62:63], exec
	s_or_b64 s[0:1], s[0:1], exec
	s_waitcnt vmcnt(0)
	v_subrev_u32_e32 v7, s8, v7
	v_cmp_ne_u32_e32 vcc, v7, v19
	s_and_saveexec_b64 s[4:5], vcc
	s_cbranch_execz .LBB50_101
; %bb.103:                              ;   in Loop: Header=BB50_102 Depth=4
	v_add_u32_e32 v30, 1, v30
	v_cmp_ge_i32_e32 vcc, v30, v54
	s_andn2_b64 s[0:1], s[0:1], exec
	s_and_b64 s[76:77], vcc, exec
	s_andn2_b64 s[62:63], s[62:63], exec
	s_or_b64 s[0:1], s[0:1], s[76:77]
	s_branch .LBB50_101
.LBB50_104:                             ;   in Loop: Header=BB50_12 Depth=3
	s_or_b64 exec, exec, s[60:61]
	s_and_saveexec_b64 s[0:1], s[30:31]
	s_xor_b64 s[0:1], exec, s[0:1]
	s_cbranch_execz .LBB50_106
; %bb.105:                              ;   in Loop: Header=BB50_12 Depth=3
	v_lshlrev_b64 v[5:6], 4, v[5:6]
	v_mov_b32_e32 v7, s43
	v_add_co_u32_e32 v5, vcc, s42, v5
	v_addc_co_u32_e32 v6, vcc, v7, v6, vcc
	global_load_dwordx4 v[5:8], v[5:6], off
	s_waitcnt vmcnt(0)
	v_add_f64 v[25:26], v[25:26], v[5:6]
	v_add_f64 v[27:28], v[27:28], v[7:8]
.LBB50_106:                             ;   in Loop: Header=BB50_12 Depth=3
	s_or_b64 exec, exec, s[0:1]
	s_or_b64 exec, exec, s[28:29]
	v_cmp_eq_u32_e32 vcc, v19, v23
	s_and_saveexec_b64 s[0:1], vcc
	s_cbranch_execnz .LBB50_82
	s_branch .LBB50_83
.LBB50_107:                             ;   in Loop: Header=BB50_12 Depth=3
	v_cmp_neq_f64_e32 vcc, 0, v[11:12]
	v_mov_b32_e32 v9, 0
	v_mov_b32_e32 v10, 0
	s_and_saveexec_b64 s[28:29], vcc
	s_cbranch_execz .LBB50_109
; %bb.108:                              ;   in Loop: Header=BB50_12 Depth=3
	v_div_scale_f64 v[9:10], s[4:5], v[7:8], v[7:8], v[5:6]
	v_rcp_f64_e32 v[11:12], v[9:10]
	v_fma_f64 v[31:32], -v[9:10], v[11:12], 1.0
	v_fma_f64 v[11:12], v[11:12], v[31:32], v[11:12]
	v_div_scale_f64 v[31:32], vcc, v[5:6], v[7:8], v[5:6]
	v_fma_f64 v[33:34], -v[9:10], v[11:12], 1.0
	v_fma_f64 v[11:12], v[11:12], v[33:34], v[11:12]
	v_mul_f64 v[33:34], v[31:32], v[11:12]
	v_fma_f64 v[9:10], -v[9:10], v[33:34], v[31:32]
	v_div_fmas_f64 v[9:10], v[9:10], v[11:12], v[33:34]
	v_div_fixup_f64 v[5:6], v[9:10], v[7:8], v[5:6]
	v_fma_f64 v[5:6], v[5:6], v[5:6], 1.0
	v_cmp_gt_f64_e32 vcc, s[88:89], v[5:6]
	v_cndmask_b32_e32 v9, 0, v46, vcc
	v_ldexp_f64 v[5:6], v[5:6], v9
	v_rsq_f64_e32 v[9:10], v[5:6]
	v_mul_f64 v[11:12], v[5:6], v[9:10]
	v_mul_f64 v[9:10], v[9:10], 0.5
	v_fma_f64 v[31:32], -v[9:10], v[11:12], 0.5
	v_fma_f64 v[11:12], v[11:12], v[31:32], v[11:12]
	v_fma_f64 v[9:10], v[9:10], v[31:32], v[9:10]
	v_fma_f64 v[31:32], -v[11:12], v[11:12], v[5:6]
	v_fma_f64 v[11:12], v[31:32], v[9:10], v[11:12]
	v_fma_f64 v[31:32], -v[11:12], v[11:12], v[5:6]
	v_fma_f64 v[9:10], v[31:32], v[9:10], v[11:12]
	v_cndmask_b32_e32 v11, 0, v47, vcc
	v_cmp_class_f64_e32 vcc, v[5:6], v45
	v_ldexp_f64 v[9:10], v[9:10], v11
	v_cndmask_b32_e32 v6, v10, v6, vcc
	v_cndmask_b32_e32 v5, v9, v5, vcc
	v_mul_f64 v[9:10], v[7:8], v[5:6]
.LBB50_109:                             ;   in Loop: Header=BB50_12 Depth=3
	s_or_b64 exec, exec, s[28:29]
                                        ; implicit-def: $vgpr5_vgpr6
                                        ; implicit-def: $vgpr7_vgpr8
	s_andn2_saveexec_b64 s[0:1], s[0:1]
	s_cbranch_execz .LBB50_43
.LBB50_110:                             ;   in Loop: Header=BB50_12 Depth=3
	v_div_scale_f64 v[9:10], s[4:5], v[5:6], v[5:6], v[7:8]
	v_rcp_f64_e32 v[11:12], v[9:10]
	v_fma_f64 v[31:32], -v[9:10], v[11:12], 1.0
	v_fma_f64 v[11:12], v[11:12], v[31:32], v[11:12]
	v_div_scale_f64 v[31:32], vcc, v[7:8], v[5:6], v[7:8]
	v_fma_f64 v[33:34], -v[9:10], v[11:12], 1.0
	v_fma_f64 v[11:12], v[11:12], v[33:34], v[11:12]
	v_mul_f64 v[33:34], v[31:32], v[11:12]
	v_fma_f64 v[9:10], -v[9:10], v[33:34], v[31:32]
	v_div_fmas_f64 v[9:10], v[9:10], v[11:12], v[33:34]
	v_div_fixup_f64 v[7:8], v[9:10], v[5:6], v[7:8]
	v_fma_f64 v[7:8], v[7:8], v[7:8], 1.0
	v_cmp_gt_f64_e32 vcc, s[88:89], v[7:8]
	v_cndmask_b32_e32 v9, 0, v46, vcc
	v_ldexp_f64 v[7:8], v[7:8], v9
	v_rsq_f64_e32 v[9:10], v[7:8]
	v_mul_f64 v[11:12], v[7:8], v[9:10]
	v_mul_f64 v[9:10], v[9:10], 0.5
	v_fma_f64 v[31:32], -v[9:10], v[11:12], 0.5
	v_fma_f64 v[11:12], v[11:12], v[31:32], v[11:12]
	v_fma_f64 v[9:10], v[9:10], v[31:32], v[9:10]
	v_fma_f64 v[31:32], -v[11:12], v[11:12], v[7:8]
	v_fma_f64 v[11:12], v[31:32], v[9:10], v[11:12]
	v_fma_f64 v[31:32], -v[11:12], v[11:12], v[7:8]
	v_fma_f64 v[9:10], v[31:32], v[9:10], v[11:12]
	v_cndmask_b32_e32 v11, 0, v47, vcc
	v_cmp_class_f64_e32 vcc, v[7:8], v45
	v_ldexp_f64 v[9:10], v[9:10], v11
	v_cndmask_b32_e32 v8, v10, v8, vcc
	v_cndmask_b32_e32 v7, v9, v7, vcc
	v_mul_f64 v[9:10], v[5:6], v[7:8]
	s_or_b64 exec, exec, s[0:1]
	v_cmp_class_f64_e64 s[4:5], v[9:10], s10
	s_and_saveexec_b64 s[0:1], s[4:5]
	s_cbranch_execnz .LBB50_44
	s_branch .LBB50_45
.LBB50_111:                             ;   in Loop: Header=BB50_12 Depth=3
	v_cmp_neq_f64_e32 vcc, 0, v[11:12]
	v_mov_b32_e32 v9, 0
	v_mov_b32_e32 v10, 0
	s_and_saveexec_b64 s[30:31], vcc
	s_cbranch_execz .LBB50_113
; %bb.112:                              ;   in Loop: Header=BB50_12 Depth=3
	v_div_scale_f64 v[9:10], s[4:5], v[7:8], v[7:8], v[5:6]
	v_rcp_f64_e32 v[11:12], v[9:10]
	v_fma_f64 v[31:32], -v[9:10], v[11:12], 1.0
	v_fma_f64 v[11:12], v[11:12], v[31:32], v[11:12]
	v_div_scale_f64 v[31:32], vcc, v[5:6], v[7:8], v[5:6]
	v_fma_f64 v[33:34], -v[9:10], v[11:12], 1.0
	v_fma_f64 v[11:12], v[11:12], v[33:34], v[11:12]
	v_mul_f64 v[33:34], v[31:32], v[11:12]
	v_fma_f64 v[9:10], -v[9:10], v[33:34], v[31:32]
	v_div_fmas_f64 v[9:10], v[9:10], v[11:12], v[33:34]
	v_div_fixup_f64 v[5:6], v[9:10], v[7:8], v[5:6]
	v_fma_f64 v[5:6], v[5:6], v[5:6], 1.0
	v_cmp_gt_f64_e32 vcc, s[88:89], v[5:6]
	v_cndmask_b32_e32 v9, 0, v46, vcc
	v_ldexp_f64 v[5:6], v[5:6], v9
	v_rsq_f64_e32 v[9:10], v[5:6]
	v_mul_f64 v[11:12], v[5:6], v[9:10]
	v_mul_f64 v[9:10], v[9:10], 0.5
	v_fma_f64 v[31:32], -v[9:10], v[11:12], 0.5
	v_fma_f64 v[11:12], v[11:12], v[31:32], v[11:12]
	v_fma_f64 v[9:10], v[9:10], v[31:32], v[9:10]
	v_fma_f64 v[31:32], -v[11:12], v[11:12], v[5:6]
	v_fma_f64 v[11:12], v[31:32], v[9:10], v[11:12]
	v_fma_f64 v[31:32], -v[11:12], v[11:12], v[5:6]
	v_fma_f64 v[9:10], v[31:32], v[9:10], v[11:12]
	v_cndmask_b32_e32 v11, 0, v47, vcc
	v_cmp_class_f64_e32 vcc, v[5:6], v45
	v_ldexp_f64 v[9:10], v[9:10], v11
	v_cndmask_b32_e32 v6, v10, v6, vcc
	v_cndmask_b32_e32 v5, v9, v5, vcc
	v_mul_f64 v[9:10], v[7:8], v[5:6]
.LBB50_113:                             ;   in Loop: Header=BB50_12 Depth=3
	s_or_b64 exec, exec, s[30:31]
                                        ; implicit-def: $vgpr5_vgpr6
                                        ; implicit-def: $vgpr7_vgpr8
	s_andn2_saveexec_b64 s[0:1], s[0:1]
	s_cbranch_execz .LBB50_73
.LBB50_114:                             ;   in Loop: Header=BB50_12 Depth=3
	v_div_scale_f64 v[9:10], s[4:5], v[5:6], v[5:6], v[7:8]
	v_rcp_f64_e32 v[11:12], v[9:10]
	v_fma_f64 v[31:32], -v[9:10], v[11:12], 1.0
	v_fma_f64 v[11:12], v[11:12], v[31:32], v[11:12]
	v_div_scale_f64 v[31:32], vcc, v[7:8], v[5:6], v[7:8]
	v_fma_f64 v[33:34], -v[9:10], v[11:12], 1.0
	v_fma_f64 v[11:12], v[11:12], v[33:34], v[11:12]
	v_mul_f64 v[33:34], v[31:32], v[11:12]
	v_fma_f64 v[9:10], -v[9:10], v[33:34], v[31:32]
	v_div_fmas_f64 v[9:10], v[9:10], v[11:12], v[33:34]
	v_div_fixup_f64 v[7:8], v[9:10], v[5:6], v[7:8]
	v_fma_f64 v[7:8], v[7:8], v[7:8], 1.0
	v_cmp_gt_f64_e32 vcc, s[88:89], v[7:8]
	v_cndmask_b32_e32 v9, 0, v46, vcc
	v_ldexp_f64 v[7:8], v[7:8], v9
	v_rsq_f64_e32 v[9:10], v[7:8]
	v_mul_f64 v[11:12], v[7:8], v[9:10]
	v_mul_f64 v[9:10], v[9:10], 0.5
	v_fma_f64 v[31:32], -v[9:10], v[11:12], 0.5
	v_fma_f64 v[11:12], v[11:12], v[31:32], v[11:12]
	v_fma_f64 v[9:10], v[9:10], v[31:32], v[9:10]
	v_fma_f64 v[31:32], -v[11:12], v[11:12], v[7:8]
	v_fma_f64 v[11:12], v[31:32], v[9:10], v[11:12]
	v_fma_f64 v[31:32], -v[11:12], v[11:12], v[7:8]
	v_fma_f64 v[9:10], v[31:32], v[9:10], v[11:12]
	v_cndmask_b32_e32 v11, 0, v47, vcc
	v_cmp_class_f64_e32 vcc, v[7:8], v45
	v_ldexp_f64 v[9:10], v[9:10], v11
	v_cndmask_b32_e32 v8, v10, v8, vcc
	v_cndmask_b32_e32 v7, v9, v7, vcc
	v_mul_f64 v[9:10], v[5:6], v[7:8]
	s_or_b64 exec, exec, s[0:1]
	v_cmp_class_f64_e64 s[4:5], v[9:10], s10
	s_and_saveexec_b64 s[0:1], s[4:5]
	s_cbranch_execnz .LBB50_74
	s_branch .LBB50_75
.LBB50_115:                             ;   in Loop: Header=BB50_12 Depth=3
	v_cmp_neq_f64_e32 vcc, 0, v[11:12]
	v_mov_b32_e32 v9, 0
	v_mov_b32_e32 v10, 0
	s_and_saveexec_b64 s[30:31], vcc
	s_cbranch_execz .LBB50_117
; %bb.116:                              ;   in Loop: Header=BB50_12 Depth=3
	v_div_scale_f64 v[9:10], s[4:5], v[7:8], v[7:8], v[5:6]
	v_rcp_f64_e32 v[11:12], v[9:10]
	v_fma_f64 v[31:32], -v[9:10], v[11:12], 1.0
	v_fma_f64 v[11:12], v[11:12], v[31:32], v[11:12]
	v_div_scale_f64 v[31:32], vcc, v[5:6], v[7:8], v[5:6]
	v_fma_f64 v[33:34], -v[9:10], v[11:12], 1.0
	v_fma_f64 v[11:12], v[11:12], v[33:34], v[11:12]
	v_mul_f64 v[33:34], v[31:32], v[11:12]
	v_fma_f64 v[9:10], -v[9:10], v[33:34], v[31:32]
	v_div_fmas_f64 v[9:10], v[9:10], v[11:12], v[33:34]
	v_div_fixup_f64 v[5:6], v[9:10], v[7:8], v[5:6]
	v_fma_f64 v[5:6], v[5:6], v[5:6], 1.0
	v_cmp_gt_f64_e32 vcc, s[88:89], v[5:6]
	v_cndmask_b32_e32 v9, 0, v46, vcc
	v_ldexp_f64 v[5:6], v[5:6], v9
	v_rsq_f64_e32 v[9:10], v[5:6]
	v_mul_f64 v[11:12], v[5:6], v[9:10]
	v_mul_f64 v[9:10], v[9:10], 0.5
	v_fma_f64 v[31:32], -v[9:10], v[11:12], 0.5
	v_fma_f64 v[11:12], v[11:12], v[31:32], v[11:12]
	v_fma_f64 v[9:10], v[9:10], v[31:32], v[9:10]
	v_fma_f64 v[31:32], -v[11:12], v[11:12], v[5:6]
	v_fma_f64 v[11:12], v[31:32], v[9:10], v[11:12]
	v_fma_f64 v[31:32], -v[11:12], v[11:12], v[5:6]
	v_fma_f64 v[9:10], v[31:32], v[9:10], v[11:12]
	v_cndmask_b32_e32 v11, 0, v47, vcc
	v_cmp_class_f64_e32 vcc, v[5:6], v45
	v_ldexp_f64 v[9:10], v[9:10], v11
	v_cndmask_b32_e32 v6, v10, v6, vcc
	v_cndmask_b32_e32 v5, v9, v5, vcc
	v_mul_f64 v[9:10], v[7:8], v[5:6]
.LBB50_117:                             ;   in Loop: Header=BB50_12 Depth=3
	s_or_b64 exec, exec, s[30:31]
                                        ; implicit-def: $vgpr5_vgpr6
                                        ; implicit-def: $vgpr7_vgpr8
	s_andn2_saveexec_b64 s[0:1], s[0:1]
	s_cbranch_execz .LBB50_57
.LBB50_118:                             ;   in Loop: Header=BB50_12 Depth=3
	v_div_scale_f64 v[9:10], s[4:5], v[5:6], v[5:6], v[7:8]
	v_rcp_f64_e32 v[11:12], v[9:10]
	v_fma_f64 v[31:32], -v[9:10], v[11:12], 1.0
	v_fma_f64 v[11:12], v[11:12], v[31:32], v[11:12]
	v_div_scale_f64 v[31:32], vcc, v[7:8], v[5:6], v[7:8]
	v_fma_f64 v[33:34], -v[9:10], v[11:12], 1.0
	v_fma_f64 v[11:12], v[11:12], v[33:34], v[11:12]
	v_mul_f64 v[33:34], v[31:32], v[11:12]
	v_fma_f64 v[9:10], -v[9:10], v[33:34], v[31:32]
	v_div_fmas_f64 v[9:10], v[9:10], v[11:12], v[33:34]
	v_div_fixup_f64 v[7:8], v[9:10], v[5:6], v[7:8]
	v_fma_f64 v[7:8], v[7:8], v[7:8], 1.0
	v_cmp_gt_f64_e32 vcc, s[88:89], v[7:8]
	v_cndmask_b32_e32 v9, 0, v46, vcc
	v_ldexp_f64 v[7:8], v[7:8], v9
	v_rsq_f64_e32 v[9:10], v[7:8]
	v_mul_f64 v[11:12], v[7:8], v[9:10]
	v_mul_f64 v[9:10], v[9:10], 0.5
	v_fma_f64 v[31:32], -v[9:10], v[11:12], 0.5
	v_fma_f64 v[11:12], v[11:12], v[31:32], v[11:12]
	v_fma_f64 v[9:10], v[9:10], v[31:32], v[9:10]
	v_fma_f64 v[31:32], -v[11:12], v[11:12], v[7:8]
	v_fma_f64 v[11:12], v[31:32], v[9:10], v[11:12]
	v_fma_f64 v[31:32], -v[11:12], v[11:12], v[7:8]
	v_fma_f64 v[9:10], v[31:32], v[9:10], v[11:12]
	v_cndmask_b32_e32 v11, 0, v47, vcc
	v_cmp_class_f64_e32 vcc, v[7:8], v45
	v_ldexp_f64 v[9:10], v[9:10], v11
	v_cndmask_b32_e32 v8, v10, v8, vcc
	v_cndmask_b32_e32 v7, v9, v7, vcc
	v_mul_f64 v[9:10], v[5:6], v[7:8]
	s_or_b64 exec, exec, s[0:1]
	v_cmp_class_f64_e64 s[4:5], v[9:10], s10
	s_and_saveexec_b64 s[0:1], s[4:5]
	s_cbranch_execnz .LBB50_58
	s_branch .LBB50_59
.LBB50_119:                             ;   in Loop: Header=BB50_3 Depth=1
	s_and_b64 vcc, exec, s[68:69]
	s_cbranch_vccz .LBB50_141
; %bb.120:                              ;   in Loop: Header=BB50_3 Depth=1
	v_mov_b32_dpp v1, v15 row_shr:1 row_mask:0xf bank_mask:0xf
	v_mov_b32_dpp v3, v16 row_shr:1 row_mask:0xf bank_mask:0xf
	s_mov_b64 s[0:1], exec
	v_readlane_b32 s4, v61, 16
	v_readlane_b32 s5, v61, 17
	s_and_b64 s[4:5], s[0:1], s[4:5]
	s_mov_b64 exec, s[4:5]
	s_cbranch_execz .LBB50_122
; %bb.121:                              ;   in Loop: Header=BB50_3 Depth=1
	v_mov_b32_e32 v2, v3
	v_cmp_lt_f64_e32 vcc, v[15:16], v[1:2]
	v_cndmask_b32_e32 v2, v16, v3, vcc
	v_cndmask_b32_e32 v1, v15, v1, vcc
	ds_write_b64 v42, v[1:2]
.LBB50_122:                             ;   in Loop: Header=BB50_3 Depth=1
	s_or_b64 exec, exec, s[0:1]
	s_waitcnt vmcnt(0) lgkmcnt(0)
	s_barrier
	s_mov_b64 s[0:1], exec
	v_readlane_b32 s4, v61, 18
	v_readlane_b32 s5, v61, 19
	s_and_b64 s[4:5], s[0:1], s[4:5]
	s_mov_b64 exec, s[4:5]
	s_cbranch_execz .LBB50_124
; %bb.123:                              ;   in Loop: Header=BB50_3 Depth=1
	ds_read2st64_b64 v[1:4], v40 offset1:4
	s_waitcnt lgkmcnt(0)
	v_cmp_lt_f64_e32 vcc, v[1:2], v[3:4]
	v_cndmask_b32_e32 v2, v2, v4, vcc
	v_cndmask_b32_e32 v1, v1, v3, vcc
	ds_write_b64 v40, v[1:2]
.LBB50_124:                             ;   in Loop: Header=BB50_3 Depth=1
	s_or_b64 exec, exec, s[0:1]
	s_waitcnt lgkmcnt(0)
	s_barrier
	s_mov_b64 s[0:1], exec
	v_readlane_b32 s4, v61, 20
	v_readlane_b32 s5, v61, 21
	s_and_b64 s[4:5], s[0:1], s[4:5]
	s_mov_b64 exec, s[4:5]
	s_cbranch_execz .LBB50_126
; %bb.125:                              ;   in Loop: Header=BB50_3 Depth=1
	ds_read2st64_b64 v[1:4], v40 offset1:2
	s_waitcnt lgkmcnt(0)
	v_cmp_lt_f64_e32 vcc, v[1:2], v[3:4]
	v_cndmask_b32_e32 v2, v2, v4, vcc
	v_cndmask_b32_e32 v1, v1, v3, vcc
	ds_write_b64 v40, v[1:2]
.LBB50_126:                             ;   in Loop: Header=BB50_3 Depth=1
	s_or_b64 exec, exec, s[0:1]
	s_waitcnt lgkmcnt(0)
	;; [unrolled: 17-line block ×3, first 2 shown]
	s_barrier
	s_and_saveexec_b64 s[0:1], s[12:13]
	s_cbranch_execz .LBB50_130
; %bb.129:                              ;   in Loop: Header=BB50_3 Depth=1
	ds_read2_b64 v[1:4], v40 offset1:32
	s_waitcnt lgkmcnt(0)
	v_cmp_lt_f64_e32 vcc, v[1:2], v[3:4]
	v_cndmask_b32_e32 v2, v2, v4, vcc
	v_cndmask_b32_e32 v1, v1, v3, vcc
	ds_write_b64 v40, v[1:2]
.LBB50_130:                             ;   in Loop: Header=BB50_3 Depth=1
	s_or_b64 exec, exec, s[0:1]
	s_waitcnt lgkmcnt(0)
	s_barrier
	s_and_saveexec_b64 s[0:1], s[14:15]
	s_cbranch_execz .LBB50_132
; %bb.131:                              ;   in Loop: Header=BB50_3 Depth=1
	ds_read2_b64 v[1:4], v40 offset1:16
	s_waitcnt lgkmcnt(0)
	v_cmp_lt_f64_e32 vcc, v[1:2], v[3:4]
	v_cndmask_b32_e32 v2, v2, v4, vcc
	v_cndmask_b32_e32 v1, v1, v3, vcc
	ds_write_b64 v40, v[1:2]
.LBB50_132:                             ;   in Loop: Header=BB50_3 Depth=1
	s_or_b64 exec, exec, s[0:1]
	s_waitcnt lgkmcnt(0)
	;; [unrolled: 13-line block ×5, first 2 shown]
	s_barrier
	s_and_saveexec_b64 s[0:1], s[22:23]
	s_cbranch_execz .LBB50_140
; %bb.139:                              ;   in Loop: Header=BB50_3 Depth=1
	ds_read_b128 v[1:4], v18
	s_waitcnt lgkmcnt(0)
	v_cmp_lt_f64_e32 vcc, v[1:2], v[3:4]
	v_cndmask_b32_e32 v2, v2, v4, vcc
	v_cndmask_b32_e32 v1, v1, v3, vcc
	ds_write_b64 v18, v[1:2]
.LBB50_140:                             ;   in Loop: Header=BB50_3 Depth=1
	s_or_b64 exec, exec, s[0:1]
	v_readlane_b32 s0, v61, 10
	v_readlane_b32 s1, v61, 11
	s_waitcnt lgkmcnt(0)
	s_barrier
	ds_read_b64 v[1:2], v18
	s_load_dwordx2 s[0:1], s[0:1], 0x0
	s_waitcnt lgkmcnt(0)
	v_div_scale_f64 v[3:4], s[4:5], s[0:1], s[0:1], v[1:2]
	v_div_scale_f64 v[9:10], vcc, v[1:2], s[0:1], v[1:2]
	v_rcp_f64_e32 v[5:6], v[3:4]
	v_fma_f64 v[7:8], -v[3:4], v[5:6], 1.0
	v_fma_f64 v[5:6], v[5:6], v[7:8], v[5:6]
	v_fma_f64 v[7:8], -v[3:4], v[5:6], 1.0
	v_fma_f64 v[5:6], v[5:6], v[7:8], v[5:6]
	v_mul_f64 v[7:8], v[9:10], v[5:6]
	v_fma_f64 v[3:4], -v[3:4], v[7:8], v[9:10]
	v_div_fmas_f64 v[3:4], v[3:4], v[5:6], v[7:8]
	v_div_fixup_f64 v[15:16], v[3:4], s[0:1], v[1:2]
.LBB50_141:                             ;   in Loop: Header=BB50_3 Depth=1
	s_andn2_b64 vcc, exec, s[34:35]
	s_cbranch_vccnz .LBB50_163
; %bb.142:                              ;   in Loop: Header=BB50_3 Depth=1
	v_mov_b32_dpp v1, v13 row_shr:1 row_mask:0xf bank_mask:0xf
	v_mov_b32_dpp v3, v14 row_shr:1 row_mask:0xf bank_mask:0xf
	s_mov_b64 s[0:1], exec
	v_readlane_b32 s4, v61, 16
	v_readlane_b32 s5, v61, 17
	s_and_b64 s[4:5], s[0:1], s[4:5]
	s_mov_b64 exec, s[4:5]
	s_cbranch_execz .LBB50_144
; %bb.143:                              ;   in Loop: Header=BB50_3 Depth=1
	v_mov_b32_e32 v2, v3
	v_cmp_lt_f64_e32 vcc, v[13:14], v[1:2]
	v_cndmask_b32_e32 v2, v14, v3, vcc
	v_cndmask_b32_e32 v1, v13, v1, vcc
	ds_write_b64 v42, v[1:2]
.LBB50_144:                             ;   in Loop: Header=BB50_3 Depth=1
	s_or_b64 exec, exec, s[0:1]
	s_waitcnt vmcnt(0) lgkmcnt(0)
	s_barrier
	s_mov_b64 s[0:1], exec
	v_readlane_b32 s4, v61, 18
	v_readlane_b32 s5, v61, 19
	s_and_b64 s[4:5], s[0:1], s[4:5]
	s_mov_b64 exec, s[4:5]
	s_cbranch_execz .LBB50_146
; %bb.145:                              ;   in Loop: Header=BB50_3 Depth=1
	ds_read2st64_b64 v[1:4], v40 offset1:4
	s_waitcnt lgkmcnt(0)
	v_cmp_lt_f64_e32 vcc, v[1:2], v[3:4]
	v_cndmask_b32_e32 v2, v2, v4, vcc
	v_cndmask_b32_e32 v1, v1, v3, vcc
	ds_write_b64 v40, v[1:2]
.LBB50_146:                             ;   in Loop: Header=BB50_3 Depth=1
	s_or_b64 exec, exec, s[0:1]
	s_waitcnt lgkmcnt(0)
	s_barrier
	s_mov_b64 s[0:1], exec
	v_readlane_b32 s4, v61, 20
	v_readlane_b32 s5, v61, 21
	s_and_b64 s[4:5], s[0:1], s[4:5]
	s_mov_b64 exec, s[4:5]
	s_cbranch_execz .LBB50_148
; %bb.147:                              ;   in Loop: Header=BB50_3 Depth=1
	ds_read2st64_b64 v[1:4], v40 offset1:2
	s_waitcnt lgkmcnt(0)
	v_cmp_lt_f64_e32 vcc, v[1:2], v[3:4]
	v_cndmask_b32_e32 v2, v2, v4, vcc
	v_cndmask_b32_e32 v1, v1, v3, vcc
	ds_write_b64 v40, v[1:2]
.LBB50_148:                             ;   in Loop: Header=BB50_3 Depth=1
	s_or_b64 exec, exec, s[0:1]
	s_waitcnt lgkmcnt(0)
	;; [unrolled: 17-line block ×3, first 2 shown]
	s_barrier
	s_and_saveexec_b64 s[0:1], s[12:13]
	s_cbranch_execz .LBB50_152
; %bb.151:                              ;   in Loop: Header=BB50_3 Depth=1
	ds_read2_b64 v[1:4], v40 offset1:32
	s_waitcnt lgkmcnt(0)
	v_cmp_lt_f64_e32 vcc, v[1:2], v[3:4]
	v_cndmask_b32_e32 v2, v2, v4, vcc
	v_cndmask_b32_e32 v1, v1, v3, vcc
	ds_write_b64 v40, v[1:2]
.LBB50_152:                             ;   in Loop: Header=BB50_3 Depth=1
	s_or_b64 exec, exec, s[0:1]
	s_waitcnt lgkmcnt(0)
	s_barrier
	s_and_saveexec_b64 s[0:1], s[14:15]
	s_cbranch_execz .LBB50_154
; %bb.153:                              ;   in Loop: Header=BB50_3 Depth=1
	ds_read2_b64 v[1:4], v40 offset1:16
	s_waitcnt lgkmcnt(0)
	v_cmp_lt_f64_e32 vcc, v[1:2], v[3:4]
	v_cndmask_b32_e32 v2, v2, v4, vcc
	v_cndmask_b32_e32 v1, v1, v3, vcc
	ds_write_b64 v40, v[1:2]
.LBB50_154:                             ;   in Loop: Header=BB50_3 Depth=1
	s_or_b64 exec, exec, s[0:1]
	s_waitcnt lgkmcnt(0)
	s_barrier
	s_and_saveexec_b64 s[0:1], s[16:17]
	s_cbranch_execz .LBB50_156
; %bb.155:                              ;   in Loop: Header=BB50_3 Depth=1
	ds_read2_b64 v[1:4], v40 offset1:8
	s_waitcnt lgkmcnt(0)
	v_cmp_lt_f64_e32 vcc, v[1:2], v[3:4]
	v_cndmask_b32_e32 v2, v2, v4, vcc
	v_cndmask_b32_e32 v1, v1, v3, vcc
	ds_write_b64 v40, v[1:2]
.LBB50_156:                             ;   in Loop: Header=BB50_3 Depth=1
	s_or_b64 exec, exec, s[0:1]
	s_waitcnt lgkmcnt(0)
	s_barrier
	s_and_saveexec_b64 s[0:1], s[18:19]
	s_cbranch_execz .LBB50_158
; %bb.157:                              ;   in Loop: Header=BB50_3 Depth=1
	ds_read2_b64 v[1:4], v40 offset1:4
	s_waitcnt lgkmcnt(0)
	v_cmp_lt_f64_e32 vcc, v[1:2], v[3:4]
	v_cndmask_b32_e32 v2, v2, v4, vcc
	v_cndmask_b32_e32 v1, v1, v3, vcc
	ds_write_b64 v40, v[1:2]
.LBB50_158:                             ;   in Loop: Header=BB50_3 Depth=1
	s_or_b64 exec, exec, s[0:1]
	s_waitcnt lgkmcnt(0)
	s_barrier
	s_and_saveexec_b64 s[0:1], s[20:21]
	s_cbranch_execz .LBB50_160
; %bb.159:                              ;   in Loop: Header=BB50_3 Depth=1
	ds_read2_b64 v[1:4], v40 offset1:2
	s_waitcnt lgkmcnt(0)
	v_cmp_lt_f64_e32 vcc, v[1:2], v[3:4]
	v_cndmask_b32_e32 v2, v2, v4, vcc
	v_cndmask_b32_e32 v1, v1, v3, vcc
	ds_write_b64 v40, v[1:2]
.LBB50_160:                             ;   in Loop: Header=BB50_3 Depth=1
	s_or_b64 exec, exec, s[0:1]
	s_waitcnt lgkmcnt(0)
	s_barrier
	s_and_saveexec_b64 s[0:1], s[22:23]
	s_cbranch_execz .LBB50_162
; %bb.161:                              ;   in Loop: Header=BB50_3 Depth=1
	ds_read_b128 v[1:4], v18
	s_waitcnt lgkmcnt(0)
	v_cmp_lt_f64_e32 vcc, v[1:2], v[3:4]
	v_cndmask_b32_e32 v2, v2, v4, vcc
	v_cndmask_b32_e32 v1, v1, v3, vcc
	ds_write_b64 v18, v[1:2]
.LBB50_162:                             ;   in Loop: Header=BB50_3 Depth=1
	s_or_b64 exec, exec, s[0:1]
	v_readlane_b32 s0, v61, 10
	v_readlane_b32 s1, v61, 11
	s_waitcnt lgkmcnt(0)
	s_barrier
	ds_read_b64 v[1:2], v18
	s_load_dwordx2 s[0:1], s[0:1], 0x0
	s_waitcnt lgkmcnt(0)
	v_div_scale_f64 v[3:4], s[4:5], s[0:1], s[0:1], v[1:2]
	v_div_scale_f64 v[9:10], vcc, v[1:2], s[0:1], v[1:2]
	v_rcp_f64_e32 v[5:6], v[3:4]
	v_fma_f64 v[7:8], -v[3:4], v[5:6], 1.0
	v_fma_f64 v[5:6], v[5:6], v[7:8], v[5:6]
	v_fma_f64 v[7:8], -v[3:4], v[5:6], 1.0
	v_fma_f64 v[5:6], v[5:6], v[7:8], v[5:6]
	v_mul_f64 v[7:8], v[9:10], v[5:6]
	v_fma_f64 v[3:4], -v[3:4], v[7:8], v[9:10]
	v_div_fmas_f64 v[3:4], v[3:4], v[5:6], v[7:8]
	v_div_fixup_f64 v[13:14], v[3:4], s[0:1], v[1:2]
.LBB50_163:                             ;   in Loop: Header=BB50_3 Depth=1
	s_mov_b64 s[24:25], exec
	v_readlane_b32 s0, v61, 14
	v_readlane_b32 s1, v61, 15
	s_and_b64 s[0:1], s[24:25], s[0:1]
	s_mov_b64 exec, s[0:1]
	s_cbranch_execz .LBB50_175
; %bb.164:                              ;   in Loop: Header=BB50_3 Depth=1
	s_mov_b64 s[26:27], 0
	v_mov_b32_e32 v1, v39
	s_branch .LBB50_166
.LBB50_165:                             ;   in Loop: Header=BB50_166 Depth=2
	s_or_b64 exec, exec, s[28:29]
	v_add_u32_e32 v1, 0x200, v1
	v_cmp_le_u32_e32 vcc, s9, v1
	s_or_b64 s[26:27], vcc, s[26:27]
	s_andn2_b64 exec, exec, s[26:27]
	s_cbranch_execz .LBB50_175
.LBB50_166:                             ;   Parent Loop BB50_3 Depth=1
                                        ; =>  This Loop Header: Depth=2
                                        ;       Child Loop BB50_169 Depth 3
                                        ;       Child Loop BB50_172 Depth 3
	v_cmp_gt_i32_e32 vcc, s33, v1
	s_and_saveexec_b64 s[28:29], vcc
	s_cbranch_execz .LBB50_165
; %bb.167:                              ;   in Loop: Header=BB50_166 Depth=2
	v_ashrrev_i32_e32 v2, 31, v1
	v_lshlrev_b64 v[3:4], 2, v[1:2]
	v_mov_b32_e32 v6, s45
	v_add_co_u32_e32 v5, vcc, s44, v3
	v_addc_co_u32_e32 v6, vcc, v6, v4, vcc
	global_load_dword v7, v[5:6], off
	v_mov_b32_e32 v6, s47
	v_add_co_u32_e32 v5, vcc, s46, v3
	v_addc_co_u32_e32 v6, vcc, v6, v4, vcc
	global_load_dword v6, v[5:6], off
	s_waitcnt vmcnt(1)
	v_add_u32_e32 v5, v43, v7
	s_waitcnt vmcnt(0)
	v_subrev_u32_e32 v10, s7, v6
	v_cmp_lt_i32_e32 vcc, v5, v10
	s_and_saveexec_b64 s[0:1], vcc
	s_cbranch_execz .LBB50_170
; %bb.168:                              ;   in Loop: Header=BB50_166 Depth=2
	v_ashrrev_i32_e32 v6, 31, v5
	v_lshlrev_b64 v[8:9], 4, v[5:6]
	v_mov_b32_e32 v7, s51
	v_add_co_u32_e32 v6, vcc, s50, v8
	v_addc_co_u32_e32 v7, vcc, v7, v9, vcc
	v_mov_b32_e32 v11, s81
	v_add_co_u32_e32 v8, vcc, s80, v8
	v_addc_co_u32_e32 v9, vcc, v11, v9, vcc
	s_mov_b64 s[30:31], 0
.LBB50_169:                             ;   Parent Loop BB50_3 Depth=1
                                        ;     Parent Loop BB50_166 Depth=2
                                        ; =>    This Inner Loop Header: Depth=3
	global_load_dwordx4 v[19:22], v[8:9], off
	v_add_co_u32_e32 v8, vcc, 32, v8
	v_add_u32_e32 v5, 2, v5
	v_addc_co_u32_e32 v9, vcc, 0, v9, vcc
	v_cmp_ge_i32_e32 vcc, v5, v10
	s_or_b64 s[30:31], vcc, s[30:31]
	s_waitcnt vmcnt(0)
	global_store_dwordx4 v[6:7], v[19:22], off
	v_add_co_u32_e32 v6, vcc, 32, v6
	v_addc_co_u32_e32 v7, vcc, 0, v7, vcc
	s_andn2_b64 exec, exec, s[30:31]
	s_cbranch_execnz .LBB50_169
.LBB50_170:                             ;   in Loop: Header=BB50_166 Depth=2
	s_or_b64 exec, exec, s[0:1]
	v_mov_b32_e32 v6, s37
	v_add_co_u32_e32 v5, vcc, s36, v3
	v_addc_co_u32_e32 v6, vcc, v6, v4, vcc
	global_load_dword v5, v[5:6], off
	v_mov_b32_e32 v6, s39
	v_add_co_u32_e32 v3, vcc, s38, v3
	v_addc_co_u32_e32 v4, vcc, v6, v4, vcc
	global_load_dword v4, v[3:4], off
	s_waitcnt vmcnt(1)
	v_add_u32_e32 v3, v44, v5
	s_waitcnt vmcnt(0)
	v_subrev_u32_e32 v8, s8, v4
	v_cmp_lt_i32_e32 vcc, v3, v8
	s_and_saveexec_b64 s[0:1], vcc
	s_cbranch_execz .LBB50_173
; %bb.171:                              ;   in Loop: Header=BB50_166 Depth=2
	v_ashrrev_i32_e32 v4, 31, v3
	v_lshlrev_b64 v[6:7], 4, v[3:4]
	v_mov_b32_e32 v5, s43
	v_add_co_u32_e32 v4, vcc, s42, v6
	v_addc_co_u32_e32 v5, vcc, v5, v7, vcc
	v_mov_b32_e32 v9, s83
	v_add_co_u32_e32 v6, vcc, s82, v6
	v_addc_co_u32_e32 v7, vcc, v9, v7, vcc
	s_mov_b64 s[30:31], 0
.LBB50_172:                             ;   Parent Loop BB50_3 Depth=1
                                        ;     Parent Loop BB50_166 Depth=2
                                        ; =>    This Inner Loop Header: Depth=3
	global_load_dwordx4 v[9:12], v[6:7], off
	v_add_co_u32_e32 v6, vcc, 32, v6
	v_add_u32_e32 v3, 2, v3
	v_addc_co_u32_e32 v7, vcc, 0, v7, vcc
	v_cmp_ge_i32_e32 vcc, v3, v8
	s_or_b64 s[30:31], vcc, s[30:31]
	s_waitcnt vmcnt(0)
	global_store_dwordx4 v[4:5], v[9:12], off
	v_add_co_u32_e32 v4, vcc, 32, v4
	v_addc_co_u32_e32 v5, vcc, 0, v5, vcc
	s_andn2_b64 exec, exec, s[30:31]
	s_cbranch_execnz .LBB50_172
.LBB50_173:                             ;   in Loop: Header=BB50_166 Depth=2
	s_or_b64 exec, exec, s[0:1]
	s_and_b64 exec, exec, s[2:3]
	s_cbranch_execz .LBB50_165
; %bb.174:                              ;   in Loop: Header=BB50_166 Depth=2
	v_lshlrev_b64 v[6:7], 4, v[1:2]
	v_mov_b32_e32 v3, s67
	v_add_co_u32_e32 v2, vcc, s66, v6
	v_addc_co_u32_e32 v3, vcc, v3, v7, vcc
	global_load_dwordx4 v[2:5], v[2:3], off
	v_mov_b32_e32 v8, s65
	v_add_co_u32_e32 v6, vcc, s64, v6
	v_addc_co_u32_e32 v7, vcc, v8, v7, vcc
	s_waitcnt vmcnt(0)
	global_store_dwordx4 v[6:7], v[2:5], off
	s_branch .LBB50_165
.LBB50_175:                             ;   in Loop: Header=BB50_3 Depth=1
	s_or_b64 exec, exec, s[24:25]
	s_mov_b64 s[26:27], -1
	s_and_b64 vcc, exec, s[70:71]
	s_mov_b64 s[4:5], -1
	s_cbranch_vccz .LBB50_185
; %bb.176:                              ;   in Loop: Header=BB50_3 Depth=1
	v_readlane_b32 s0, v61, 24
	v_readlane_b32 s1, v61, 25
	s_and_b64 vcc, exec, s[0:1]
                                        ; implicit-def: $sgpr0_sgpr1
	s_cbranch_vccz .LBB50_182
; %bb.177:                              ;   in Loop: Header=BB50_3 Depth=1
	v_readlane_b32 s0, v61, 12
	v_readlane_b32 s1, v61, 13
	s_and_b64 vcc, exec, s[0:1]
                                        ; implicit-def: $sgpr0_sgpr1
	s_cbranch_vccz .LBB50_179
; %bb.178:                              ;   in Loop: Header=BB50_3 Depth=1
	v_readlane_b32 s28, v61, 0
	v_readlane_b32 s30, v61, 2
	;; [unrolled: 1-line block ×4, first 2 shown]
	v_cmp_ge_f64_e64 s[0:1], s[30:31], v[13:14]
	s_mov_b64 s[4:5], 0
.LBB50_179:                             ;   in Loop: Header=BB50_3 Depth=1
	s_andn2_b64 vcc, exec, s[4:5]
	s_cbranch_vccnz .LBB50_181
; %bb.180:                              ;   in Loop: Header=BB50_3 Depth=1
	v_readlane_b32 s28, v61, 0
	v_readlane_b32 s30, v61, 2
	;; [unrolled: 1-line block ×3, first 2 shown]
	v_cmp_ge_f64_e32 vcc, s[30:31], v[15:16]
	s_andn2_b64 s[0:1], s[0:1], exec
	v_readlane_b32 s29, v61, 1
	s_and_b64 s[4:5], vcc, exec
	s_or_b64 s[0:1], s[0:1], s[4:5]
.LBB50_181:                             ;   in Loop: Header=BB50_3 Depth=1
	s_mov_b64 s[4:5], 0
.LBB50_182:                             ;   in Loop: Header=BB50_3 Depth=1
	s_andn2_b64 vcc, exec, s[4:5]
	s_cbranch_vccnz .LBB50_184
; %bb.183:                              ;   in Loop: Header=BB50_3 Depth=1
	v_readlane_b32 s28, v61, 0
	v_readlane_b32 s30, v61, 2
	;; [unrolled: 1-line block ×3, first 2 shown]
	v_cmp_ge_f64_e32 vcc, s[30:31], v[15:16]
	v_cmp_ge_f64_e64 s[24:25], s[30:31], v[13:14]
	s_andn2_b64 s[0:1], s[0:1], exec
	v_readlane_b32 s29, v61, 1
	s_and_b64 s[4:5], vcc, s[24:25]
	s_and_b64 s[4:5], s[4:5], exec
	s_or_b64 s[0:1], s[0:1], s[4:5]
.LBB50_184:                             ;   in Loop: Header=BB50_3 Depth=1
	s_xor_b64 s[4:5], s[0:1], -1
.LBB50_185:                             ;   in Loop: Header=BB50_3 Depth=1
	v_mov_b32_e32 v1, s72
	s_and_saveexec_b64 s[0:1], s[4:5]
	s_cbranch_execz .LBB50_2
; %bb.186:                              ;   in Loop: Header=BB50_3 Depth=1
	s_add_i32 s72, s72, 1
	s_cmp_eq_u32 s72, s73
	s_cselect_b64 s[4:5], -1, 0
	v_mov_b32_e32 v1, s73
	s_orn2_b64 s[26:27], s[4:5], exec
	s_branch .LBB50_2
.LBB50_187:
	s_or_b64 exec, exec, s[86:87]
	v_readlane_b32 s12, v61, 6
	v_readlane_b32 s13, v61, 7
	;; [unrolled: 1-line block ×4, first 2 shown]
.LBB50_188:
	v_readlane_b32 s0, v61, 4
	v_readlane_b32 s1, v61, 5
	s_or_b64 exec, exec, s[0:1]
	s_andn2_b64 vcc, exec, s[70:71]
	s_cbranch_vccnz .LBB50_213
; %bb.189:
	v_mov_b32_dpp v2, v1 row_shr:1 row_mask:0xf bank_mask:0xf
	v_cmp_ne_u32_e32 vcc, 0, v38
	s_and_saveexec_b64 s[0:1], vcc
; %bb.190:
	v_lshlrev_b32_e32 v3, 2, v37
	v_max_i32_e32 v1, v1, v2
	ds_write_b32 v3, v1 offset:4096
; %bb.191:
	s_or_b64 exec, exec, s[0:1]
	s_movk_i32 s0, 0x100
	v_cmp_gt_u32_e32 vcc, s0, v0
	v_lshlrev_b32_e32 v1, 2, v0
	s_waitcnt vmcnt(0) lgkmcnt(0)
	s_barrier
	s_and_saveexec_b64 s[0:1], vcc
	s_cbranch_execz .LBB50_193
; %bb.192:
	ds_read2st64_b32 v[2:3], v1 offset0:16 offset1:20
	s_waitcnt lgkmcnt(0)
	v_max_i32_e32 v2, v2, v3
	ds_write_b32 v1, v2 offset:4096
.LBB50_193:
	s_or_b64 exec, exec, s[0:1]
	s_movk_i32 s0, 0x80
	v_cmp_gt_u32_e32 vcc, s0, v0
	s_waitcnt lgkmcnt(0)
	s_barrier
	s_and_saveexec_b64 s[0:1], vcc
	s_cbranch_execz .LBB50_195
; %bb.194:
	ds_read2st64_b32 v[2:3], v1 offset0:16 offset1:18
	s_waitcnt lgkmcnt(0)
	v_max_i32_e32 v2, v2, v3
	ds_write_b32 v1, v2 offset:4096
.LBB50_195:
	s_or_b64 exec, exec, s[0:1]
	v_cmp_gt_u32_e32 vcc, 64, v0
	s_waitcnt lgkmcnt(0)
	s_barrier
	s_and_saveexec_b64 s[0:1], vcc
	s_cbranch_execz .LBB50_197
; %bb.196:
	ds_read2st64_b32 v[2:3], v1 offset0:16 offset1:17
	s_waitcnt lgkmcnt(0)
	v_max_i32_e32 v2, v2, v3
	ds_write_b32 v1, v2 offset:4096
.LBB50_197:
	s_or_b64 exec, exec, s[0:1]
	v_cmp_gt_u32_e32 vcc, 32, v0
	s_waitcnt lgkmcnt(0)
	s_barrier
	s_and_saveexec_b64 s[0:1], vcc
	s_cbranch_execz .LBB50_199
; %bb.198:
	v_add_u32_e32 v2, 0x1000, v1
	ds_read2_b32 v[2:3], v2 offset1:32
	s_waitcnt lgkmcnt(0)
	v_max_i32_e32 v2, v2, v3
	ds_write_b32 v1, v2 offset:4096
.LBB50_199:
	s_or_b64 exec, exec, s[0:1]
	v_cmp_gt_u32_e32 vcc, 16, v0
	s_waitcnt lgkmcnt(0)
	s_barrier
	s_and_saveexec_b64 s[0:1], vcc
	s_cbranch_execz .LBB50_201
; %bb.200:
	v_add_u32_e32 v2, 0x1000, v1
	ds_read2_b32 v[2:3], v2 offset1:16
	s_waitcnt lgkmcnt(0)
	v_max_i32_e32 v2, v2, v3
	ds_write_b32 v1, v2 offset:4096
.LBB50_201:
	;; [unrolled: 13-line block ×5, first 2 shown]
	s_or_b64 exec, exec, s[0:1]
	v_cmp_eq_u32_e32 vcc, 0, v0
	s_waitcnt lgkmcnt(0)
	s_barrier
	s_and_saveexec_b64 s[0:1], vcc
	s_cbranch_execz .LBB50_209
; %bb.208:
	v_mov_b32_e32 v3, 0
	ds_read_b64 v[1:2], v3 offset:4096
	s_waitcnt lgkmcnt(0)
	v_max_i32_e32 v1, v1, v2
	ds_write_b32 v3, v1 offset:4096
.LBB50_209:
	s_or_b64 exec, exec, s[0:1]
	s_waitcnt lgkmcnt(0)
	s_barrier
	s_and_saveexec_b64 s[0:1], vcc
	s_cbranch_execz .LBB50_212
; %bb.210:
	v_mbcnt_lo_u32_b32 v1, exec_lo, 0
	v_mbcnt_hi_u32_b32 v1, exec_hi, v1
	v_cmp_eq_u32_e32 vcc, 0, v1
	s_and_b64 exec, exec, vcc
	s_cbranch_execz .LBB50_212
; %bb.211:
	v_mov_b32_e32 v1, 0
	ds_read_b32 v2, v1 offset:4096
	v_readlane_b32 s4, v61, 0
	v_readlane_b32 s5, v61, 1
	;; [unrolled: 1-line block ×4, first 2 shown]
	s_waitcnt lgkmcnt(0)
	v_add_u32_e32 v2, 1, v2
	s_nop 0
	global_atomic_smax v1, v2, s[4:5]
.LBB50_212:
	s_or_b64 exec, exec, s[0:1]
.LBB50_213:
	v_cmp_eq_u32_e32 vcc, 0, v0
	s_and_b64 s[0:1], vcc, s[68:69]
	s_and_saveexec_b64 s[2:3], s[0:1]
	s_cbranch_execz .LBB50_220
; %bb.214:
	v_mov_b32_e32 v0, 0
	s_mov_b64 s[0:1], exec
	v_mov_b32_e32 v1, 0x7ff80000
.LBB50_215:                             ; =>This Inner Loop Header: Depth=1
	s_ff1_i32_b64 s6, s[0:1]
	v_readlane_b32 s5, v16, s6
	v_readlane_b32 s4, v15, s6
	v_max_f64 v[0:1], v[0:1], v[0:1]
	v_max_f64 v[2:3], s[4:5], s[4:5]
	s_lshl_b64 s[4:5], 1, s6
	s_andn2_b64 s[0:1], s[0:1], s[4:5]
	s_cmp_lg_u64 s[0:1], 0
	v_max_f64 v[0:1], v[0:1], v[2:3]
	s_cbranch_scc1 .LBB50_215
; %bb.216:
	v_mbcnt_lo_u32_b32 v2, exec_lo, 0
	v_mbcnt_hi_u32_b32 v2, exec_hi, v2
	v_cmp_eq_u32_e64 s[0:1], 0, v2
	s_and_saveexec_b64 s[4:5], s[0:1]
	s_xor_b64 s[4:5], exec, s[4:5]
	s_cbranch_execz .LBB50_220
; %bb.217:
	v_mov_b32_e32 v6, 0
	global_load_dwordx2 v[2:3], v6, s[12:13]
	v_max_f64 v[4:5], v[0:1], v[0:1]
	s_mov_b64 s[4:5], 0
.LBB50_218:                             ; =>This Inner Loop Header: Depth=1
	s_waitcnt vmcnt(0)
	v_max_f64 v[0:1], v[2:3], v[2:3]
	v_max_f64 v[0:1], v[0:1], v[4:5]
	global_atomic_cmpswap_x2 v[0:1], v6, v[0:3], s[12:13] glc
	s_waitcnt vmcnt(0)
	v_cmp_eq_u64_e64 s[0:1], v[0:1], v[2:3]
	v_mov_b32_e32 v3, v1
	s_or_b64 s[4:5], s[0:1], s[4:5]
	v_mov_b32_e32 v2, v0
	s_andn2_b64 exec, exec, s[4:5]
	s_cbranch_execnz .LBB50_218
; %bb.219:
	s_or_b64 exec, exec, s[4:5]
.LBB50_220:
	s_or_b64 exec, exec, s[2:3]
	s_and_b64 s[0:1], vcc, s[34:35]
	s_and_saveexec_b64 s[2:3], s[0:1]
	s_cbranch_execz .LBB50_226
; %bb.221:
	v_mov_b32_e32 v0, 0
	s_mov_b64 s[0:1], exec
	v_mov_b32_e32 v1, 0x7ff80000
.LBB50_222:                             ; =>This Inner Loop Header: Depth=1
	s_ff1_i32_b64 s4, s[0:1]
	v_readlane_b32 s3, v14, s4
	v_readlane_b32 s2, v13, s4
	v_max_f64 v[0:1], v[0:1], v[0:1]
	v_max_f64 v[2:3], s[2:3], s[2:3]
	s_lshl_b64 s[2:3], 1, s4
	s_andn2_b64 s[0:1], s[0:1], s[2:3]
	s_cmp_lg_u64 s[0:1], 0
	v_max_f64 v[0:1], v[0:1], v[2:3]
	s_cbranch_scc1 .LBB50_222
; %bb.223:
	v_mbcnt_lo_u32_b32 v2, exec_lo, 0
	v_mbcnt_hi_u32_b32 v2, exec_hi, v2
	v_cmp_eq_u32_e32 vcc, 0, v2
	s_and_saveexec_b64 s[0:1], vcc
	s_xor_b64 s[0:1], exec, s[0:1]
	s_cbranch_execz .LBB50_226
; %bb.224:
	v_mov_b32_e32 v6, 0
	global_load_dwordx2 v[2:3], v6, s[14:15]
	v_max_f64 v[4:5], v[0:1], v[0:1]
	s_mov_b64 s[0:1], 0
.LBB50_225:                             ; =>This Inner Loop Header: Depth=1
	s_waitcnt vmcnt(0)
	v_max_f64 v[0:1], v[2:3], v[2:3]
	v_max_f64 v[0:1], v[0:1], v[4:5]
	global_atomic_cmpswap_x2 v[0:1], v6, v[0:3], s[14:15] glc
	s_waitcnt vmcnt(0)
	v_cmp_eq_u64_e32 vcc, v[0:1], v[2:3]
	v_mov_b32_e32 v3, v1
	s_or_b64 s[0:1], vcc, s[0:1]
	v_mov_b32_e32 v2, v0
	s_andn2_b64 exec, exec, s[0:1]
	s_cbranch_execnz .LBB50_225
.LBB50_226:
	s_endpgm
	.section	.rodata,"a",@progbits
	.p2align	6, 0x0
	.amdhsa_kernel _ZN9rocsparseL6kernelILi1024ELi2E21rocsparse_complex_numIdEiiEEvbbbT3_PS3_NS_15floating_traitsIT1_E6data_tES3_T2_PKS9_SB_PKS3_PKS6_21rocsparse_index_base_SB_SB_SD_PS6_SH_SG_SB_SB_SD_SH_SH_SG_SH_SH_PS8_SI_PKS8_
		.amdhsa_group_segment_fixed_size 6144
		.amdhsa_private_segment_fixed_size 0
		.amdhsa_kernarg_size 208
		.amdhsa_user_sgpr_count 6
		.amdhsa_user_sgpr_private_segment_buffer 1
		.amdhsa_user_sgpr_dispatch_ptr 0
		.amdhsa_user_sgpr_queue_ptr 0
		.amdhsa_user_sgpr_kernarg_segment_ptr 1
		.amdhsa_user_sgpr_dispatch_id 0
		.amdhsa_user_sgpr_flat_scratch_init 0
		.amdhsa_user_sgpr_private_segment_size 0
		.amdhsa_uses_dynamic_stack 0
		.amdhsa_system_sgpr_private_segment_wavefront_offset 0
		.amdhsa_system_sgpr_workgroup_id_x 1
		.amdhsa_system_sgpr_workgroup_id_y 0
		.amdhsa_system_sgpr_workgroup_id_z 0
		.amdhsa_system_sgpr_workgroup_info 0
		.amdhsa_system_vgpr_workitem_id 0
		.amdhsa_next_free_vgpr 62
		.amdhsa_next_free_sgpr 96
		.amdhsa_reserve_vcc 1
		.amdhsa_reserve_flat_scratch 0
		.amdhsa_float_round_mode_32 0
		.amdhsa_float_round_mode_16_64 0
		.amdhsa_float_denorm_mode_32 3
		.amdhsa_float_denorm_mode_16_64 3
		.amdhsa_dx10_clamp 1
		.amdhsa_ieee_mode 1
		.amdhsa_fp16_overflow 0
		.amdhsa_exception_fp_ieee_invalid_op 0
		.amdhsa_exception_fp_denorm_src 0
		.amdhsa_exception_fp_ieee_div_zero 0
		.amdhsa_exception_fp_ieee_overflow 0
		.amdhsa_exception_fp_ieee_underflow 0
		.amdhsa_exception_fp_ieee_inexact 0
		.amdhsa_exception_int_div_zero 0
	.end_amdhsa_kernel
	.section	.text._ZN9rocsparseL6kernelILi1024ELi2E21rocsparse_complex_numIdEiiEEvbbbT3_PS3_NS_15floating_traitsIT1_E6data_tES3_T2_PKS9_SB_PKS3_PKS6_21rocsparse_index_base_SB_SB_SD_PS6_SH_SG_SB_SB_SD_SH_SH_SG_SH_SH_PS8_SI_PKS8_,"axG",@progbits,_ZN9rocsparseL6kernelILi1024ELi2E21rocsparse_complex_numIdEiiEEvbbbT3_PS3_NS_15floating_traitsIT1_E6data_tES3_T2_PKS9_SB_PKS3_PKS6_21rocsparse_index_base_SB_SB_SD_PS6_SH_SG_SB_SB_SD_SH_SH_SG_SH_SH_PS8_SI_PKS8_,comdat
.Lfunc_end50:
	.size	_ZN9rocsparseL6kernelILi1024ELi2E21rocsparse_complex_numIdEiiEEvbbbT3_PS3_NS_15floating_traitsIT1_E6data_tES3_T2_PKS9_SB_PKS3_PKS6_21rocsparse_index_base_SB_SB_SD_PS6_SH_SG_SB_SB_SD_SH_SH_SG_SH_SH_PS8_SI_PKS8_, .Lfunc_end50-_ZN9rocsparseL6kernelILi1024ELi2E21rocsparse_complex_numIdEiiEEvbbbT3_PS3_NS_15floating_traitsIT1_E6data_tES3_T2_PKS9_SB_PKS3_PKS6_21rocsparse_index_base_SB_SB_SD_PS6_SH_SG_SB_SB_SD_SH_SH_SG_SH_SH_PS8_SI_PKS8_
                                        ; -- End function
	.set _ZN9rocsparseL6kernelILi1024ELi2E21rocsparse_complex_numIdEiiEEvbbbT3_PS3_NS_15floating_traitsIT1_E6data_tES3_T2_PKS9_SB_PKS3_PKS6_21rocsparse_index_base_SB_SB_SD_PS6_SH_SG_SB_SB_SD_SH_SH_SG_SH_SH_PS8_SI_PKS8_.num_vgpr, 62
	.set _ZN9rocsparseL6kernelILi1024ELi2E21rocsparse_complex_numIdEiiEEvbbbT3_PS3_NS_15floating_traitsIT1_E6data_tES3_T2_PKS9_SB_PKS3_PKS6_21rocsparse_index_base_SB_SB_SD_PS6_SH_SG_SB_SB_SD_SH_SH_SG_SH_SH_PS8_SI_PKS8_.num_agpr, 0
	.set _ZN9rocsparseL6kernelILi1024ELi2E21rocsparse_complex_numIdEiiEEvbbbT3_PS3_NS_15floating_traitsIT1_E6data_tES3_T2_PKS9_SB_PKS3_PKS6_21rocsparse_index_base_SB_SB_SD_PS6_SH_SG_SB_SB_SD_SH_SH_SG_SH_SH_PS8_SI_PKS8_.numbered_sgpr, 96
	.set _ZN9rocsparseL6kernelILi1024ELi2E21rocsparse_complex_numIdEiiEEvbbbT3_PS3_NS_15floating_traitsIT1_E6data_tES3_T2_PKS9_SB_PKS3_PKS6_21rocsparse_index_base_SB_SB_SD_PS6_SH_SG_SB_SB_SD_SH_SH_SG_SH_SH_PS8_SI_PKS8_.num_named_barrier, 0
	.set _ZN9rocsparseL6kernelILi1024ELi2E21rocsparse_complex_numIdEiiEEvbbbT3_PS3_NS_15floating_traitsIT1_E6data_tES3_T2_PKS9_SB_PKS3_PKS6_21rocsparse_index_base_SB_SB_SD_PS6_SH_SG_SB_SB_SD_SH_SH_SG_SH_SH_PS8_SI_PKS8_.private_seg_size, 0
	.set _ZN9rocsparseL6kernelILi1024ELi2E21rocsparse_complex_numIdEiiEEvbbbT3_PS3_NS_15floating_traitsIT1_E6data_tES3_T2_PKS9_SB_PKS3_PKS6_21rocsparse_index_base_SB_SB_SD_PS6_SH_SG_SB_SB_SD_SH_SH_SG_SH_SH_PS8_SI_PKS8_.uses_vcc, 1
	.set _ZN9rocsparseL6kernelILi1024ELi2E21rocsparse_complex_numIdEiiEEvbbbT3_PS3_NS_15floating_traitsIT1_E6data_tES3_T2_PKS9_SB_PKS3_PKS6_21rocsparse_index_base_SB_SB_SD_PS6_SH_SG_SB_SB_SD_SH_SH_SG_SH_SH_PS8_SI_PKS8_.uses_flat_scratch, 0
	.set _ZN9rocsparseL6kernelILi1024ELi2E21rocsparse_complex_numIdEiiEEvbbbT3_PS3_NS_15floating_traitsIT1_E6data_tES3_T2_PKS9_SB_PKS3_PKS6_21rocsparse_index_base_SB_SB_SD_PS6_SH_SG_SB_SB_SD_SH_SH_SG_SH_SH_PS8_SI_PKS8_.has_dyn_sized_stack, 0
	.set _ZN9rocsparseL6kernelILi1024ELi2E21rocsparse_complex_numIdEiiEEvbbbT3_PS3_NS_15floating_traitsIT1_E6data_tES3_T2_PKS9_SB_PKS3_PKS6_21rocsparse_index_base_SB_SB_SD_PS6_SH_SG_SB_SB_SD_SH_SH_SG_SH_SH_PS8_SI_PKS8_.has_recursion, 0
	.set _ZN9rocsparseL6kernelILi1024ELi2E21rocsparse_complex_numIdEiiEEvbbbT3_PS3_NS_15floating_traitsIT1_E6data_tES3_T2_PKS9_SB_PKS3_PKS6_21rocsparse_index_base_SB_SB_SD_PS6_SH_SG_SB_SB_SD_SH_SH_SG_SH_SH_PS8_SI_PKS8_.has_indirect_call, 0
	.section	.AMDGPU.csdata,"",@progbits
; Kernel info:
; codeLenInByte = 9880
; TotalNumSgprs: 100
; NumVgprs: 62
; ScratchSize: 0
; MemoryBound: 1
; FloatMode: 240
; IeeeMode: 1
; LDSByteSize: 6144 bytes/workgroup (compile time only)
; SGPRBlocks: 12
; VGPRBlocks: 15
; NumSGPRsForWavesPerEU: 100
; NumVGPRsForWavesPerEU: 62
; Occupancy: 4
; WaveLimiterHint : 1
; COMPUTE_PGM_RSRC2:SCRATCH_EN: 0
; COMPUTE_PGM_RSRC2:USER_SGPR: 6
; COMPUTE_PGM_RSRC2:TRAP_HANDLER: 0
; COMPUTE_PGM_RSRC2:TGID_X_EN: 1
; COMPUTE_PGM_RSRC2:TGID_Y_EN: 0
; COMPUTE_PGM_RSRC2:TGID_Z_EN: 0
; COMPUTE_PGM_RSRC2:TIDIG_COMP_CNT: 0
	.section	.text._ZN9rocsparseL6kernelILi1024ELi4E21rocsparse_complex_numIdEiiEEvbbbT3_PS3_NS_15floating_traitsIT1_E6data_tES3_T2_PKS9_SB_PKS3_PKS6_21rocsparse_index_base_SB_SB_SD_PS6_SH_SG_SB_SB_SD_SH_SH_SG_SH_SH_PS8_SI_PKS8_,"axG",@progbits,_ZN9rocsparseL6kernelILi1024ELi4E21rocsparse_complex_numIdEiiEEvbbbT3_PS3_NS_15floating_traitsIT1_E6data_tES3_T2_PKS9_SB_PKS3_PKS6_21rocsparse_index_base_SB_SB_SD_PS6_SH_SG_SB_SB_SD_SH_SH_SG_SH_SH_PS8_SI_PKS8_,comdat
	.globl	_ZN9rocsparseL6kernelILi1024ELi4E21rocsparse_complex_numIdEiiEEvbbbT3_PS3_NS_15floating_traitsIT1_E6data_tES3_T2_PKS9_SB_PKS3_PKS6_21rocsparse_index_base_SB_SB_SD_PS6_SH_SG_SB_SB_SD_SH_SH_SG_SH_SH_PS8_SI_PKS8_ ; -- Begin function _ZN9rocsparseL6kernelILi1024ELi4E21rocsparse_complex_numIdEiiEEvbbbT3_PS3_NS_15floating_traitsIT1_E6data_tES3_T2_PKS9_SB_PKS3_PKS6_21rocsparse_index_base_SB_SB_SD_PS6_SH_SG_SB_SB_SD_SH_SH_SG_SH_SH_PS8_SI_PKS8_
	.p2align	8
	.type	_ZN9rocsparseL6kernelILi1024ELi4E21rocsparse_complex_numIdEiiEEvbbbT3_PS3_NS_15floating_traitsIT1_E6data_tES3_T2_PKS9_SB_PKS3_PKS6_21rocsparse_index_base_SB_SB_SD_PS6_SH_SG_SB_SB_SD_SH_SH_SG_SH_SH_PS8_SI_PKS8_,@function
_ZN9rocsparseL6kernelILi1024ELi4E21rocsparse_complex_numIdEiiEEvbbbT3_PS3_NS_15floating_traitsIT1_E6data_tES3_T2_PKS9_SB_PKS3_PKS6_21rocsparse_index_base_SB_SB_SD_PS6_SH_SG_SB_SB_SD_SH_SH_SG_SH_SH_PS8_SI_PKS8_: ; @_ZN9rocsparseL6kernelILi1024ELi4E21rocsparse_complex_numIdEiiEEvbbbT3_PS3_NS_15floating_traitsIT1_E6data_tES3_T2_PKS9_SB_PKS3_PKS6_21rocsparse_index_base_SB_SB_SD_PS6_SH_SG_SB_SB_SD_SH_SH_SG_SH_SH_PS8_SI_PKS8_
; %bb.0:
	s_load_dword s0, s[4:5], 0x0
	s_load_dwordx2 s[70:71], s[4:5], 0x0
	s_load_dwordx4 s[8:11], s[4:5], 0xb8
	s_load_dwordx4 s[12:15], s[4:5], 0x8
	s_load_dword s33, s[4:5], 0x18
	s_waitcnt lgkmcnt(0)
	s_bitcmp1_b32 s0, 0
	s_cselect_b64 s[68:69], -1, 0
	s_bitcmp1_b32 s0, 8
                                        ; implicit-def: $vgpr61 : SGPR spill to VGPR lane
	s_cselect_b64 s[34:35], -1, 0
	s_bitcmp1_b32 s70, 16
	v_writelane_b32 v61, s12, 0
	s_cselect_b64 s[26:27], -1, 0
	v_lshrrev_b32_e32 v37, 2, v0
	s_lshl_b32 s3, s6, 10
	v_writelane_b32 v61, s13, 1
	v_or_b32_e32 v39, s3, v37
	v_mov_b32_e32 v1, 0
	s_cmp_gt_i32 s71, 0
	v_mov_b32_e32 v15, 0
	v_mov_b32_e32 v13, 0
	v_writelane_b32 v61, s14, 2
	v_and_b32_e32 v38, 3, v0
	v_lshlrev_b32_e32 v40, 3, v0
	s_mov_b32 s70, 0
	v_mov_b32_e32 v2, v1
	v_cmp_gt_i32_e32 vcc, s33, v39
	s_cselect_b64 s[0:1], -1, 0
	v_mov_b32_e32 v16, 0
	v_mov_b32_e32 v14, 0
	v_writelane_b32 v61, s15, 3
	ds_write_b64 v40, v[1:2]
	s_waitcnt lgkmcnt(0)
	s_barrier
	s_and_b64 s[0:1], s[0:1], vcc
	s_mov_b64 s[6:7], exec
	v_writelane_b32 v61, s6, 4
	s_and_b64 s[0:1], s[6:7], s[0:1]
	v_writelane_b32 v61, s7, 5
	s_mov_b64 exec, s[0:1]
	s_cbranch_execz .LBB51_184
; %bb.1:
	s_load_dwordx2 s[0:1], s[4:5], 0xc8
	v_writelane_b32 v61, s8, 6
	v_writelane_b32 v61, s9, 7
	;; [unrolled: 1-line block ×4, first 2 shown]
	s_waitcnt lgkmcnt(0)
	v_writelane_b32 v61, s0, 10
	v_writelane_b32 v61, s1, 11
	s_xor_b64 s[0:1], s[34:35], -1
	v_writelane_b32 v61, s0, 12
	s_addk_i32 s3, 0x400
	s_load_dwordx4 s[64:67], s[4:5], 0xa8
	s_load_dwordx8 s[36:43], s[4:5], 0x78
	s_load_dwordx8 s[44:51], s[4:5], 0x48
	;; [unrolled: 1-line block ×3, first 2 shown]
	v_writelane_b32 v61, s1, 13
	s_load_dword s0, s[4:5], 0x40
	s_load_dwordx2 s[78:79], s[4:5], 0x68
	s_load_dword s1, s[4:5], 0x70
	s_load_dwordx2 s[80:81], s[4:5], 0x98
	s_load_dword s2, s[4:5], 0xa0
	v_cmp_gt_u32_e64 s[4:5], s3, v39
	v_writelane_b32 v61, s4, 14
	v_writelane_b32 v61, s5, 15
	v_cmp_eq_u32_e64 s[4:5], 3, v38
	v_writelane_b32 v61, s4, 16
	v_writelane_b32 v61, s5, 17
	s_movk_i32 s4, 0x80
	v_cmp_gt_u32_e64 s[4:5], s4, v0
	v_writelane_b32 v61, s4, 18
	v_writelane_b32 v61, s5, 19
	s_and_b64 s[4:5], s[34:35], s[26:27]
	s_xor_b64 s[4:5], s[4:5], -1
	v_writelane_b32 v61, s4, 20
	v_mov_b32_e32 v13, 0
	s_mov_b32 s86, 0
	v_mov_b32_e32 v15, 0
	s_waitcnt lgkmcnt(0)
	v_subrev_u32_e32 v41, s0, v38
	v_lshlrev_b32_e32 v42, 3, v37
	v_cmp_gt_u32_e64 s[6:7], 64, v0
	v_cmp_gt_u32_e64 s[8:9], 32, v0
	;; [unrolled: 1-line block ×6, first 2 shown]
	v_cmp_eq_u32_e64 s[18:19], 0, v0
	v_subrev_u32_e32 v43, s1, v38
	v_subrev_u32_e32 v44, s2, v38
	v_cmp_eq_u32_e64 s[20:21], 0, v38
	v_writelane_b32 v61, s5, 21
	v_mov_b32_e32 v14, 0
	s_mov_b64 s[84:85], 0
	v_mov_b32_e32 v18, 0
	s_brev_b32 s87, 8
	v_mov_b32_e32 v45, 0x260
	s_movk_i32 s4, 0x1f8
	v_mov_b32_e32 v46, 0x100
	v_mov_b32_e32 v16, 0
	;; [unrolled: 1-line block ×3, first 2 shown]
	s_branch .LBB51_3
.LBB51_2:                               ;   in Loop: Header=BB51_3 Depth=1
	s_or_b64 exec, exec, s[22:23]
	s_and_b64 s[22:23], exec, s[24:25]
	s_or_b64 s[84:85], s[22:23], s[84:85]
	s_andn2_b64 exec, exec, s[84:85]
	s_cbranch_execz .LBB51_183
.LBB51_3:                               ; =>This Loop Header: Depth=1
                                        ;     Child Loop BB51_7 Depth 2
                                        ;       Child Loop BB51_12 Depth 3
                                        ;         Child Loop BB51_16 Depth 4
                                        ;         Child Loop BB51_51 Depth 4
	;; [unrolled: 1-line block ×5, first 2 shown]
                                        ;     Child Loop BB51_162 Depth 2
                                        ;       Child Loop BB51_165 Depth 3
                                        ;       Child Loop BB51_168 Depth 3
	s_mov_b32 s5, 0
	v_cndmask_b32_e64 v16, v16, 0, s[34:35]
	v_cndmask_b32_e64 v15, v15, 0, s[34:35]
	;; [unrolled: 1-line block ×4, first 2 shown]
	s_branch .LBB51_7
.LBB51_4:                               ;   in Loop: Header=BB51_7 Depth=2
	s_or_b64 exec, exec, s[92:93]
.LBB51_5:                               ;   in Loop: Header=BB51_7 Depth=2
	s_or_b64 exec, exec, s[90:91]
.LBB51_6:                               ;   in Loop: Header=BB51_7 Depth=2
	s_or_b64 exec, exec, s[88:89]
	s_add_i32 s5, s5, 1
	s_cmp_eq_u32 s5, 4
	s_cbranch_scc1 .LBB51_119
.LBB51_7:                               ;   Parent Loop BB51_3 Depth=1
                                        ; =>  This Loop Header: Depth=2
                                        ;       Child Loop BB51_12 Depth 3
                                        ;         Child Loop BB51_16 Depth 4
                                        ;         Child Loop BB51_51 Depth 4
	;; [unrolled: 1-line block ×5, first 2 shown]
	v_lshl_add_u32 v19, s5, 8, v39
	v_cmp_gt_i32_e32 vcc, s33, v19
	s_and_saveexec_b64 s[88:89], vcc
	s_cbranch_execz .LBB51_6
; %bb.8:                                ;   in Loop: Header=BB51_7 Depth=2
	v_ashrrev_i32_e32 v20, 31, v19
	v_lshlrev_b64 v[1:2], 2, v[19:20]
	v_mov_b32_e32 v4, s53
	v_add_co_u32_e32 v3, vcc, s52, v1
	v_addc_co_u32_e32 v4, vcc, v4, v2, vcc
	global_load_dword v5, v[3:4], off
	v_mov_b32_e32 v4, s55
	v_add_co_u32_e32 v3, vcc, s54, v1
	v_addc_co_u32_e32 v4, vcc, v4, v2, vcc
	global_load_dword v3, v[3:4], off
	s_waitcnt vmcnt(1)
	v_add_u32_e32 v20, v41, v5
	s_waitcnt vmcnt(0)
	v_subrev_u32_e32 v48, s0, v3
	v_cmp_lt_i32_e32 vcc, v20, v48
	s_and_saveexec_b64 s[90:91], vcc
	s_cbranch_execz .LBB51_5
; %bb.9:                                ;   in Loop: Header=BB51_7 Depth=2
	v_mov_b32_e32 v4, s47
	v_add_co_u32_e32 v3, vcc, s46, v1
	v_addc_co_u32_e32 v4, vcc, v4, v2, vcc
	v_mov_b32_e32 v5, s45
	v_add_co_u32_e32 v1, vcc, s44, v1
	v_addc_co_u32_e32 v2, vcc, v5, v2, vcc
	global_load_dword v1, v[1:2], off
	s_nop 0
	global_load_dword v2, v[3:4], off
	v_mov_b32_e32 v5, s49
	v_mov_b32_e32 v6, s51
	s_mov_b64 s[92:93], 0
	s_waitcnt vmcnt(1)
	v_subrev_u32_e32 v22, s1, v1
	v_ashrrev_i32_e32 v23, 31, v22
	s_waitcnt vmcnt(0)
	v_sub_u32_e32 v49, v2, v1
	v_lshlrev_b64 v[1:2], 2, v[22:23]
	v_lshlrev_b64 v[3:4], 4, v[22:23]
	v_add_co_u32_e32 v50, vcc, s48, v1
	v_addc_co_u32_e32 v51, vcc, v5, v2, vcc
	v_add_co_u32_e32 v52, vcc, s50, v3
	v_cmp_lt_i32_e64 s[22:23], 0, v49
	v_addc_co_u32_e32 v53, vcc, v6, v4, vcc
	s_branch .LBB51_12
.LBB51_10:                              ;   in Loop: Header=BB51_12 Depth=3
	s_or_b64 exec, exec, s[28:29]
.LBB51_11:                              ;   in Loop: Header=BB51_12 Depth=3
	s_or_b64 exec, exec, s[24:25]
	v_add_u32_e32 v20, 4, v20
	v_cmp_ge_i32_e32 vcc, v20, v48
	s_or_b64 s[92:93], vcc, s[92:93]
	s_andn2_b64 exec, exec, s[92:93]
	s_cbranch_execz .LBB51_4
.LBB51_12:                              ;   Parent Loop BB51_3 Depth=1
                                        ;     Parent Loop BB51_7 Depth=2
                                        ; =>    This Loop Header: Depth=3
                                        ;         Child Loop BB51_16 Depth 4
                                        ;         Child Loop BB51_51 Depth 4
	;; [unrolled: 1-line block ×5, first 2 shown]
	v_ashrrev_i32_e32 v21, 31, v20
	v_lshlrev_b64 v[1:2], 2, v[20:21]
	v_mov_b32_e32 v3, s57
	v_add_co_u32_e32 v1, vcc, s56, v1
	v_addc_co_u32_e32 v2, vcc, v3, v2, vcc
	global_load_dword v1, v[1:2], off
	v_mov_b32_e32 v4, s37
	v_mov_b32_e32 v5, s39
	;; [unrolled: 1-line block ×8, first 2 shown]
	s_waitcnt vmcnt(0)
	v_subrev_u32_e32 v23, s0, v1
	v_ashrrev_i32_e32 v24, 31, v23
	v_lshlrev_b64 v[1:2], 2, v[23:24]
	v_add_co_u32_e32 v3, vcc, s36, v1
	v_addc_co_u32_e32 v4, vcc, v4, v2, vcc
	v_add_co_u32_e32 v1, vcc, s38, v1
	v_addc_co_u32_e32 v2, vcc, v5, v2, vcc
	global_load_dword v3, v[3:4], off
	s_nop 0
	global_load_dword v1, v[1:2], off
	s_waitcnt vmcnt(1)
	v_subrev_u32_e32 v29, s2, v3
	s_waitcnt vmcnt(0)
	v_sub_u32_e32 v54, v1, v3
	s_and_saveexec_b64 s[24:25], s[22:23]
	s_cbranch_execz .LBB51_20
; %bb.13:                               ;   in Loop: Header=BB51_12 Depth=3
	v_ashrrev_i32_e32 v30, 31, v29
	v_lshlrev_b64 v[1:2], 2, v[29:30]
	v_mov_b32_e32 v3, s41
	v_add_co_u32_e32 v1, vcc, s40, v1
	v_addc_co_u32_e32 v2, vcc, v3, v2, vcc
	v_lshlrev_b64 v[3:4], 4, v[29:30]
	v_mov_b32_e32 v5, s43
	v_add_co_u32_e32 v3, vcc, s42, v3
	v_mov_b32_e32 v25, 0
	v_mov_b32_e32 v30, 0
	;; [unrolled: 1-line block ×3, first 2 shown]
	v_addc_co_u32_e32 v4, vcc, v5, v4, vcc
	v_mov_b32_e32 v26, 0
	s_mov_b64 s[60:61], 0
	v_mov_b32_e32 v28, 0
	v_mov_b32_e32 v17, v30
                                        ; implicit-def: $sgpr62_sgpr63
	s_branch .LBB51_16
.LBB51_14:                              ;   in Loop: Header=BB51_16 Depth=4
	s_or_b64 exec, exec, s[28:29]
	v_cmp_le_i32_e32 vcc, v5, v6
	v_addc_co_u32_e32 v17, vcc, 0, v17, vcc
	v_cmp_ge_i32_e32 vcc, v5, v6
	v_addc_co_u32_e32 v30, vcc, 0, v30, vcc
	v_cmp_ge_i32_e32 vcc, v17, v49
	s_andn2_b64 s[28:29], s[62:63], exec
	s_and_b64 s[30:31], vcc, exec
	s_or_b64 s[62:63], s[28:29], s[30:31]
.LBB51_15:                              ;   in Loop: Header=BB51_16 Depth=4
	s_or_b64 exec, exec, s[72:73]
	s_and_b64 s[28:29], exec, s[62:63]
	s_or_b64 s[60:61], s[28:29], s[60:61]
	s_andn2_b64 exec, exec, s[60:61]
	s_cbranch_execz .LBB51_19
.LBB51_16:                              ;   Parent Loop BB51_3 Depth=1
                                        ;     Parent Loop BB51_7 Depth=2
                                        ;       Parent Loop BB51_12 Depth=3
                                        ; =>      This Inner Loop Header: Depth=4
	v_cmp_lt_i32_e32 vcc, v30, v54
	s_or_b64 s[62:63], s[62:63], exec
	s_and_saveexec_b64 s[72:73], vcc
	s_cbranch_execz .LBB51_15
; %bb.17:                               ;   in Loop: Header=BB51_16 Depth=4
	v_lshlrev_b64 v[5:6], 2, v[17:18]
	v_mov_b32_e32 v31, v18
	v_add_co_u32_e32 v5, vcc, v50, v5
	v_addc_co_u32_e32 v6, vcc, v51, v6, vcc
	global_load_dword v7, v[5:6], off
	v_lshlrev_b64 v[5:6], 2, v[30:31]
	v_add_co_u32_e32 v5, vcc, v1, v5
	v_addc_co_u32_e32 v6, vcc, v2, v6, vcc
	global_load_dword v6, v[5:6], off
	s_waitcnt vmcnt(1)
	v_subrev_u32_e32 v5, s1, v7
	s_waitcnt vmcnt(0)
	v_subrev_u32_e32 v6, s2, v6
	v_cmp_eq_u32_e32 vcc, v5, v6
	s_and_saveexec_b64 s[28:29], vcc
	s_cbranch_execz .LBB51_14
; %bb.18:                               ;   in Loop: Header=BB51_16 Depth=4
	v_lshlrev_b64 v[7:8], 4, v[17:18]
	v_lshlrev_b64 v[11:12], 4, v[30:31]
	v_add_co_u32_e32 v7, vcc, v52, v7
	v_addc_co_u32_e32 v8, vcc, v53, v8, vcc
	v_add_co_u32_e32 v11, vcc, v3, v11
	v_addc_co_u32_e32 v12, vcc, v4, v12, vcc
	global_load_dwordx4 v[7:10], v[7:8], off
	s_nop 0
	global_load_dwordx4 v[31:34], v[11:12], off
	s_waitcnt vmcnt(0)
	v_fma_f64 v[11:12], v[7:8], v[31:32], v[25:26]
	v_fma_f64 v[27:28], v[9:10], v[31:32], v[27:28]
	v_fma_f64 v[25:26], -v[9:10], v[33:34], v[11:12]
	v_fma_f64 v[27:28], v[7:8], v[33:34], v[27:28]
	s_branch .LBB51_14
.LBB51_19:                              ;   in Loop: Header=BB51_12 Depth=3
	s_or_b64 exec, exec, s[60:61]
.LBB51_20:                              ;   in Loop: Header=BB51_12 Depth=3
	s_or_b64 exec, exec, s[24:25]
	v_lshlrev_b64 v[1:2], 4, v[20:21]
	v_mov_b32_e32 v3, s59
	v_add_co_u32_e32 v1, vcc, s58, v1
	v_addc_co_u32_e32 v2, vcc, v3, v2, vcc
	global_load_dwordx4 v[1:4], v[1:2], off
	v_cmp_le_i32_e64 s[24:25], v19, v23
	v_cmp_gt_i32_e32 vcc, v19, v23
	s_waitcnt vmcnt(0)
	v_add_f64 v[5:6], v[1:2], -v[25:26]
	v_add_f64 v[7:8], v[3:4], -v[27:28]
	s_and_saveexec_b64 s[72:73], vcc
	s_cbranch_execz .LBB51_30
; %bb.21:                               ;   in Loop: Header=BB51_12 Depth=3
	v_lshlrev_b64 v[9:10], 4, v[23:24]
	v_mov_b32_e32 v11, s65
	v_add_co_u32_e32 v9, vcc, s64, v9
	v_addc_co_u32_e32 v10, vcc, v11, v10, vcc
	global_load_dwordx4 v[9:12], v[9:10], off
                                        ; implicit-def: $vgpr35_vgpr36
	s_waitcnt vmcnt(0)
	v_cmp_gt_f64_e32 vcc, 0, v[9:10]
	v_xor_b32_e32 v21, 0x80000000, v10
	v_xor_b32_e32 v33, 0x80000000, v12
	v_mov_b32_e32 v31, v9
	v_cndmask_b32_e32 v32, v10, v21, vcc
	v_cmp_gt_f64_e32 vcc, 0, v[11:12]
	v_cndmask_b32_e32 v34, v12, v33, vcc
	v_mov_b32_e32 v33, v11
	v_cmp_ngt_f64_e32 vcc, v[31:32], v[33:34]
	s_and_saveexec_b64 s[28:29], vcc
	s_xor_b64 s[28:29], exec, s[28:29]
	s_cbranch_execz .LBB51_25
; %bb.22:                               ;   in Loop: Header=BB51_12 Depth=3
	v_cmp_neq_f64_e32 vcc, 0, v[11:12]
	v_mov_b32_e32 v35, 0
	v_mov_b32_e32 v36, 0
	s_and_saveexec_b64 s[30:31], vcc
	s_cbranch_execz .LBB51_24
; %bb.23:                               ;   in Loop: Header=BB51_12 Depth=3
	v_div_scale_f64 v[35:36], s[60:61], v[33:34], v[33:34], v[31:32]
	v_rcp_f64_e32 v[55:56], v[35:36]
	v_fma_f64 v[57:58], -v[35:36], v[55:56], 1.0
	v_fma_f64 v[55:56], v[55:56], v[57:58], v[55:56]
	v_div_scale_f64 v[57:58], vcc, v[31:32], v[33:34], v[31:32]
	v_fma_f64 v[59:60], -v[35:36], v[55:56], 1.0
	v_fma_f64 v[55:56], v[55:56], v[59:60], v[55:56]
	v_mul_f64 v[59:60], v[57:58], v[55:56]
	v_fma_f64 v[35:36], -v[35:36], v[59:60], v[57:58]
	v_div_fmas_f64 v[35:36], v[35:36], v[55:56], v[59:60]
	v_div_fixup_f64 v[31:32], v[35:36], v[33:34], v[31:32]
	v_fma_f64 v[31:32], v[31:32], v[31:32], 1.0
	v_cmp_gt_f64_e32 vcc, s[86:87], v[31:32]
	v_cndmask_b32_e32 v21, 0, v46, vcc
	v_ldexp_f64 v[31:32], v[31:32], v21
	v_cndmask_b32_e32 v21, 0, v47, vcc
	v_rsq_f64_e32 v[35:36], v[31:32]
	v_cmp_class_f64_e32 vcc, v[31:32], v45
	v_mul_f64 v[55:56], v[31:32], v[35:36]
	v_mul_f64 v[35:36], v[35:36], 0.5
	v_fma_f64 v[57:58], -v[35:36], v[55:56], 0.5
	v_fma_f64 v[55:56], v[55:56], v[57:58], v[55:56]
	v_fma_f64 v[35:36], v[35:36], v[57:58], v[35:36]
	v_fma_f64 v[57:58], -v[55:56], v[55:56], v[31:32]
	v_fma_f64 v[55:56], v[57:58], v[35:36], v[55:56]
	v_fma_f64 v[57:58], -v[55:56], v[55:56], v[31:32]
	v_fma_f64 v[35:36], v[57:58], v[35:36], v[55:56]
	v_ldexp_f64 v[35:36], v[35:36], v21
	v_cndmask_b32_e32 v32, v36, v32, vcc
	v_cndmask_b32_e32 v31, v35, v31, vcc
	v_mul_f64 v[35:36], v[33:34], v[31:32]
.LBB51_24:                              ;   in Loop: Header=BB51_12 Depth=3
	s_or_b64 exec, exec, s[30:31]
                                        ; implicit-def: $vgpr31_vgpr32
                                        ; implicit-def: $vgpr33_vgpr34
.LBB51_25:                              ;   in Loop: Header=BB51_12 Depth=3
	s_andn2_saveexec_b64 s[28:29], s[28:29]
	s_cbranch_execz .LBB51_27
; %bb.26:                               ;   in Loop: Header=BB51_12 Depth=3
	v_div_scale_f64 v[35:36], s[30:31], v[31:32], v[31:32], v[33:34]
	v_rcp_f64_e32 v[55:56], v[35:36]
	v_fma_f64 v[57:58], -v[35:36], v[55:56], 1.0
	v_fma_f64 v[55:56], v[55:56], v[57:58], v[55:56]
	v_div_scale_f64 v[57:58], vcc, v[33:34], v[31:32], v[33:34]
	v_fma_f64 v[59:60], -v[35:36], v[55:56], 1.0
	v_fma_f64 v[55:56], v[55:56], v[59:60], v[55:56]
	v_mul_f64 v[59:60], v[57:58], v[55:56]
	v_fma_f64 v[35:36], -v[35:36], v[59:60], v[57:58]
	v_div_fmas_f64 v[35:36], v[35:36], v[55:56], v[59:60]
	v_div_fixup_f64 v[33:34], v[35:36], v[31:32], v[33:34]
	v_fma_f64 v[33:34], v[33:34], v[33:34], 1.0
	v_cmp_gt_f64_e32 vcc, s[86:87], v[33:34]
	v_cndmask_b32_e32 v21, 0, v46, vcc
	v_ldexp_f64 v[33:34], v[33:34], v21
	v_cndmask_b32_e32 v21, 0, v47, vcc
	v_rsq_f64_e32 v[35:36], v[33:34]
	v_cmp_class_f64_e32 vcc, v[33:34], v45
	v_mul_f64 v[55:56], v[33:34], v[35:36]
	v_mul_f64 v[35:36], v[35:36], 0.5
	v_fma_f64 v[57:58], -v[35:36], v[55:56], 0.5
	v_fma_f64 v[55:56], v[55:56], v[57:58], v[55:56]
	v_fma_f64 v[35:36], v[35:36], v[57:58], v[35:36]
	v_fma_f64 v[57:58], -v[55:56], v[55:56], v[33:34]
	v_fma_f64 v[55:56], v[57:58], v[35:36], v[55:56]
	v_fma_f64 v[57:58], -v[55:56], v[55:56], v[33:34]
	v_fma_f64 v[35:36], v[57:58], v[35:36], v[55:56]
	v_ldexp_f64 v[35:36], v[35:36], v21
	v_cndmask_b32_e32 v34, v36, v34, vcc
	v_cndmask_b32_e32 v33, v35, v33, vcc
	v_mul_f64 v[35:36], v[31:32], v[33:34]
.LBB51_27:                              ;   in Loop: Header=BB51_12 Depth=3
	s_or_b64 exec, exec, s[28:29]
	v_cmp_lt_f64_e32 vcc, 0, v[35:36]
	v_mov_b32_e32 v31, 0
	v_mov_b32_e32 v33, 0
	;; [unrolled: 1-line block ×4, first 2 shown]
	s_and_saveexec_b64 s[28:29], vcc
	s_cbranch_execz .LBB51_29
; %bb.28:                               ;   in Loop: Header=BB51_12 Depth=3
	v_mul_f64 v[31:32], v[11:12], v[11:12]
	v_fma_f64 v[31:32], v[9:10], v[9:10], v[31:32]
	v_div_scale_f64 v[33:34], s[30:31], v[31:32], v[31:32], 1.0
	v_rcp_f64_e32 v[35:36], v[33:34]
	v_fma_f64 v[55:56], -v[33:34], v[35:36], 1.0
	v_fma_f64 v[35:36], v[35:36], v[55:56], v[35:36]
	v_div_scale_f64 v[55:56], vcc, 1.0, v[31:32], 1.0
	v_fma_f64 v[57:58], -v[33:34], v[35:36], 1.0
	v_fma_f64 v[35:36], v[35:36], v[57:58], v[35:36]
	v_mul_f64 v[57:58], v[55:56], v[35:36]
	v_fma_f64 v[33:34], -v[33:34], v[57:58], v[55:56]
	v_div_fmas_f64 v[33:34], v[33:34], v[35:36], v[57:58]
	v_mul_f64 v[35:36], v[7:8], v[11:12]
	v_mul_f64 v[11:12], v[11:12], -v[5:6]
	v_fma_f64 v[5:6], v[5:6], v[9:10], v[35:36]
	v_fma_f64 v[7:8], v[7:8], v[9:10], v[11:12]
	v_div_fixup_f64 v[31:32], v[33:34], v[31:32], 1.0
	v_mul_f64 v[33:34], v[5:6], v[31:32]
	v_mul_f64 v[31:32], v[7:8], v[31:32]
.LBB51_29:                              ;   in Loop: Header=BB51_12 Depth=3
	s_or_b64 exec, exec, s[28:29]
	v_mov_b32_e32 v7, v31
	v_mov_b32_e32 v5, v33
	v_mov_b32_e32 v8, v32
	v_mov_b32_e32 v6, v34
.LBB51_30:                              ;   in Loop: Header=BB51_12 Depth=3
	s_or_b64 exec, exec, s[72:73]
	v_cmp_gt_f64_e32 vcc, 0, v[5:6]
	v_xor_b32_e32 v9, 0x80000000, v6
	v_xor_b32_e32 v11, 0x80000000, v8
                                        ; implicit-def: $vgpr31_vgpr32
	v_cndmask_b32_e32 v10, v6, v9, vcc
	v_cmp_gt_f64_e32 vcc, 0, v[7:8]
	v_mov_b32_e32 v9, v5
	v_cndmask_b32_e32 v12, v8, v11, vcc
	v_mov_b32_e32 v11, v7
	v_cmp_ngt_f64_e32 vcc, v[9:10], v[11:12]
	s_and_saveexec_b64 s[28:29], vcc
	s_xor_b64 s[28:29], exec, s[28:29]
	s_cbranch_execnz .LBB51_34
; %bb.31:                               ;   in Loop: Header=BB51_12 Depth=3
	s_andn2_saveexec_b64 s[28:29], s[28:29]
	s_cbranch_execnz .LBB51_37
.LBB51_32:                              ;   in Loop: Header=BB51_12 Depth=3
	s_or_b64 exec, exec, s[28:29]
	v_cmp_class_f64_e64 s[94:95], v[31:32], s4
	s_and_saveexec_b64 s[72:73], s[94:95]
	s_cbranch_execnz .LBB51_38
.LBB51_33:                              ;   in Loop: Header=BB51_12 Depth=3
	s_or_b64 exec, exec, s[72:73]
	s_and_b64 s[28:29], s[26:27], s[94:95]
	s_and_saveexec_b64 s[24:25], s[28:29]
	s_cbranch_execz .LBB51_11
	s_branch .LBB51_79
.LBB51_34:                              ;   in Loop: Header=BB51_12 Depth=3
	v_cmp_neq_f64_e32 vcc, 0, v[7:8]
	v_mov_b32_e32 v31, 0
	v_mov_b32_e32 v32, 0
	s_and_saveexec_b64 s[30:31], vcc
	s_cbranch_execz .LBB51_36
; %bb.35:                               ;   in Loop: Header=BB51_12 Depth=3
	v_div_scale_f64 v[31:32], s[60:61], v[11:12], v[11:12], v[9:10]
	v_rcp_f64_e32 v[33:34], v[31:32]
	v_fma_f64 v[35:36], -v[31:32], v[33:34], 1.0
	v_fma_f64 v[33:34], v[33:34], v[35:36], v[33:34]
	v_div_scale_f64 v[35:36], vcc, v[9:10], v[11:12], v[9:10]
	v_fma_f64 v[55:56], -v[31:32], v[33:34], 1.0
	v_fma_f64 v[33:34], v[33:34], v[55:56], v[33:34]
	v_mul_f64 v[55:56], v[35:36], v[33:34]
	v_fma_f64 v[31:32], -v[31:32], v[55:56], v[35:36]
	v_div_fmas_f64 v[31:32], v[31:32], v[33:34], v[55:56]
	v_div_fixup_f64 v[9:10], v[31:32], v[11:12], v[9:10]
	v_fma_f64 v[9:10], v[9:10], v[9:10], 1.0
	v_cmp_gt_f64_e32 vcc, s[86:87], v[9:10]
	v_cndmask_b32_e32 v21, 0, v46, vcc
	v_ldexp_f64 v[9:10], v[9:10], v21
	v_cndmask_b32_e32 v21, 0, v47, vcc
	v_rsq_f64_e32 v[31:32], v[9:10]
	v_cmp_class_f64_e32 vcc, v[9:10], v45
	v_mul_f64 v[33:34], v[9:10], v[31:32]
	v_mul_f64 v[31:32], v[31:32], 0.5
	v_fma_f64 v[35:36], -v[31:32], v[33:34], 0.5
	v_fma_f64 v[33:34], v[33:34], v[35:36], v[33:34]
	v_fma_f64 v[31:32], v[31:32], v[35:36], v[31:32]
	v_fma_f64 v[35:36], -v[33:34], v[33:34], v[9:10]
	v_fma_f64 v[33:34], v[35:36], v[31:32], v[33:34]
	v_fma_f64 v[35:36], -v[33:34], v[33:34], v[9:10]
	v_fma_f64 v[31:32], v[35:36], v[31:32], v[33:34]
	v_ldexp_f64 v[31:32], v[31:32], v21
	v_cndmask_b32_e32 v10, v32, v10, vcc
	v_cndmask_b32_e32 v9, v31, v9, vcc
	v_mul_f64 v[31:32], v[11:12], v[9:10]
.LBB51_36:                              ;   in Loop: Header=BB51_12 Depth=3
	s_or_b64 exec, exec, s[30:31]
                                        ; implicit-def: $vgpr9_vgpr10
                                        ; implicit-def: $vgpr11_vgpr12
	s_andn2_saveexec_b64 s[28:29], s[28:29]
	s_cbranch_execz .LBB51_32
.LBB51_37:                              ;   in Loop: Header=BB51_12 Depth=3
	v_div_scale_f64 v[31:32], s[30:31], v[9:10], v[9:10], v[11:12]
	v_rcp_f64_e32 v[33:34], v[31:32]
	v_fma_f64 v[35:36], -v[31:32], v[33:34], 1.0
	v_fma_f64 v[33:34], v[33:34], v[35:36], v[33:34]
	v_div_scale_f64 v[35:36], vcc, v[11:12], v[9:10], v[11:12]
	v_fma_f64 v[55:56], -v[31:32], v[33:34], 1.0
	v_fma_f64 v[33:34], v[33:34], v[55:56], v[33:34]
	v_mul_f64 v[55:56], v[35:36], v[33:34]
	v_fma_f64 v[31:32], -v[31:32], v[55:56], v[35:36]
	v_div_fmas_f64 v[31:32], v[31:32], v[33:34], v[55:56]
	v_div_fixup_f64 v[11:12], v[31:32], v[9:10], v[11:12]
	v_fma_f64 v[11:12], v[11:12], v[11:12], 1.0
	v_cmp_gt_f64_e32 vcc, s[86:87], v[11:12]
	v_cndmask_b32_e32 v21, 0, v46, vcc
	v_ldexp_f64 v[11:12], v[11:12], v21
	v_cndmask_b32_e32 v21, 0, v47, vcc
	v_rsq_f64_e32 v[31:32], v[11:12]
	v_cmp_class_f64_e32 vcc, v[11:12], v45
	v_mul_f64 v[33:34], v[11:12], v[31:32]
	v_mul_f64 v[31:32], v[31:32], 0.5
	v_fma_f64 v[35:36], -v[31:32], v[33:34], 0.5
	v_fma_f64 v[33:34], v[33:34], v[35:36], v[33:34]
	v_fma_f64 v[31:32], v[31:32], v[35:36], v[31:32]
	v_fma_f64 v[35:36], -v[33:34], v[33:34], v[11:12]
	v_fma_f64 v[33:34], v[35:36], v[31:32], v[33:34]
	v_fma_f64 v[35:36], -v[33:34], v[33:34], v[11:12]
	v_fma_f64 v[31:32], v[35:36], v[31:32], v[33:34]
	v_ldexp_f64 v[31:32], v[31:32], v21
	v_cndmask_b32_e32 v12, v32, v12, vcc
	v_cndmask_b32_e32 v11, v31, v11, vcc
	v_mul_f64 v[31:32], v[9:10], v[11:12]
	s_or_b64 exec, exec, s[28:29]
	v_cmp_class_f64_e64 s[94:95], v[31:32], s4
	s_and_saveexec_b64 s[72:73], s[94:95]
	s_cbranch_execz .LBB51_33
.LBB51_38:                              ;   in Loop: Header=BB51_12 Depth=3
	s_and_saveexec_b64 s[28:29], s[24:25]
	s_xor_b64 s[24:25], exec, s[28:29]
	s_cbranch_execz .LBB51_63
; %bb.39:                               ;   in Loop: Header=BB51_12 Depth=3
	v_cmp_ge_i32_e32 vcc, v19, v23
	s_and_saveexec_b64 s[28:29], vcc
	s_xor_b64 s[76:77], exec, s[28:29]
	s_cbranch_execz .LBB51_47
; %bb.40:                               ;   in Loop: Header=BB51_12 Depth=3
	v_lshlrev_b64 v[9:10], 4, v[23:24]
	v_mov_b32_e32 v12, s67
	v_add_co_u32_e32 v11, vcc, s66, v9
	v_addc_co_u32_e32 v12, vcc, v12, v10, vcc
	s_andn2_b64 vcc, exec, s[34:35]
	global_store_dwordx4 v[11:12], v[5:8], off
	s_cbranch_vccnz .LBB51_46
; %bb.41:                               ;   in Loop: Header=BB51_12 Depth=3
	v_mov_b32_e32 v11, s65
	v_add_co_u32_e32 v9, vcc, s64, v9
	v_addc_co_u32_e32 v10, vcc, v11, v10, vcc
	global_load_dwordx4 v[9:12], v[9:10], off
	s_waitcnt vmcnt(0)
	v_add_f64 v[5:6], v[9:10], -v[5:6]
	v_add_f64 v[11:12], v[11:12], -v[7:8]
                                        ; implicit-def: $vgpr9_vgpr10
	v_cmp_gt_f64_e32 vcc, 0, v[5:6]
	v_xor_b32_e32 v7, 0x80000000, v6
	v_xor_b32_e32 v8, 0x80000000, v12
	v_cndmask_b32_e32 v6, v6, v7, vcc
	v_cmp_gt_f64_e32 vcc, 0, v[11:12]
	v_mov_b32_e32 v7, v11
	v_cndmask_b32_e32 v8, v12, v8, vcc
	v_cmp_ngt_f64_e32 vcc, v[5:6], v[7:8]
	s_and_saveexec_b64 s[28:29], vcc
	s_xor_b64 s[28:29], exec, s[28:29]
	s_cbranch_execnz .LBB51_107
; %bb.42:                               ;   in Loop: Header=BB51_12 Depth=3
	s_andn2_saveexec_b64 s[28:29], s[28:29]
	s_cbranch_execnz .LBB51_110
.LBB51_43:                              ;   in Loop: Header=BB51_12 Depth=3
	s_or_b64 exec, exec, s[28:29]
	v_cmp_class_f64_e64 s[30:31], v[9:10], s4
	s_and_saveexec_b64 s[28:29], s[30:31]
	s_cbranch_execz .LBB51_45
.LBB51_44:                              ;   in Loop: Header=BB51_12 Depth=3
	v_cmp_lt_f64_e32 vcc, v[15:16], v[9:10]
	v_cndmask_b32_e32 v16, v16, v10, vcc
	v_cndmask_b32_e32 v15, v15, v9, vcc
.LBB51_45:                              ;   in Loop: Header=BB51_12 Depth=3
	s_or_b64 exec, exec, s[28:29]
.LBB51_46:                              ;   in Loop: Header=BB51_12 Depth=3
                                        ; implicit-def: $vgpr5_vgpr6
.LBB51_47:                              ;   in Loop: Header=BB51_12 Depth=3
	s_andn2_saveexec_b64 s[76:77], s[76:77]
	s_cbranch_execz .LBB51_62
; %bb.48:                               ;   in Loop: Header=BB51_12 Depth=3
	v_cmp_lt_i32_e32 vcc, v30, v54
	s_and_saveexec_b64 s[82:83], vcc
	s_cbranch_execz .LBB51_61
; %bb.49:                               ;   in Loop: Header=BB51_12 Depth=3
	s_mov_b64 s[60:61], 0
	v_mov_b32_e32 v11, v30
                                        ; implicit-def: $sgpr62_sgpr63
                                        ; implicit-def: $sgpr30_sgpr31
                                        ; implicit-def: $sgpr28_sgpr29
	s_branch .LBB51_51
.LBB51_50:                              ;   in Loop: Header=BB51_51 Depth=4
	s_or_b64 exec, exec, s[74:75]
	s_and_b64 s[74:75], exec, s[30:31]
	s_or_b64 s[60:61], s[74:75], s[60:61]
	s_andn2_b64 s[62:63], s[62:63], exec
	s_and_b64 s[74:75], s[28:29], exec
	s_or_b64 s[62:63], s[62:63], s[74:75]
	s_andn2_b64 exec, exec, s[60:61]
	s_cbranch_execz .LBB51_53
.LBB51_51:                              ;   Parent Loop BB51_3 Depth=1
                                        ;     Parent Loop BB51_7 Depth=2
                                        ;       Parent Loop BB51_12 Depth=3
                                        ; =>      This Inner Loop Header: Depth=4
	v_add_u32_e32 v9, v29, v11
	v_ashrrev_i32_e32 v10, 31, v9
	v_lshlrev_b64 v[31:32], 2, v[9:10]
	v_mov_b32_e32 v12, s41
	v_add_co_u32_e32 v31, vcc, s40, v31
	v_addc_co_u32_e32 v32, vcc, v12, v32, vcc
	global_load_dword v12, v[31:32], off
	s_or_b64 s[28:29], s[28:29], exec
	s_or_b64 s[30:31], s[30:31], exec
	s_waitcnt vmcnt(0)
	v_subrev_u32_e32 v12, s2, v12
	v_cmp_ne_u32_e32 vcc, v12, v19
	s_and_saveexec_b64 s[74:75], vcc
	s_cbranch_execz .LBB51_50
; %bb.52:                               ;   in Loop: Header=BB51_51 Depth=4
	v_add_u32_e32 v11, 1, v11
	v_cmp_ge_i32_e32 vcc, v11, v54
	s_andn2_b64 s[30:31], s[30:31], exec
	s_and_b64 vcc, vcc, exec
	s_andn2_b64 s[28:29], s[28:29], exec
	s_or_b64 s[30:31], s[30:31], vcc
	s_branch .LBB51_50
.LBB51_53:                              ;   in Loop: Header=BB51_12 Depth=3
	s_or_b64 exec, exec, s[60:61]
	s_and_saveexec_b64 s[28:29], s[62:63]
	s_xor_b64 s[60:61], exec, s[28:29]
	s_cbranch_execz .LBB51_60
; %bb.54:                               ;   in Loop: Header=BB51_12 Depth=3
	v_lshlrev_b64 v[9:10], 4, v[9:10]
	v_mov_b32_e32 v12, s81
	v_add_co_u32_e32 v11, vcc, s80, v9
	v_addc_co_u32_e32 v12, vcc, v12, v10, vcc
	s_andn2_b64 vcc, exec, s[34:35]
	global_store_dwordx4 v[11:12], v[5:8], off
	s_cbranch_vccnz .LBB51_60
; %bb.55:                               ;   in Loop: Header=BB51_12 Depth=3
	v_mov_b32_e32 v11, s43
	v_add_co_u32_e32 v9, vcc, s42, v9
	v_addc_co_u32_e32 v10, vcc, v11, v10, vcc
	global_load_dwordx4 v[9:12], v[9:10], off
	s_waitcnt vmcnt(0)
	v_add_f64 v[5:6], v[9:10], -v[5:6]
	v_add_f64 v[11:12], v[11:12], -v[7:8]
                                        ; implicit-def: $vgpr9_vgpr10
	v_cmp_gt_f64_e32 vcc, 0, v[5:6]
	v_xor_b32_e32 v7, 0x80000000, v6
	v_xor_b32_e32 v8, 0x80000000, v12
	v_cndmask_b32_e32 v6, v6, v7, vcc
	v_cmp_gt_f64_e32 vcc, 0, v[11:12]
	v_mov_b32_e32 v7, v11
	v_cndmask_b32_e32 v8, v12, v8, vcc
	v_cmp_ngt_f64_e32 vcc, v[5:6], v[7:8]
	s_and_saveexec_b64 s[28:29], vcc
	s_xor_b64 s[28:29], exec, s[28:29]
	s_cbranch_execnz .LBB51_115
; %bb.56:                               ;   in Loop: Header=BB51_12 Depth=3
	s_andn2_saveexec_b64 s[28:29], s[28:29]
	s_cbranch_execnz .LBB51_118
.LBB51_57:                              ;   in Loop: Header=BB51_12 Depth=3
	s_or_b64 exec, exec, s[28:29]
	v_cmp_class_f64_e64 s[30:31], v[9:10], s4
	s_and_saveexec_b64 s[28:29], s[30:31]
	s_cbranch_execz .LBB51_59
.LBB51_58:                              ;   in Loop: Header=BB51_12 Depth=3
	v_cmp_lt_f64_e32 vcc, v[15:16], v[9:10]
	v_cndmask_b32_e32 v16, v16, v10, vcc
	v_cndmask_b32_e32 v15, v15, v9, vcc
.LBB51_59:                              ;   in Loop: Header=BB51_12 Depth=3
	s_or_b64 exec, exec, s[28:29]
.LBB51_60:                              ;   in Loop: Header=BB51_12 Depth=3
	s_or_b64 exec, exec, s[60:61]
.LBB51_61:                              ;   in Loop: Header=BB51_12 Depth=3
	s_or_b64 exec, exec, s[82:83]
.LBB51_62:                              ;   in Loop: Header=BB51_12 Depth=3
	s_or_b64 exec, exec, s[76:77]
                                        ; implicit-def: $vgpr5_vgpr6
.LBB51_63:                              ;   in Loop: Header=BB51_12 Depth=3
	s_andn2_saveexec_b64 s[24:25], s[24:25]
	s_cbranch_execz .LBB51_78
; %bb.64:                               ;   in Loop: Header=BB51_12 Depth=3
	v_cmp_lt_i32_e32 vcc, v17, v49
	s_and_saveexec_b64 s[76:77], vcc
	s_cbranch_execz .LBB51_77
; %bb.65:                               ;   in Loop: Header=BB51_12 Depth=3
	s_mov_b64 s[60:61], 0
	v_mov_b32_e32 v11, v17
                                        ; implicit-def: $sgpr62_sgpr63
                                        ; implicit-def: $sgpr30_sgpr31
                                        ; implicit-def: $sgpr28_sgpr29
	s_branch .LBB51_67
.LBB51_66:                              ;   in Loop: Header=BB51_67 Depth=4
	s_or_b64 exec, exec, s[82:83]
	s_and_b64 s[74:75], exec, s[30:31]
	s_or_b64 s[60:61], s[74:75], s[60:61]
	s_andn2_b64 s[62:63], s[62:63], exec
	s_and_b64 s[74:75], s[28:29], exec
	s_or_b64 s[62:63], s[62:63], s[74:75]
	s_andn2_b64 exec, exec, s[60:61]
	s_cbranch_execz .LBB51_69
.LBB51_67:                              ;   Parent Loop BB51_3 Depth=1
                                        ;     Parent Loop BB51_7 Depth=2
                                        ;       Parent Loop BB51_12 Depth=3
                                        ; =>      This Inner Loop Header: Depth=4
	v_add_u32_e32 v9, v22, v11
	v_ashrrev_i32_e32 v10, 31, v9
	v_lshlrev_b64 v[31:32], 2, v[9:10]
	v_mov_b32_e32 v12, s49
	v_add_co_u32_e32 v31, vcc, s48, v31
	v_addc_co_u32_e32 v32, vcc, v12, v32, vcc
	global_load_dword v12, v[31:32], off
	s_or_b64 s[28:29], s[28:29], exec
	s_or_b64 s[30:31], s[30:31], exec
	s_waitcnt vmcnt(0)
	v_subrev_u32_e32 v12, s1, v12
	v_cmp_ne_u32_e32 vcc, v12, v23
	s_and_saveexec_b64 s[82:83], vcc
	s_cbranch_execz .LBB51_66
; %bb.68:                               ;   in Loop: Header=BB51_67 Depth=4
	v_add_u32_e32 v11, 1, v11
	v_cmp_ge_i32_e32 vcc, v11, v49
	s_andn2_b64 s[30:31], s[30:31], exec
	s_and_b64 s[74:75], vcc, exec
	s_andn2_b64 s[28:29], s[28:29], exec
	s_or_b64 s[30:31], s[30:31], s[74:75]
	s_branch .LBB51_66
.LBB51_69:                              ;   in Loop: Header=BB51_12 Depth=3
	s_or_b64 exec, exec, s[60:61]
	s_and_saveexec_b64 s[28:29], s[62:63]
	s_xor_b64 s[60:61], exec, s[28:29]
	s_cbranch_execz .LBB51_76
; %bb.70:                               ;   in Loop: Header=BB51_12 Depth=3
	v_lshlrev_b64 v[9:10], 4, v[9:10]
	v_mov_b32_e32 v12, s79
	v_add_co_u32_e32 v11, vcc, s78, v9
	v_addc_co_u32_e32 v12, vcc, v12, v10, vcc
	s_andn2_b64 vcc, exec, s[34:35]
	global_store_dwordx4 v[11:12], v[5:8], off
	s_cbranch_vccnz .LBB51_76
; %bb.71:                               ;   in Loop: Header=BB51_12 Depth=3
	v_mov_b32_e32 v11, s51
	v_add_co_u32_e32 v9, vcc, s50, v9
	v_addc_co_u32_e32 v10, vcc, v11, v10, vcc
	global_load_dwordx4 v[9:12], v[9:10], off
	s_waitcnt vmcnt(0)
	v_add_f64 v[5:6], v[9:10], -v[5:6]
	v_add_f64 v[11:12], v[11:12], -v[7:8]
                                        ; implicit-def: $vgpr9_vgpr10
	v_cmp_gt_f64_e32 vcc, 0, v[5:6]
	v_xor_b32_e32 v7, 0x80000000, v6
	v_xor_b32_e32 v8, 0x80000000, v12
	v_cndmask_b32_e32 v6, v6, v7, vcc
	v_cmp_gt_f64_e32 vcc, 0, v[11:12]
	v_mov_b32_e32 v7, v11
	v_cndmask_b32_e32 v8, v12, v8, vcc
	v_cmp_ngt_f64_e32 vcc, v[5:6], v[7:8]
	s_and_saveexec_b64 s[28:29], vcc
	s_xor_b64 s[28:29], exec, s[28:29]
	s_cbranch_execnz .LBB51_111
; %bb.72:                               ;   in Loop: Header=BB51_12 Depth=3
	s_andn2_saveexec_b64 s[28:29], s[28:29]
	s_cbranch_execnz .LBB51_114
.LBB51_73:                              ;   in Loop: Header=BB51_12 Depth=3
	s_or_b64 exec, exec, s[28:29]
	v_cmp_class_f64_e64 s[30:31], v[9:10], s4
	s_and_saveexec_b64 s[28:29], s[30:31]
	s_cbranch_execz .LBB51_75
.LBB51_74:                              ;   in Loop: Header=BB51_12 Depth=3
	v_cmp_lt_f64_e32 vcc, v[15:16], v[9:10]
	v_cndmask_b32_e32 v16, v16, v10, vcc
	v_cndmask_b32_e32 v15, v15, v9, vcc
.LBB51_75:                              ;   in Loop: Header=BB51_12 Depth=3
	s_or_b64 exec, exec, s[28:29]
.LBB51_76:                              ;   in Loop: Header=BB51_12 Depth=3
	s_or_b64 exec, exec, s[60:61]
.LBB51_77:                              ;   in Loop: Header=BB51_12 Depth=3
	s_or_b64 exec, exec, s[76:77]
.LBB51_78:                              ;   in Loop: Header=BB51_12 Depth=3
	s_or_b64 exec, exec, s[24:25]
	s_or_b64 exec, exec, s[72:73]
	s_and_b64 s[28:29], s[26:27], s[94:95]
	s_and_saveexec_b64 s[24:25], s[28:29]
	s_cbranch_execz .LBB51_11
.LBB51_79:                              ;   in Loop: Header=BB51_12 Depth=3
	v_cmp_ge_i32_e32 vcc, v30, v54
	s_and_saveexec_b64 s[28:29], vcc
	s_xor_b64 s[60:61], exec, s[28:29]
	s_cbranch_execnz .LBB51_86
; %bb.80:                               ;   in Loop: Header=BB51_12 Depth=3
	s_andn2_saveexec_b64 s[60:61], s[60:61]
	s_cbranch_execnz .LBB51_100
.LBB51_81:                              ;   in Loop: Header=BB51_12 Depth=3
	s_or_b64 exec, exec, s[60:61]
	v_cmp_eq_u32_e32 vcc, v19, v23
	s_and_saveexec_b64 s[28:29], vcc
	s_cbranch_execz .LBB51_83
.LBB51_82:                              ;   in Loop: Header=BB51_12 Depth=3
	v_lshlrev_b64 v[5:6], 4, v[23:24]
	v_mov_b32_e32 v7, s65
	v_add_co_u32_e32 v5, vcc, s64, v5
	v_addc_co_u32_e32 v6, vcc, v7, v6, vcc
	global_load_dwordx4 v[5:8], v[5:6], off
	s_waitcnt vmcnt(0)
	v_add_f64 v[25:26], v[25:26], v[5:6]
	v_add_f64 v[27:28], v[27:28], v[7:8]
.LBB51_83:                              ;   in Loop: Header=BB51_12 Depth=3
	s_or_b64 exec, exec, s[28:29]
	v_add_f64 v[1:2], v[1:2], -v[25:26]
	v_add_f64 v[7:8], v[3:4], -v[27:28]
                                        ; implicit-def: $vgpr5_vgpr6
	v_cmp_gt_f64_e32 vcc, 0, v[1:2]
	v_xor_b32_e32 v3, 0x80000000, v2
	v_xor_b32_e32 v4, 0x80000000, v8
	v_cndmask_b32_e32 v2, v2, v3, vcc
	v_cmp_gt_f64_e32 vcc, 0, v[7:8]
	v_mov_b32_e32 v3, v7
	v_cndmask_b32_e32 v4, v8, v4, vcc
	v_cmp_ngt_f64_e32 vcc, v[1:2], v[3:4]
	s_and_saveexec_b64 s[28:29], vcc
	s_xor_b64 s[28:29], exec, s[28:29]
	s_cbranch_execnz .LBB51_91
; %bb.84:                               ;   in Loop: Header=BB51_12 Depth=3
	s_andn2_saveexec_b64 s[28:29], s[28:29]
	s_cbranch_execnz .LBB51_94
.LBB51_85:                              ;   in Loop: Header=BB51_12 Depth=3
	s_or_b64 exec, exec, s[28:29]
	v_cmp_class_f64_e64 s[30:31], v[5:6], s4
	s_and_saveexec_b64 s[28:29], s[30:31]
	s_cbranch_execz .LBB51_10
	s_branch .LBB51_95
.LBB51_86:                              ;   in Loop: Header=BB51_12 Depth=3
	v_cmp_lt_i32_e32 vcc, v17, v49
	s_and_saveexec_b64 s[62:63], vcc
	s_cbranch_execz .LBB51_99
; %bb.87:                               ;   in Loop: Header=BB51_12 Depth=3
	s_mov_b64 s[76:77], 0
                                        ; implicit-def: $sgpr72_sgpr73
                                        ; implicit-def: $sgpr30_sgpr31
                                        ; implicit-def: $sgpr28_sgpr29
	s_branch .LBB51_89
.LBB51_88:                              ;   in Loop: Header=BB51_89 Depth=4
	s_or_b64 exec, exec, s[74:75]
	s_and_b64 s[74:75], exec, s[30:31]
	s_or_b64 s[76:77], s[74:75], s[76:77]
	s_andn2_b64 s[72:73], s[72:73], exec
	s_and_b64 s[74:75], s[28:29], exec
	s_or_b64 s[72:73], s[72:73], s[74:75]
	s_andn2_b64 exec, exec, s[76:77]
	s_cbranch_execz .LBB51_96
.LBB51_89:                              ;   Parent Loop BB51_3 Depth=1
                                        ;     Parent Loop BB51_7 Depth=2
                                        ;       Parent Loop BB51_12 Depth=3
                                        ; =>      This Inner Loop Header: Depth=4
	v_add_u32_e32 v5, v22, v17
	v_ashrrev_i32_e32 v6, 31, v5
	v_lshlrev_b64 v[7:8], 2, v[5:6]
	v_mov_b32_e32 v9, s49
	v_add_co_u32_e32 v7, vcc, s48, v7
	v_addc_co_u32_e32 v8, vcc, v9, v8, vcc
	global_load_dword v7, v[7:8], off
	s_or_b64 s[28:29], s[28:29], exec
	s_or_b64 s[30:31], s[30:31], exec
	s_waitcnt vmcnt(0)
	v_subrev_u32_e32 v7, s1, v7
	v_cmp_ne_u32_e32 vcc, v7, v23
	s_and_saveexec_b64 s[74:75], vcc
	s_cbranch_execz .LBB51_88
; %bb.90:                               ;   in Loop: Header=BB51_89 Depth=4
	v_add_u32_e32 v17, 1, v17
	v_cmp_ge_i32_e32 vcc, v17, v49
	s_andn2_b64 s[30:31], s[30:31], exec
	s_and_b64 s[82:83], vcc, exec
	s_andn2_b64 s[28:29], s[28:29], exec
	s_or_b64 s[30:31], s[30:31], s[82:83]
	s_branch .LBB51_88
.LBB51_91:                              ;   in Loop: Header=BB51_12 Depth=3
	v_cmp_neq_f64_e32 vcc, 0, v[7:8]
	v_mov_b32_e32 v5, 0
	v_mov_b32_e32 v6, 0
	s_and_saveexec_b64 s[30:31], vcc
	s_cbranch_execz .LBB51_93
; %bb.92:                               ;   in Loop: Header=BB51_12 Depth=3
	v_div_scale_f64 v[5:6], s[60:61], v[3:4], v[3:4], v[1:2]
	v_rcp_f64_e32 v[7:8], v[5:6]
	v_fma_f64 v[9:10], -v[5:6], v[7:8], 1.0
	v_fma_f64 v[7:8], v[7:8], v[9:10], v[7:8]
	v_div_scale_f64 v[9:10], vcc, v[1:2], v[3:4], v[1:2]
	v_fma_f64 v[11:12], -v[5:6], v[7:8], 1.0
	v_fma_f64 v[7:8], v[7:8], v[11:12], v[7:8]
	v_mul_f64 v[11:12], v[9:10], v[7:8]
	v_fma_f64 v[5:6], -v[5:6], v[11:12], v[9:10]
	v_div_fmas_f64 v[5:6], v[5:6], v[7:8], v[11:12]
	v_div_fixup_f64 v[1:2], v[5:6], v[3:4], v[1:2]
	v_fma_f64 v[1:2], v[1:2], v[1:2], 1.0
	v_cmp_gt_f64_e32 vcc, s[86:87], v[1:2]
	v_cndmask_b32_e32 v5, 0, v46, vcc
	v_ldexp_f64 v[1:2], v[1:2], v5
	v_rsq_f64_e32 v[5:6], v[1:2]
	v_mul_f64 v[7:8], v[1:2], v[5:6]
	v_mul_f64 v[5:6], v[5:6], 0.5
	v_fma_f64 v[9:10], -v[5:6], v[7:8], 0.5
	v_fma_f64 v[7:8], v[7:8], v[9:10], v[7:8]
	v_fma_f64 v[5:6], v[5:6], v[9:10], v[5:6]
	v_fma_f64 v[9:10], -v[7:8], v[7:8], v[1:2]
	v_fma_f64 v[7:8], v[9:10], v[5:6], v[7:8]
	v_fma_f64 v[9:10], -v[7:8], v[7:8], v[1:2]
	v_fma_f64 v[5:6], v[9:10], v[5:6], v[7:8]
	v_cndmask_b32_e32 v7, 0, v47, vcc
	v_cmp_class_f64_e32 vcc, v[1:2], v45
	v_ldexp_f64 v[5:6], v[5:6], v7
	v_cndmask_b32_e32 v2, v6, v2, vcc
	v_cndmask_b32_e32 v1, v5, v1, vcc
	v_mul_f64 v[5:6], v[3:4], v[1:2]
.LBB51_93:                              ;   in Loop: Header=BB51_12 Depth=3
	s_or_b64 exec, exec, s[30:31]
                                        ; implicit-def: $vgpr1_vgpr2
                                        ; implicit-def: $vgpr3_vgpr4
	s_andn2_saveexec_b64 s[28:29], s[28:29]
	s_cbranch_execz .LBB51_85
.LBB51_94:                              ;   in Loop: Header=BB51_12 Depth=3
	v_div_scale_f64 v[5:6], s[30:31], v[1:2], v[1:2], v[3:4]
	v_rcp_f64_e32 v[7:8], v[5:6]
	v_fma_f64 v[9:10], -v[5:6], v[7:8], 1.0
	v_fma_f64 v[7:8], v[7:8], v[9:10], v[7:8]
	v_div_scale_f64 v[9:10], vcc, v[3:4], v[1:2], v[3:4]
	v_fma_f64 v[11:12], -v[5:6], v[7:8], 1.0
	v_fma_f64 v[7:8], v[7:8], v[11:12], v[7:8]
	v_mul_f64 v[11:12], v[9:10], v[7:8]
	v_fma_f64 v[5:6], -v[5:6], v[11:12], v[9:10]
	v_div_fmas_f64 v[5:6], v[5:6], v[7:8], v[11:12]
	v_div_fixup_f64 v[3:4], v[5:6], v[1:2], v[3:4]
	v_fma_f64 v[3:4], v[3:4], v[3:4], 1.0
	v_cmp_gt_f64_e32 vcc, s[86:87], v[3:4]
	v_cndmask_b32_e32 v5, 0, v46, vcc
	v_ldexp_f64 v[3:4], v[3:4], v5
	v_rsq_f64_e32 v[5:6], v[3:4]
	v_mul_f64 v[7:8], v[3:4], v[5:6]
	v_mul_f64 v[5:6], v[5:6], 0.5
	v_fma_f64 v[9:10], -v[5:6], v[7:8], 0.5
	v_fma_f64 v[7:8], v[7:8], v[9:10], v[7:8]
	v_fma_f64 v[5:6], v[5:6], v[9:10], v[5:6]
	v_fma_f64 v[9:10], -v[7:8], v[7:8], v[3:4]
	v_fma_f64 v[7:8], v[9:10], v[5:6], v[7:8]
	v_fma_f64 v[9:10], -v[7:8], v[7:8], v[3:4]
	v_fma_f64 v[5:6], v[9:10], v[5:6], v[7:8]
	v_cndmask_b32_e32 v7, 0, v47, vcc
	v_cmp_class_f64_e32 vcc, v[3:4], v45
	v_ldexp_f64 v[5:6], v[5:6], v7
	v_cndmask_b32_e32 v4, v6, v4, vcc
	v_cndmask_b32_e32 v3, v5, v3, vcc
	v_mul_f64 v[5:6], v[1:2], v[3:4]
	s_or_b64 exec, exec, s[28:29]
	v_cmp_class_f64_e64 s[30:31], v[5:6], s4
	s_and_saveexec_b64 s[28:29], s[30:31]
	s_cbranch_execz .LBB51_10
.LBB51_95:                              ;   in Loop: Header=BB51_12 Depth=3
	v_cmp_lt_f64_e32 vcc, v[13:14], v[5:6]
	v_cndmask_b32_e32 v14, v14, v6, vcc
	v_cndmask_b32_e32 v13, v13, v5, vcc
	s_branch .LBB51_10
.LBB51_96:                              ;   in Loop: Header=BB51_12 Depth=3
	s_or_b64 exec, exec, s[76:77]
	s_and_saveexec_b64 s[28:29], s[72:73]
	s_xor_b64 s[28:29], exec, s[28:29]
	s_cbranch_execz .LBB51_98
; %bb.97:                               ;   in Loop: Header=BB51_12 Depth=3
	v_lshlrev_b64 v[5:6], 4, v[5:6]
	v_mov_b32_e32 v7, s51
	v_add_co_u32_e32 v9, vcc, s50, v5
	v_addc_co_u32_e32 v10, vcc, v7, v6, vcc
	v_lshlrev_b64 v[5:6], 4, v[23:24]
	v_mov_b32_e32 v7, s65
	v_add_co_u32_e32 v5, vcc, s64, v5
	v_addc_co_u32_e32 v6, vcc, v7, v6, vcc
	global_load_dwordx4 v[5:8], v[5:6], off
	s_nop 0
	global_load_dwordx4 v[9:12], v[9:10], off
	s_waitcnt vmcnt(0)
	v_mul_f64 v[29:30], v[7:8], -v[11:12]
	v_mul_f64 v[7:8], v[7:8], v[9:10]
	v_fma_f64 v[9:10], v[9:10], v[5:6], v[29:30]
	v_fma_f64 v[5:6], v[11:12], v[5:6], v[7:8]
	v_add_f64 v[25:26], v[25:26], v[9:10]
	v_add_f64 v[27:28], v[27:28], v[5:6]
.LBB51_98:                              ;   in Loop: Header=BB51_12 Depth=3
	s_or_b64 exec, exec, s[28:29]
.LBB51_99:                              ;   in Loop: Header=BB51_12 Depth=3
	s_or_b64 exec, exec, s[62:63]
                                        ; implicit-def: $vgpr30
                                        ; implicit-def: $vgpr29
                                        ; implicit-def: $vgpr54
	s_andn2_saveexec_b64 s[60:61], s[60:61]
	s_cbranch_execz .LBB51_81
.LBB51_100:                             ;   in Loop: Header=BB51_12 Depth=3
	s_mov_b64 s[72:73], 0
                                        ; implicit-def: $sgpr62_sgpr63
                                        ; implicit-def: $sgpr30_sgpr31
                                        ; implicit-def: $sgpr28_sgpr29
	s_branch .LBB51_102
.LBB51_101:                             ;   in Loop: Header=BB51_102 Depth=4
	s_or_b64 exec, exec, s[74:75]
	s_and_b64 s[74:75], exec, s[30:31]
	s_or_b64 s[72:73], s[74:75], s[72:73]
	s_andn2_b64 s[62:63], s[62:63], exec
	s_and_b64 s[74:75], s[28:29], exec
	s_or_b64 s[62:63], s[62:63], s[74:75]
	s_andn2_b64 exec, exec, s[72:73]
	s_cbranch_execz .LBB51_104
.LBB51_102:                             ;   Parent Loop BB51_3 Depth=1
                                        ;     Parent Loop BB51_7 Depth=2
                                        ;       Parent Loop BB51_12 Depth=3
                                        ; =>      This Inner Loop Header: Depth=4
	v_add_u32_e32 v5, v29, v30
	v_ashrrev_i32_e32 v6, 31, v5
	v_lshlrev_b64 v[7:8], 2, v[5:6]
	v_mov_b32_e32 v9, s41
	v_add_co_u32_e32 v7, vcc, s40, v7
	v_addc_co_u32_e32 v8, vcc, v9, v8, vcc
	global_load_dword v7, v[7:8], off
	s_or_b64 s[28:29], s[28:29], exec
	s_or_b64 s[30:31], s[30:31], exec
	s_waitcnt vmcnt(0)
	v_subrev_u32_e32 v7, s2, v7
	v_cmp_ne_u32_e32 vcc, v7, v19
	s_and_saveexec_b64 s[74:75], vcc
	s_cbranch_execz .LBB51_101
; %bb.103:                              ;   in Loop: Header=BB51_102 Depth=4
	v_add_u32_e32 v30, 1, v30
	v_cmp_ge_i32_e32 vcc, v30, v54
	s_andn2_b64 s[30:31], s[30:31], exec
	s_and_b64 s[76:77], vcc, exec
	s_andn2_b64 s[28:29], s[28:29], exec
	s_or_b64 s[30:31], s[30:31], s[76:77]
	s_branch .LBB51_101
.LBB51_104:                             ;   in Loop: Header=BB51_12 Depth=3
	s_or_b64 exec, exec, s[72:73]
	s_and_saveexec_b64 s[28:29], s[62:63]
	s_xor_b64 s[28:29], exec, s[28:29]
	s_cbranch_execz .LBB51_106
; %bb.105:                              ;   in Loop: Header=BB51_12 Depth=3
	v_lshlrev_b64 v[5:6], 4, v[5:6]
	v_mov_b32_e32 v7, s43
	v_add_co_u32_e32 v5, vcc, s42, v5
	v_addc_co_u32_e32 v6, vcc, v7, v6, vcc
	global_load_dwordx4 v[5:8], v[5:6], off
	s_waitcnt vmcnt(0)
	v_add_f64 v[25:26], v[25:26], v[5:6]
	v_add_f64 v[27:28], v[27:28], v[7:8]
.LBB51_106:                             ;   in Loop: Header=BB51_12 Depth=3
	s_or_b64 exec, exec, s[28:29]
	s_or_b64 exec, exec, s[60:61]
	v_cmp_eq_u32_e32 vcc, v19, v23
	s_and_saveexec_b64 s[28:29], vcc
	s_cbranch_execnz .LBB51_82
	s_branch .LBB51_83
.LBB51_107:                             ;   in Loop: Header=BB51_12 Depth=3
	v_cmp_neq_f64_e32 vcc, 0, v[11:12]
	v_mov_b32_e32 v9, 0
	v_mov_b32_e32 v10, 0
	s_and_saveexec_b64 s[30:31], vcc
	s_cbranch_execz .LBB51_109
; %bb.108:                              ;   in Loop: Header=BB51_12 Depth=3
	v_div_scale_f64 v[9:10], s[60:61], v[7:8], v[7:8], v[5:6]
	v_rcp_f64_e32 v[11:12], v[9:10]
	v_fma_f64 v[31:32], -v[9:10], v[11:12], 1.0
	v_fma_f64 v[11:12], v[11:12], v[31:32], v[11:12]
	v_div_scale_f64 v[31:32], vcc, v[5:6], v[7:8], v[5:6]
	v_fma_f64 v[33:34], -v[9:10], v[11:12], 1.0
	v_fma_f64 v[11:12], v[11:12], v[33:34], v[11:12]
	v_mul_f64 v[33:34], v[31:32], v[11:12]
	v_fma_f64 v[9:10], -v[9:10], v[33:34], v[31:32]
	v_div_fmas_f64 v[9:10], v[9:10], v[11:12], v[33:34]
	v_div_fixup_f64 v[5:6], v[9:10], v[7:8], v[5:6]
	v_fma_f64 v[5:6], v[5:6], v[5:6], 1.0
	v_cmp_gt_f64_e32 vcc, s[86:87], v[5:6]
	v_cndmask_b32_e32 v9, 0, v46, vcc
	v_ldexp_f64 v[5:6], v[5:6], v9
	v_rsq_f64_e32 v[9:10], v[5:6]
	v_mul_f64 v[11:12], v[5:6], v[9:10]
	v_mul_f64 v[9:10], v[9:10], 0.5
	v_fma_f64 v[31:32], -v[9:10], v[11:12], 0.5
	v_fma_f64 v[11:12], v[11:12], v[31:32], v[11:12]
	v_fma_f64 v[9:10], v[9:10], v[31:32], v[9:10]
	v_fma_f64 v[31:32], -v[11:12], v[11:12], v[5:6]
	v_fma_f64 v[11:12], v[31:32], v[9:10], v[11:12]
	v_fma_f64 v[31:32], -v[11:12], v[11:12], v[5:6]
	v_fma_f64 v[9:10], v[31:32], v[9:10], v[11:12]
	v_cndmask_b32_e32 v11, 0, v47, vcc
	v_cmp_class_f64_e32 vcc, v[5:6], v45
	v_ldexp_f64 v[9:10], v[9:10], v11
	v_cndmask_b32_e32 v6, v10, v6, vcc
	v_cndmask_b32_e32 v5, v9, v5, vcc
	v_mul_f64 v[9:10], v[7:8], v[5:6]
.LBB51_109:                             ;   in Loop: Header=BB51_12 Depth=3
	s_or_b64 exec, exec, s[30:31]
                                        ; implicit-def: $vgpr5_vgpr6
                                        ; implicit-def: $vgpr7_vgpr8
	s_andn2_saveexec_b64 s[28:29], s[28:29]
	s_cbranch_execz .LBB51_43
.LBB51_110:                             ;   in Loop: Header=BB51_12 Depth=3
	v_div_scale_f64 v[9:10], s[30:31], v[5:6], v[5:6], v[7:8]
	v_rcp_f64_e32 v[11:12], v[9:10]
	v_fma_f64 v[31:32], -v[9:10], v[11:12], 1.0
	v_fma_f64 v[11:12], v[11:12], v[31:32], v[11:12]
	v_div_scale_f64 v[31:32], vcc, v[7:8], v[5:6], v[7:8]
	v_fma_f64 v[33:34], -v[9:10], v[11:12], 1.0
	v_fma_f64 v[11:12], v[11:12], v[33:34], v[11:12]
	v_mul_f64 v[33:34], v[31:32], v[11:12]
	v_fma_f64 v[9:10], -v[9:10], v[33:34], v[31:32]
	v_div_fmas_f64 v[9:10], v[9:10], v[11:12], v[33:34]
	v_div_fixup_f64 v[7:8], v[9:10], v[5:6], v[7:8]
	v_fma_f64 v[7:8], v[7:8], v[7:8], 1.0
	v_cmp_gt_f64_e32 vcc, s[86:87], v[7:8]
	v_cndmask_b32_e32 v9, 0, v46, vcc
	v_ldexp_f64 v[7:8], v[7:8], v9
	v_rsq_f64_e32 v[9:10], v[7:8]
	v_mul_f64 v[11:12], v[7:8], v[9:10]
	v_mul_f64 v[9:10], v[9:10], 0.5
	v_fma_f64 v[31:32], -v[9:10], v[11:12], 0.5
	v_fma_f64 v[11:12], v[11:12], v[31:32], v[11:12]
	v_fma_f64 v[9:10], v[9:10], v[31:32], v[9:10]
	v_fma_f64 v[31:32], -v[11:12], v[11:12], v[7:8]
	v_fma_f64 v[11:12], v[31:32], v[9:10], v[11:12]
	v_fma_f64 v[31:32], -v[11:12], v[11:12], v[7:8]
	v_fma_f64 v[9:10], v[31:32], v[9:10], v[11:12]
	v_cndmask_b32_e32 v11, 0, v47, vcc
	v_cmp_class_f64_e32 vcc, v[7:8], v45
	v_ldexp_f64 v[9:10], v[9:10], v11
	v_cndmask_b32_e32 v8, v10, v8, vcc
	v_cndmask_b32_e32 v7, v9, v7, vcc
	v_mul_f64 v[9:10], v[5:6], v[7:8]
	s_or_b64 exec, exec, s[28:29]
	v_cmp_class_f64_e64 s[30:31], v[9:10], s4
	s_and_saveexec_b64 s[28:29], s[30:31]
	s_cbranch_execnz .LBB51_44
	s_branch .LBB51_45
.LBB51_111:                             ;   in Loop: Header=BB51_12 Depth=3
	v_cmp_neq_f64_e32 vcc, 0, v[11:12]
	v_mov_b32_e32 v9, 0
	v_mov_b32_e32 v10, 0
	s_and_saveexec_b64 s[30:31], vcc
	s_cbranch_execz .LBB51_113
; %bb.112:                              ;   in Loop: Header=BB51_12 Depth=3
	v_div_scale_f64 v[9:10], s[62:63], v[7:8], v[7:8], v[5:6]
	v_rcp_f64_e32 v[11:12], v[9:10]
	v_fma_f64 v[31:32], -v[9:10], v[11:12], 1.0
	v_fma_f64 v[11:12], v[11:12], v[31:32], v[11:12]
	v_div_scale_f64 v[31:32], vcc, v[5:6], v[7:8], v[5:6]
	v_fma_f64 v[33:34], -v[9:10], v[11:12], 1.0
	v_fma_f64 v[11:12], v[11:12], v[33:34], v[11:12]
	v_mul_f64 v[33:34], v[31:32], v[11:12]
	v_fma_f64 v[9:10], -v[9:10], v[33:34], v[31:32]
	v_div_fmas_f64 v[9:10], v[9:10], v[11:12], v[33:34]
	v_div_fixup_f64 v[5:6], v[9:10], v[7:8], v[5:6]
	v_fma_f64 v[5:6], v[5:6], v[5:6], 1.0
	v_cmp_gt_f64_e32 vcc, s[86:87], v[5:6]
	v_cndmask_b32_e32 v9, 0, v46, vcc
	v_ldexp_f64 v[5:6], v[5:6], v9
	v_rsq_f64_e32 v[9:10], v[5:6]
	v_mul_f64 v[11:12], v[5:6], v[9:10]
	v_mul_f64 v[9:10], v[9:10], 0.5
	v_fma_f64 v[31:32], -v[9:10], v[11:12], 0.5
	v_fma_f64 v[11:12], v[11:12], v[31:32], v[11:12]
	v_fma_f64 v[9:10], v[9:10], v[31:32], v[9:10]
	v_fma_f64 v[31:32], -v[11:12], v[11:12], v[5:6]
	v_fma_f64 v[11:12], v[31:32], v[9:10], v[11:12]
	v_fma_f64 v[31:32], -v[11:12], v[11:12], v[5:6]
	v_fma_f64 v[9:10], v[31:32], v[9:10], v[11:12]
	v_cndmask_b32_e32 v11, 0, v47, vcc
	v_cmp_class_f64_e32 vcc, v[5:6], v45
	v_ldexp_f64 v[9:10], v[9:10], v11
	v_cndmask_b32_e32 v6, v10, v6, vcc
	v_cndmask_b32_e32 v5, v9, v5, vcc
	v_mul_f64 v[9:10], v[7:8], v[5:6]
.LBB51_113:                             ;   in Loop: Header=BB51_12 Depth=3
	s_or_b64 exec, exec, s[30:31]
                                        ; implicit-def: $vgpr5_vgpr6
                                        ; implicit-def: $vgpr7_vgpr8
	s_andn2_saveexec_b64 s[28:29], s[28:29]
	s_cbranch_execz .LBB51_73
.LBB51_114:                             ;   in Loop: Header=BB51_12 Depth=3
	v_div_scale_f64 v[9:10], s[30:31], v[5:6], v[5:6], v[7:8]
	v_rcp_f64_e32 v[11:12], v[9:10]
	v_fma_f64 v[31:32], -v[9:10], v[11:12], 1.0
	v_fma_f64 v[11:12], v[11:12], v[31:32], v[11:12]
	v_div_scale_f64 v[31:32], vcc, v[7:8], v[5:6], v[7:8]
	v_fma_f64 v[33:34], -v[9:10], v[11:12], 1.0
	v_fma_f64 v[11:12], v[11:12], v[33:34], v[11:12]
	v_mul_f64 v[33:34], v[31:32], v[11:12]
	v_fma_f64 v[9:10], -v[9:10], v[33:34], v[31:32]
	v_div_fmas_f64 v[9:10], v[9:10], v[11:12], v[33:34]
	v_div_fixup_f64 v[7:8], v[9:10], v[5:6], v[7:8]
	v_fma_f64 v[7:8], v[7:8], v[7:8], 1.0
	v_cmp_gt_f64_e32 vcc, s[86:87], v[7:8]
	v_cndmask_b32_e32 v9, 0, v46, vcc
	v_ldexp_f64 v[7:8], v[7:8], v9
	v_rsq_f64_e32 v[9:10], v[7:8]
	v_mul_f64 v[11:12], v[7:8], v[9:10]
	v_mul_f64 v[9:10], v[9:10], 0.5
	v_fma_f64 v[31:32], -v[9:10], v[11:12], 0.5
	v_fma_f64 v[11:12], v[11:12], v[31:32], v[11:12]
	v_fma_f64 v[9:10], v[9:10], v[31:32], v[9:10]
	v_fma_f64 v[31:32], -v[11:12], v[11:12], v[7:8]
	v_fma_f64 v[11:12], v[31:32], v[9:10], v[11:12]
	v_fma_f64 v[31:32], -v[11:12], v[11:12], v[7:8]
	v_fma_f64 v[9:10], v[31:32], v[9:10], v[11:12]
	v_cndmask_b32_e32 v11, 0, v47, vcc
	v_cmp_class_f64_e32 vcc, v[7:8], v45
	v_ldexp_f64 v[9:10], v[9:10], v11
	v_cndmask_b32_e32 v8, v10, v8, vcc
	v_cndmask_b32_e32 v7, v9, v7, vcc
	v_mul_f64 v[9:10], v[5:6], v[7:8]
	s_or_b64 exec, exec, s[28:29]
	v_cmp_class_f64_e64 s[30:31], v[9:10], s4
	s_and_saveexec_b64 s[28:29], s[30:31]
	s_cbranch_execnz .LBB51_74
	s_branch .LBB51_75
.LBB51_115:                             ;   in Loop: Header=BB51_12 Depth=3
	v_cmp_neq_f64_e32 vcc, 0, v[11:12]
	v_mov_b32_e32 v9, 0
	v_mov_b32_e32 v10, 0
	s_and_saveexec_b64 s[30:31], vcc
	s_cbranch_execz .LBB51_117
; %bb.116:                              ;   in Loop: Header=BB51_12 Depth=3
	v_div_scale_f64 v[9:10], s[62:63], v[7:8], v[7:8], v[5:6]
	v_rcp_f64_e32 v[11:12], v[9:10]
	v_fma_f64 v[31:32], -v[9:10], v[11:12], 1.0
	v_fma_f64 v[11:12], v[11:12], v[31:32], v[11:12]
	v_div_scale_f64 v[31:32], vcc, v[5:6], v[7:8], v[5:6]
	v_fma_f64 v[33:34], -v[9:10], v[11:12], 1.0
	v_fma_f64 v[11:12], v[11:12], v[33:34], v[11:12]
	v_mul_f64 v[33:34], v[31:32], v[11:12]
	v_fma_f64 v[9:10], -v[9:10], v[33:34], v[31:32]
	v_div_fmas_f64 v[9:10], v[9:10], v[11:12], v[33:34]
	v_div_fixup_f64 v[5:6], v[9:10], v[7:8], v[5:6]
	v_fma_f64 v[5:6], v[5:6], v[5:6], 1.0
	v_cmp_gt_f64_e32 vcc, s[86:87], v[5:6]
	v_cndmask_b32_e32 v9, 0, v46, vcc
	v_ldexp_f64 v[5:6], v[5:6], v9
	v_rsq_f64_e32 v[9:10], v[5:6]
	v_mul_f64 v[11:12], v[5:6], v[9:10]
	v_mul_f64 v[9:10], v[9:10], 0.5
	v_fma_f64 v[31:32], -v[9:10], v[11:12], 0.5
	v_fma_f64 v[11:12], v[11:12], v[31:32], v[11:12]
	v_fma_f64 v[9:10], v[9:10], v[31:32], v[9:10]
	v_fma_f64 v[31:32], -v[11:12], v[11:12], v[5:6]
	v_fma_f64 v[11:12], v[31:32], v[9:10], v[11:12]
	v_fma_f64 v[31:32], -v[11:12], v[11:12], v[5:6]
	v_fma_f64 v[9:10], v[31:32], v[9:10], v[11:12]
	v_cndmask_b32_e32 v11, 0, v47, vcc
	v_cmp_class_f64_e32 vcc, v[5:6], v45
	v_ldexp_f64 v[9:10], v[9:10], v11
	v_cndmask_b32_e32 v6, v10, v6, vcc
	v_cndmask_b32_e32 v5, v9, v5, vcc
	v_mul_f64 v[9:10], v[7:8], v[5:6]
.LBB51_117:                             ;   in Loop: Header=BB51_12 Depth=3
	s_or_b64 exec, exec, s[30:31]
                                        ; implicit-def: $vgpr5_vgpr6
                                        ; implicit-def: $vgpr7_vgpr8
	s_andn2_saveexec_b64 s[28:29], s[28:29]
	s_cbranch_execz .LBB51_57
.LBB51_118:                             ;   in Loop: Header=BB51_12 Depth=3
	v_div_scale_f64 v[9:10], s[30:31], v[5:6], v[5:6], v[7:8]
	v_rcp_f64_e32 v[11:12], v[9:10]
	v_fma_f64 v[31:32], -v[9:10], v[11:12], 1.0
	v_fma_f64 v[11:12], v[11:12], v[31:32], v[11:12]
	v_div_scale_f64 v[31:32], vcc, v[7:8], v[5:6], v[7:8]
	v_fma_f64 v[33:34], -v[9:10], v[11:12], 1.0
	v_fma_f64 v[11:12], v[11:12], v[33:34], v[11:12]
	v_mul_f64 v[33:34], v[31:32], v[11:12]
	v_fma_f64 v[9:10], -v[9:10], v[33:34], v[31:32]
	v_div_fmas_f64 v[9:10], v[9:10], v[11:12], v[33:34]
	v_div_fixup_f64 v[7:8], v[9:10], v[5:6], v[7:8]
	v_fma_f64 v[7:8], v[7:8], v[7:8], 1.0
	v_cmp_gt_f64_e32 vcc, s[86:87], v[7:8]
	v_cndmask_b32_e32 v9, 0, v46, vcc
	v_ldexp_f64 v[7:8], v[7:8], v9
	v_rsq_f64_e32 v[9:10], v[7:8]
	v_mul_f64 v[11:12], v[7:8], v[9:10]
	v_mul_f64 v[9:10], v[9:10], 0.5
	v_fma_f64 v[31:32], -v[9:10], v[11:12], 0.5
	v_fma_f64 v[11:12], v[11:12], v[31:32], v[11:12]
	v_fma_f64 v[9:10], v[9:10], v[31:32], v[9:10]
	v_fma_f64 v[31:32], -v[11:12], v[11:12], v[7:8]
	v_fma_f64 v[11:12], v[31:32], v[9:10], v[11:12]
	v_fma_f64 v[31:32], -v[11:12], v[11:12], v[7:8]
	v_fma_f64 v[9:10], v[31:32], v[9:10], v[11:12]
	v_cndmask_b32_e32 v11, 0, v47, vcc
	v_cmp_class_f64_e32 vcc, v[7:8], v45
	v_ldexp_f64 v[9:10], v[9:10], v11
	v_cndmask_b32_e32 v8, v10, v8, vcc
	v_cndmask_b32_e32 v7, v9, v7, vcc
	v_mul_f64 v[9:10], v[5:6], v[7:8]
	s_or_b64 exec, exec, s[28:29]
	v_cmp_class_f64_e64 s[30:31], v[9:10], s4
	s_and_saveexec_b64 s[28:29], s[30:31]
	s_cbranch_execnz .LBB51_58
	s_branch .LBB51_59
.LBB51_119:                             ;   in Loop: Header=BB51_3 Depth=1
	s_and_b64 vcc, exec, s[34:35]
	s_cbranch_vccz .LBB51_139
; %bb.120:                              ;   in Loop: Header=BB51_3 Depth=1
	v_mov_b32_dpp v1, v15 row_shr:1 row_mask:0xf bank_mask:0xf
	v_mov_b32_dpp v2, v16 row_shr:1 row_mask:0xf bank_mask:0xf
	v_cmp_lt_f64_e32 vcc, v[15:16], v[1:2]
	v_cndmask_b32_e32 v2, v16, v2, vcc
	v_cndmask_b32_e32 v1, v15, v1, vcc
	s_nop 0
	v_mov_b32_dpp v5, v2 row_shr:2 row_mask:0xf bank_mask:0xf
	v_mov_b32_dpp v3, v1 row_shr:2 row_mask:0xf bank_mask:0xf
	s_mov_b64 s[22:23], exec
	v_readlane_b32 s24, v61, 16
	v_readlane_b32 s25, v61, 17
	s_and_b64 s[24:25], s[22:23], s[24:25]
	s_mov_b64 exec, s[24:25]
	s_cbranch_execz .LBB51_122
; %bb.121:                              ;   in Loop: Header=BB51_3 Depth=1
	v_mov_b32_e32 v4, v5
	v_cmp_lt_f64_e32 vcc, v[1:2], v[3:4]
	v_cndmask_b32_e32 v2, v2, v5, vcc
	v_cndmask_b32_e32 v1, v1, v3, vcc
	ds_write_b64 v42, v[1:2]
.LBB51_122:                             ;   in Loop: Header=BB51_3 Depth=1
	s_or_b64 exec, exec, s[22:23]
	s_waitcnt vmcnt(0) lgkmcnt(0)
	s_barrier
	s_mov_b64 s[22:23], exec
	v_readlane_b32 s24, v61, 18
	v_readlane_b32 s25, v61, 19
	s_and_b64 s[24:25], s[22:23], s[24:25]
	s_mov_b64 exec, s[24:25]
	s_cbranch_execz .LBB51_124
; %bb.123:                              ;   in Loop: Header=BB51_3 Depth=1
	ds_read2st64_b64 v[1:4], v40 offset1:2
	s_waitcnt lgkmcnt(0)
	v_cmp_lt_f64_e32 vcc, v[1:2], v[3:4]
	v_cndmask_b32_e32 v2, v2, v4, vcc
	v_cndmask_b32_e32 v1, v1, v3, vcc
	ds_write_b64 v40, v[1:2]
.LBB51_124:                             ;   in Loop: Header=BB51_3 Depth=1
	s_or_b64 exec, exec, s[22:23]
	s_waitcnt lgkmcnt(0)
	s_barrier
	s_and_saveexec_b64 s[22:23], s[6:7]
	s_cbranch_execz .LBB51_126
; %bb.125:                              ;   in Loop: Header=BB51_3 Depth=1
	ds_read2st64_b64 v[1:4], v40 offset1:1
	s_waitcnt lgkmcnt(0)
	v_cmp_lt_f64_e32 vcc, v[1:2], v[3:4]
	v_cndmask_b32_e32 v2, v2, v4, vcc
	v_cndmask_b32_e32 v1, v1, v3, vcc
	ds_write_b64 v40, v[1:2]
.LBB51_126:                             ;   in Loop: Header=BB51_3 Depth=1
	s_or_b64 exec, exec, s[22:23]
	s_waitcnt lgkmcnt(0)
	s_barrier
	s_and_saveexec_b64 s[22:23], s[8:9]
	s_cbranch_execz .LBB51_128
; %bb.127:                              ;   in Loop: Header=BB51_3 Depth=1
	ds_read2_b64 v[1:4], v40 offset1:32
	s_waitcnt lgkmcnt(0)
	v_cmp_lt_f64_e32 vcc, v[1:2], v[3:4]
	v_cndmask_b32_e32 v2, v2, v4, vcc
	v_cndmask_b32_e32 v1, v1, v3, vcc
	ds_write_b64 v40, v[1:2]
.LBB51_128:                             ;   in Loop: Header=BB51_3 Depth=1
	s_or_b64 exec, exec, s[22:23]
	s_waitcnt lgkmcnt(0)
	s_barrier
	s_and_saveexec_b64 s[22:23], s[10:11]
	s_cbranch_execz .LBB51_130
; %bb.129:                              ;   in Loop: Header=BB51_3 Depth=1
	ds_read2_b64 v[1:4], v40 offset1:16
	s_waitcnt lgkmcnt(0)
	v_cmp_lt_f64_e32 vcc, v[1:2], v[3:4]
	v_cndmask_b32_e32 v2, v2, v4, vcc
	v_cndmask_b32_e32 v1, v1, v3, vcc
	ds_write_b64 v40, v[1:2]
.LBB51_130:                             ;   in Loop: Header=BB51_3 Depth=1
	;; [unrolled: 13-line block ×5, first 2 shown]
	s_or_b64 exec, exec, s[22:23]
	s_waitcnt lgkmcnt(0)
	s_barrier
	s_and_saveexec_b64 s[22:23], s[18:19]
	s_cbranch_execz .LBB51_138
; %bb.137:                              ;   in Loop: Header=BB51_3 Depth=1
	ds_read_b128 v[1:4], v18
	s_waitcnt lgkmcnt(0)
	v_cmp_lt_f64_e32 vcc, v[1:2], v[3:4]
	v_cndmask_b32_e32 v2, v2, v4, vcc
	v_cndmask_b32_e32 v1, v1, v3, vcc
	ds_write_b64 v18, v[1:2]
.LBB51_138:                             ;   in Loop: Header=BB51_3 Depth=1
	s_or_b64 exec, exec, s[22:23]
	v_readlane_b32 s22, v61, 10
	v_readlane_b32 s23, v61, 11
	s_waitcnt lgkmcnt(0)
	s_barrier
	ds_read_b64 v[1:2], v18
	s_load_dwordx2 s[22:23], s[22:23], 0x0
	s_waitcnt lgkmcnt(0)
	v_div_scale_f64 v[3:4], s[24:25], s[22:23], s[22:23], v[1:2]
	v_div_scale_f64 v[9:10], vcc, v[1:2], s[22:23], v[1:2]
	v_rcp_f64_e32 v[5:6], v[3:4]
	v_fma_f64 v[7:8], -v[3:4], v[5:6], 1.0
	v_fma_f64 v[5:6], v[5:6], v[7:8], v[5:6]
	v_fma_f64 v[7:8], -v[3:4], v[5:6], 1.0
	v_fma_f64 v[5:6], v[5:6], v[7:8], v[5:6]
	v_mul_f64 v[7:8], v[9:10], v[5:6]
	v_fma_f64 v[3:4], -v[3:4], v[7:8], v[9:10]
	v_div_fmas_f64 v[3:4], v[3:4], v[5:6], v[7:8]
	v_div_fixup_f64 v[15:16], v[3:4], s[22:23], v[1:2]
.LBB51_139:                             ;   in Loop: Header=BB51_3 Depth=1
	s_andn2_b64 vcc, exec, s[26:27]
	s_cbranch_vccnz .LBB51_159
; %bb.140:                              ;   in Loop: Header=BB51_3 Depth=1
	v_mov_b32_dpp v1, v13 row_shr:1 row_mask:0xf bank_mask:0xf
	v_mov_b32_dpp v2, v14 row_shr:1 row_mask:0xf bank_mask:0xf
	v_cmp_lt_f64_e32 vcc, v[13:14], v[1:2]
	v_cndmask_b32_e32 v2, v14, v2, vcc
	v_cndmask_b32_e32 v1, v13, v1, vcc
	s_nop 0
	v_mov_b32_dpp v5, v2 row_shr:2 row_mask:0xf bank_mask:0xf
	v_mov_b32_dpp v3, v1 row_shr:2 row_mask:0xf bank_mask:0xf
	s_mov_b64 s[22:23], exec
	v_readlane_b32 s24, v61, 16
	v_readlane_b32 s25, v61, 17
	s_and_b64 s[24:25], s[22:23], s[24:25]
	s_mov_b64 exec, s[24:25]
	s_cbranch_execz .LBB51_142
; %bb.141:                              ;   in Loop: Header=BB51_3 Depth=1
	v_mov_b32_e32 v4, v5
	v_cmp_lt_f64_e32 vcc, v[1:2], v[3:4]
	v_cndmask_b32_e32 v2, v2, v5, vcc
	v_cndmask_b32_e32 v1, v1, v3, vcc
	ds_write_b64 v42, v[1:2]
.LBB51_142:                             ;   in Loop: Header=BB51_3 Depth=1
	s_or_b64 exec, exec, s[22:23]
	s_waitcnt vmcnt(0) lgkmcnt(0)
	s_barrier
	s_mov_b64 s[22:23], exec
	v_readlane_b32 s24, v61, 18
	v_readlane_b32 s25, v61, 19
	s_and_b64 s[24:25], s[22:23], s[24:25]
	s_mov_b64 exec, s[24:25]
	s_cbranch_execz .LBB51_144
; %bb.143:                              ;   in Loop: Header=BB51_3 Depth=1
	ds_read2st64_b64 v[1:4], v40 offset1:2
	s_waitcnt lgkmcnt(0)
	v_cmp_lt_f64_e32 vcc, v[1:2], v[3:4]
	v_cndmask_b32_e32 v2, v2, v4, vcc
	v_cndmask_b32_e32 v1, v1, v3, vcc
	ds_write_b64 v40, v[1:2]
.LBB51_144:                             ;   in Loop: Header=BB51_3 Depth=1
	s_or_b64 exec, exec, s[22:23]
	s_waitcnt lgkmcnt(0)
	s_barrier
	s_and_saveexec_b64 s[22:23], s[6:7]
	s_cbranch_execz .LBB51_146
; %bb.145:                              ;   in Loop: Header=BB51_3 Depth=1
	ds_read2st64_b64 v[1:4], v40 offset1:1
	s_waitcnt lgkmcnt(0)
	v_cmp_lt_f64_e32 vcc, v[1:2], v[3:4]
	v_cndmask_b32_e32 v2, v2, v4, vcc
	v_cndmask_b32_e32 v1, v1, v3, vcc
	ds_write_b64 v40, v[1:2]
.LBB51_146:                             ;   in Loop: Header=BB51_3 Depth=1
	s_or_b64 exec, exec, s[22:23]
	s_waitcnt lgkmcnt(0)
	s_barrier
	s_and_saveexec_b64 s[22:23], s[8:9]
	s_cbranch_execz .LBB51_148
; %bb.147:                              ;   in Loop: Header=BB51_3 Depth=1
	ds_read2_b64 v[1:4], v40 offset1:32
	s_waitcnt lgkmcnt(0)
	v_cmp_lt_f64_e32 vcc, v[1:2], v[3:4]
	v_cndmask_b32_e32 v2, v2, v4, vcc
	v_cndmask_b32_e32 v1, v1, v3, vcc
	ds_write_b64 v40, v[1:2]
.LBB51_148:                             ;   in Loop: Header=BB51_3 Depth=1
	s_or_b64 exec, exec, s[22:23]
	s_waitcnt lgkmcnt(0)
	s_barrier
	s_and_saveexec_b64 s[22:23], s[10:11]
	s_cbranch_execz .LBB51_150
; %bb.149:                              ;   in Loop: Header=BB51_3 Depth=1
	ds_read2_b64 v[1:4], v40 offset1:16
	s_waitcnt lgkmcnt(0)
	v_cmp_lt_f64_e32 vcc, v[1:2], v[3:4]
	v_cndmask_b32_e32 v2, v2, v4, vcc
	v_cndmask_b32_e32 v1, v1, v3, vcc
	ds_write_b64 v40, v[1:2]
.LBB51_150:                             ;   in Loop: Header=BB51_3 Depth=1
	s_or_b64 exec, exec, s[22:23]
	s_waitcnt lgkmcnt(0)
	s_barrier
	s_and_saveexec_b64 s[22:23], s[12:13]
	s_cbranch_execz .LBB51_152
; %bb.151:                              ;   in Loop: Header=BB51_3 Depth=1
	ds_read2_b64 v[1:4], v40 offset1:8
	s_waitcnt lgkmcnt(0)
	v_cmp_lt_f64_e32 vcc, v[1:2], v[3:4]
	v_cndmask_b32_e32 v2, v2, v4, vcc
	v_cndmask_b32_e32 v1, v1, v3, vcc
	ds_write_b64 v40, v[1:2]
.LBB51_152:                             ;   in Loop: Header=BB51_3 Depth=1
	s_or_b64 exec, exec, s[22:23]
	s_waitcnt lgkmcnt(0)
	s_barrier
	s_and_saveexec_b64 s[22:23], s[14:15]
	s_cbranch_execz .LBB51_154
; %bb.153:                              ;   in Loop: Header=BB51_3 Depth=1
	ds_read2_b64 v[1:4], v40 offset1:4
	s_waitcnt lgkmcnt(0)
	v_cmp_lt_f64_e32 vcc, v[1:2], v[3:4]
	v_cndmask_b32_e32 v2, v2, v4, vcc
	v_cndmask_b32_e32 v1, v1, v3, vcc
	ds_write_b64 v40, v[1:2]
.LBB51_154:                             ;   in Loop: Header=BB51_3 Depth=1
	s_or_b64 exec, exec, s[22:23]
	s_waitcnt lgkmcnt(0)
	s_barrier
	s_and_saveexec_b64 s[22:23], s[16:17]
	s_cbranch_execz .LBB51_156
; %bb.155:                              ;   in Loop: Header=BB51_3 Depth=1
	ds_read2_b64 v[1:4], v40 offset1:2
	s_waitcnt lgkmcnt(0)
	v_cmp_lt_f64_e32 vcc, v[1:2], v[3:4]
	v_cndmask_b32_e32 v2, v2, v4, vcc
	v_cndmask_b32_e32 v1, v1, v3, vcc
	ds_write_b64 v40, v[1:2]
.LBB51_156:                             ;   in Loop: Header=BB51_3 Depth=1
	s_or_b64 exec, exec, s[22:23]
	s_waitcnt lgkmcnt(0)
	s_barrier
	s_and_saveexec_b64 s[22:23], s[18:19]
	s_cbranch_execz .LBB51_158
; %bb.157:                              ;   in Loop: Header=BB51_3 Depth=1
	ds_read_b128 v[1:4], v18
	s_waitcnt lgkmcnt(0)
	v_cmp_lt_f64_e32 vcc, v[1:2], v[3:4]
	v_cndmask_b32_e32 v2, v2, v4, vcc
	v_cndmask_b32_e32 v1, v1, v3, vcc
	ds_write_b64 v18, v[1:2]
.LBB51_158:                             ;   in Loop: Header=BB51_3 Depth=1
	s_or_b64 exec, exec, s[22:23]
	v_readlane_b32 s22, v61, 10
	v_readlane_b32 s23, v61, 11
	s_waitcnt lgkmcnt(0)
	s_barrier
	ds_read_b64 v[1:2], v18
	s_load_dwordx2 s[22:23], s[22:23], 0x0
	s_waitcnt lgkmcnt(0)
	v_div_scale_f64 v[3:4], s[24:25], s[22:23], s[22:23], v[1:2]
	v_div_scale_f64 v[9:10], vcc, v[1:2], s[22:23], v[1:2]
	v_rcp_f64_e32 v[5:6], v[3:4]
	v_fma_f64 v[7:8], -v[3:4], v[5:6], 1.0
	v_fma_f64 v[5:6], v[5:6], v[7:8], v[5:6]
	v_fma_f64 v[7:8], -v[3:4], v[5:6], 1.0
	v_fma_f64 v[5:6], v[5:6], v[7:8], v[5:6]
	v_mul_f64 v[7:8], v[9:10], v[5:6]
	v_fma_f64 v[3:4], -v[3:4], v[7:8], v[9:10]
	v_div_fmas_f64 v[3:4], v[3:4], v[5:6], v[7:8]
	v_div_fixup_f64 v[13:14], v[3:4], s[22:23], v[1:2]
.LBB51_159:                             ;   in Loop: Header=BB51_3 Depth=1
	s_mov_b64 s[22:23], exec
	v_readlane_b32 s24, v61, 14
	v_readlane_b32 s25, v61, 15
	s_and_b64 s[24:25], s[22:23], s[24:25]
	s_mov_b64 exec, s[24:25]
	s_cbranch_execz .LBB51_171
; %bb.160:                              ;   in Loop: Header=BB51_3 Depth=1
	s_mov_b64 s[24:25], 0
	v_mov_b32_e32 v1, v39
	s_branch .LBB51_162
.LBB51_161:                             ;   in Loop: Header=BB51_162 Depth=2
	s_or_b64 exec, exec, s[60:61]
	v_add_u32_e32 v1, 0x100, v1
	v_cmp_le_u32_e32 vcc, s3, v1
	s_or_b64 s[24:25], vcc, s[24:25]
	s_andn2_b64 exec, exec, s[24:25]
	s_cbranch_execz .LBB51_171
.LBB51_162:                             ;   Parent Loop BB51_3 Depth=1
                                        ; =>  This Loop Header: Depth=2
                                        ;       Child Loop BB51_165 Depth 3
                                        ;       Child Loop BB51_168 Depth 3
	v_cmp_gt_i32_e32 vcc, s33, v1
	s_and_saveexec_b64 s[60:61], vcc
	s_cbranch_execz .LBB51_161
; %bb.163:                              ;   in Loop: Header=BB51_162 Depth=2
	v_ashrrev_i32_e32 v2, 31, v1
	v_lshlrev_b64 v[3:4], 2, v[1:2]
	v_mov_b32_e32 v6, s45
	v_add_co_u32_e32 v5, vcc, s44, v3
	v_addc_co_u32_e32 v6, vcc, v6, v4, vcc
	global_load_dword v7, v[5:6], off
	v_mov_b32_e32 v6, s47
	v_add_co_u32_e32 v5, vcc, s46, v3
	v_addc_co_u32_e32 v6, vcc, v6, v4, vcc
	global_load_dword v6, v[5:6], off
	s_waitcnt vmcnt(1)
	v_add_u32_e32 v5, v43, v7
	s_waitcnt vmcnt(0)
	v_subrev_u32_e32 v10, s1, v6
	v_cmp_lt_i32_e32 vcc, v5, v10
	s_and_saveexec_b64 s[28:29], vcc
	s_cbranch_execz .LBB51_166
; %bb.164:                              ;   in Loop: Header=BB51_162 Depth=2
	v_ashrrev_i32_e32 v6, 31, v5
	v_lshlrev_b64 v[8:9], 4, v[5:6]
	v_mov_b32_e32 v7, s51
	v_add_co_u32_e32 v6, vcc, s50, v8
	v_addc_co_u32_e32 v7, vcc, v7, v9, vcc
	v_mov_b32_e32 v11, s79
	v_add_co_u32_e32 v8, vcc, s78, v8
	v_addc_co_u32_e32 v9, vcc, v11, v9, vcc
	s_mov_b64 s[30:31], 0
.LBB51_165:                             ;   Parent Loop BB51_3 Depth=1
                                        ;     Parent Loop BB51_162 Depth=2
                                        ; =>    This Inner Loop Header: Depth=3
	global_load_dwordx4 v[19:22], v[8:9], off
	v_add_co_u32_e32 v8, vcc, 64, v8
	v_add_u32_e32 v5, 4, v5
	v_addc_co_u32_e32 v9, vcc, 0, v9, vcc
	v_cmp_ge_i32_e32 vcc, v5, v10
	s_or_b64 s[30:31], vcc, s[30:31]
	s_waitcnt vmcnt(0)
	global_store_dwordx4 v[6:7], v[19:22], off
	v_add_co_u32_e32 v6, vcc, 64, v6
	v_addc_co_u32_e32 v7, vcc, 0, v7, vcc
	s_andn2_b64 exec, exec, s[30:31]
	s_cbranch_execnz .LBB51_165
.LBB51_166:                             ;   in Loop: Header=BB51_162 Depth=2
	s_or_b64 exec, exec, s[28:29]
	v_mov_b32_e32 v6, s37
	v_add_co_u32_e32 v5, vcc, s36, v3
	v_addc_co_u32_e32 v6, vcc, v6, v4, vcc
	global_load_dword v5, v[5:6], off
	v_mov_b32_e32 v6, s39
	v_add_co_u32_e32 v3, vcc, s38, v3
	v_addc_co_u32_e32 v4, vcc, v6, v4, vcc
	global_load_dword v4, v[3:4], off
	s_waitcnt vmcnt(1)
	v_add_u32_e32 v3, v44, v5
	s_waitcnt vmcnt(0)
	v_subrev_u32_e32 v8, s2, v4
	v_cmp_lt_i32_e32 vcc, v3, v8
	s_and_saveexec_b64 s[28:29], vcc
	s_cbranch_execz .LBB51_169
; %bb.167:                              ;   in Loop: Header=BB51_162 Depth=2
	v_ashrrev_i32_e32 v4, 31, v3
	v_lshlrev_b64 v[6:7], 4, v[3:4]
	v_mov_b32_e32 v5, s43
	v_add_co_u32_e32 v4, vcc, s42, v6
	v_addc_co_u32_e32 v5, vcc, v5, v7, vcc
	v_mov_b32_e32 v9, s81
	v_add_co_u32_e32 v6, vcc, s80, v6
	v_addc_co_u32_e32 v7, vcc, v9, v7, vcc
	s_mov_b64 s[30:31], 0
.LBB51_168:                             ;   Parent Loop BB51_3 Depth=1
                                        ;     Parent Loop BB51_162 Depth=2
                                        ; =>    This Inner Loop Header: Depth=3
	global_load_dwordx4 v[9:12], v[6:7], off
	v_add_co_u32_e32 v6, vcc, 64, v6
	v_add_u32_e32 v3, 4, v3
	v_addc_co_u32_e32 v7, vcc, 0, v7, vcc
	v_cmp_ge_i32_e32 vcc, v3, v8
	s_or_b64 s[30:31], vcc, s[30:31]
	s_waitcnt vmcnt(0)
	global_store_dwordx4 v[4:5], v[9:12], off
	v_add_co_u32_e32 v4, vcc, 64, v4
	v_addc_co_u32_e32 v5, vcc, 0, v5, vcc
	s_andn2_b64 exec, exec, s[30:31]
	s_cbranch_execnz .LBB51_168
.LBB51_169:                             ;   in Loop: Header=BB51_162 Depth=2
	s_or_b64 exec, exec, s[28:29]
	s_and_b64 exec, exec, s[20:21]
	s_cbranch_execz .LBB51_161
; %bb.170:                              ;   in Loop: Header=BB51_162 Depth=2
	v_lshlrev_b64 v[6:7], 4, v[1:2]
	v_mov_b32_e32 v3, s67
	v_add_co_u32_e32 v2, vcc, s66, v6
	v_addc_co_u32_e32 v3, vcc, v3, v7, vcc
	global_load_dwordx4 v[2:5], v[2:3], off
	v_mov_b32_e32 v8, s65
	v_add_co_u32_e32 v6, vcc, s64, v6
	v_addc_co_u32_e32 v7, vcc, v8, v7, vcc
	s_waitcnt vmcnt(0)
	global_store_dwordx4 v[6:7], v[2:5], off
	s_branch .LBB51_161
.LBB51_171:                             ;   in Loop: Header=BB51_3 Depth=1
	s_or_b64 exec, exec, s[22:23]
	s_mov_b64 s[24:25], -1
	s_and_b64 vcc, exec, s[68:69]
	s_mov_b64 s[28:29], -1
	s_cbranch_vccz .LBB51_181
; %bb.172:                              ;   in Loop: Header=BB51_3 Depth=1
	v_readlane_b32 s28, v61, 20
	v_readlane_b32 s29, v61, 21
	s_mov_b64 s[22:23], -1
	s_and_b64 vcc, exec, s[28:29]
                                        ; implicit-def: $sgpr28_sgpr29
	s_cbranch_vccz .LBB51_178
; %bb.173:                              ;   in Loop: Header=BB51_3 Depth=1
	v_readlane_b32 s28, v61, 12
	v_readlane_b32 s29, v61, 13
	s_and_b64 vcc, exec, s[28:29]
                                        ; implicit-def: $sgpr28_sgpr29
	s_cbranch_vccz .LBB51_175
; %bb.174:                              ;   in Loop: Header=BB51_3 Depth=1
	v_readlane_b32 s28, v61, 0
	v_readlane_b32 s29, v61, 1
	;; [unrolled: 1-line block ×4, first 2 shown]
	v_cmp_ge_f64_e64 s[28:29], s[30:31], v[13:14]
	s_mov_b64 s[22:23], 0
.LBB51_175:                             ;   in Loop: Header=BB51_3 Depth=1
	s_andn2_b64 vcc, exec, s[22:23]
	s_cbranch_vccnz .LBB51_177
; %bb.176:                              ;   in Loop: Header=BB51_3 Depth=1
	v_readlane_b32 s60, v61, 0
	v_readlane_b32 s62, v61, 2
	;; [unrolled: 1-line block ×3, first 2 shown]
	v_cmp_ge_f64_e32 vcc, s[62:63], v[15:16]
	s_andn2_b64 s[22:23], s[28:29], exec
	v_readlane_b32 s61, v61, 1
	s_and_b64 s[28:29], vcc, exec
	s_or_b64 s[28:29], s[22:23], s[28:29]
.LBB51_177:                             ;   in Loop: Header=BB51_3 Depth=1
	s_mov_b64 s[22:23], 0
.LBB51_178:                             ;   in Loop: Header=BB51_3 Depth=1
	s_andn2_b64 vcc, exec, s[22:23]
	s_cbranch_vccnz .LBB51_180
; %bb.179:                              ;   in Loop: Header=BB51_3 Depth=1
	v_readlane_b32 s60, v61, 0
	v_readlane_b32 s62, v61, 2
	;; [unrolled: 1-line block ×3, first 2 shown]
	v_cmp_ge_f64_e32 vcc, s[62:63], v[15:16]
	v_cmp_ge_f64_e64 s[22:23], s[62:63], v[13:14]
	s_andn2_b64 s[28:29], s[28:29], exec
	v_readlane_b32 s61, v61, 1
	s_and_b64 s[22:23], vcc, s[22:23]
	s_and_b64 s[22:23], s[22:23], exec
	s_or_b64 s[28:29], s[28:29], s[22:23]
.LBB51_180:                             ;   in Loop: Header=BB51_3 Depth=1
	s_xor_b64 s[28:29], s[28:29], -1
.LBB51_181:                             ;   in Loop: Header=BB51_3 Depth=1
	v_mov_b32_e32 v1, s70
	s_and_saveexec_b64 s[22:23], s[28:29]
	s_cbranch_execz .LBB51_2
; %bb.182:                              ;   in Loop: Header=BB51_3 Depth=1
	s_add_i32 s70, s70, 1
	s_cmp_eq_u32 s70, s71
	s_cselect_b64 s[24:25], -1, 0
	v_mov_b32_e32 v1, s71
	s_orn2_b64 s[24:25], s[24:25], exec
	s_branch .LBB51_2
.LBB51_183:
	s_or_b64 exec, exec, s[84:85]
	v_readlane_b32 s8, v61, 6
	v_readlane_b32 s9, v61, 7
	;; [unrolled: 1-line block ×4, first 2 shown]
.LBB51_184:
	v_readlane_b32 s0, v61, 4
	v_readlane_b32 s1, v61, 5
	s_or_b64 exec, exec, s[0:1]
	s_andn2_b64 vcc, exec, s[68:69]
	s_cbranch_vccnz .LBB51_207
; %bb.185:
	v_mov_b32_dpp v2, v1 row_shr:1 row_mask:0xf bank_mask:0xf
	v_max_i32_e32 v1, v1, v2
	v_cmp_eq_u32_e32 vcc, 3, v38
	s_nop 0
	v_mov_b32_dpp v2, v1 row_shr:2 row_mask:0xf bank_mask:0xf
	s_and_saveexec_b64 s[0:1], vcc
; %bb.186:
	v_lshlrev_b32_e32 v3, 2, v37
	v_max_i32_e32 v1, v1, v2
	ds_write_b32 v3, v1 offset:2048
; %bb.187:
	s_or_b64 exec, exec, s[0:1]
	s_movk_i32 s0, 0x80
	v_cmp_gt_u32_e32 vcc, s0, v0
	v_lshlrev_b32_e32 v1, 2, v0
	s_waitcnt vmcnt(0) lgkmcnt(0)
	s_barrier
	s_and_saveexec_b64 s[0:1], vcc
	s_cbranch_execz .LBB51_189
; %bb.188:
	ds_read2st64_b32 v[2:3], v1 offset0:8 offset1:10
	s_waitcnt lgkmcnt(0)
	v_max_i32_e32 v2, v2, v3
	ds_write_b32 v1, v2 offset:2048
.LBB51_189:
	s_or_b64 exec, exec, s[0:1]
	v_cmp_gt_u32_e32 vcc, 64, v0
	s_waitcnt lgkmcnt(0)
	s_barrier
	s_and_saveexec_b64 s[0:1], vcc
	s_cbranch_execz .LBB51_191
; %bb.190:
	ds_read2st64_b32 v[2:3], v1 offset0:8 offset1:9
	s_waitcnt lgkmcnt(0)
	v_max_i32_e32 v2, v2, v3
	ds_write_b32 v1, v2 offset:2048
.LBB51_191:
	s_or_b64 exec, exec, s[0:1]
	v_cmp_gt_u32_e32 vcc, 32, v0
	s_waitcnt lgkmcnt(0)
	s_barrier
	s_and_saveexec_b64 s[0:1], vcc
	s_cbranch_execz .LBB51_193
; %bb.192:
	v_add_u32_e32 v2, 0x800, v1
	ds_read2_b32 v[2:3], v2 offset1:32
	s_waitcnt lgkmcnt(0)
	v_max_i32_e32 v2, v2, v3
	ds_write_b32 v1, v2 offset:2048
.LBB51_193:
	s_or_b64 exec, exec, s[0:1]
	v_cmp_gt_u32_e32 vcc, 16, v0
	s_waitcnt lgkmcnt(0)
	s_barrier
	s_and_saveexec_b64 s[0:1], vcc
	s_cbranch_execz .LBB51_195
; %bb.194:
	v_add_u32_e32 v2, 0x800, v1
	ds_read2_b32 v[2:3], v2 offset1:16
	s_waitcnt lgkmcnt(0)
	v_max_i32_e32 v2, v2, v3
	ds_write_b32 v1, v2 offset:2048
.LBB51_195:
	;; [unrolled: 13-line block ×5, first 2 shown]
	s_or_b64 exec, exec, s[0:1]
	v_cmp_eq_u32_e32 vcc, 0, v0
	s_waitcnt lgkmcnt(0)
	s_barrier
	s_and_saveexec_b64 s[0:1], vcc
	s_cbranch_execz .LBB51_203
; %bb.202:
	v_mov_b32_e32 v3, 0
	ds_read_b64 v[1:2], v3 offset:2048
	s_waitcnt lgkmcnt(0)
	v_max_i32_e32 v1, v1, v2
	ds_write_b32 v3, v1 offset:2048
.LBB51_203:
	s_or_b64 exec, exec, s[0:1]
	s_waitcnt lgkmcnt(0)
	s_barrier
	s_and_saveexec_b64 s[0:1], vcc
	s_cbranch_execz .LBB51_206
; %bb.204:
	v_mbcnt_lo_u32_b32 v1, exec_lo, 0
	v_mbcnt_hi_u32_b32 v1, exec_hi, v1
	v_cmp_eq_u32_e32 vcc, 0, v1
	s_and_b64 exec, exec, vcc
	s_cbranch_execz .LBB51_206
; %bb.205:
	v_mov_b32_e32 v1, 0
	ds_read_b32 v2, v1 offset:2048
	v_readlane_b32 s4, v61, 0
	v_readlane_b32 s5, v61, 1
	;; [unrolled: 1-line block ×4, first 2 shown]
	s_waitcnt lgkmcnt(0)
	v_add_u32_e32 v2, 1, v2
	s_nop 0
	global_atomic_smax v1, v2, s[4:5]
.LBB51_206:
	s_or_b64 exec, exec, s[0:1]
.LBB51_207:
	v_cmp_eq_u32_e32 vcc, 0, v0
	s_and_b64 s[0:1], vcc, s[34:35]
	s_and_saveexec_b64 s[2:3], s[0:1]
	s_cbranch_execz .LBB51_214
; %bb.208:
	v_mov_b32_e32 v0, 0
	s_mov_b64 s[0:1], exec
	v_mov_b32_e32 v1, 0x7ff80000
.LBB51_209:                             ; =>This Inner Loop Header: Depth=1
	s_ff1_i32_b64 s6, s[0:1]
	v_readlane_b32 s5, v16, s6
	v_readlane_b32 s4, v15, s6
	v_max_f64 v[0:1], v[0:1], v[0:1]
	v_max_f64 v[2:3], s[4:5], s[4:5]
	s_lshl_b64 s[4:5], 1, s6
	s_andn2_b64 s[0:1], s[0:1], s[4:5]
	s_cmp_lg_u64 s[0:1], 0
	v_max_f64 v[0:1], v[0:1], v[2:3]
	s_cbranch_scc1 .LBB51_209
; %bb.210:
	v_mbcnt_lo_u32_b32 v2, exec_lo, 0
	v_mbcnt_hi_u32_b32 v2, exec_hi, v2
	v_cmp_eq_u32_e64 s[0:1], 0, v2
	s_and_saveexec_b64 s[4:5], s[0:1]
	s_xor_b64 s[4:5], exec, s[4:5]
	s_cbranch_execz .LBB51_214
; %bb.211:
	v_mov_b32_e32 v6, 0
	global_load_dwordx2 v[2:3], v6, s[8:9]
	v_max_f64 v[4:5], v[0:1], v[0:1]
	s_mov_b64 s[4:5], 0
.LBB51_212:                             ; =>This Inner Loop Header: Depth=1
	s_waitcnt vmcnt(0)
	v_max_f64 v[0:1], v[2:3], v[2:3]
	v_max_f64 v[0:1], v[0:1], v[4:5]
	global_atomic_cmpswap_x2 v[0:1], v6, v[0:3], s[8:9] glc
	s_waitcnt vmcnt(0)
	v_cmp_eq_u64_e64 s[0:1], v[0:1], v[2:3]
	v_mov_b32_e32 v3, v1
	s_or_b64 s[4:5], s[0:1], s[4:5]
	v_mov_b32_e32 v2, v0
	s_andn2_b64 exec, exec, s[4:5]
	s_cbranch_execnz .LBB51_212
; %bb.213:
	s_or_b64 exec, exec, s[4:5]
.LBB51_214:
	s_or_b64 exec, exec, s[2:3]
	s_and_b64 s[0:1], vcc, s[26:27]
	s_and_saveexec_b64 s[2:3], s[0:1]
	s_cbranch_execz .LBB51_220
; %bb.215:
	v_mov_b32_e32 v0, 0
	s_mov_b64 s[0:1], exec
	v_mov_b32_e32 v1, 0x7ff80000
.LBB51_216:                             ; =>This Inner Loop Header: Depth=1
	s_ff1_i32_b64 s4, s[0:1]
	v_readlane_b32 s3, v14, s4
	v_readlane_b32 s2, v13, s4
	v_max_f64 v[0:1], v[0:1], v[0:1]
	v_max_f64 v[2:3], s[2:3], s[2:3]
	s_lshl_b64 s[2:3], 1, s4
	s_andn2_b64 s[0:1], s[0:1], s[2:3]
	s_cmp_lg_u64 s[0:1], 0
	v_max_f64 v[0:1], v[0:1], v[2:3]
	s_cbranch_scc1 .LBB51_216
; %bb.217:
	v_mbcnt_lo_u32_b32 v2, exec_lo, 0
	v_mbcnt_hi_u32_b32 v2, exec_hi, v2
	v_cmp_eq_u32_e32 vcc, 0, v2
	s_and_saveexec_b64 s[0:1], vcc
	s_xor_b64 s[0:1], exec, s[0:1]
	s_cbranch_execz .LBB51_220
; %bb.218:
	v_mov_b32_e32 v6, 0
	global_load_dwordx2 v[2:3], v6, s[10:11]
	v_max_f64 v[4:5], v[0:1], v[0:1]
	s_mov_b64 s[0:1], 0
.LBB51_219:                             ; =>This Inner Loop Header: Depth=1
	s_waitcnt vmcnt(0)
	v_max_f64 v[0:1], v[2:3], v[2:3]
	v_max_f64 v[0:1], v[0:1], v[4:5]
	global_atomic_cmpswap_x2 v[0:1], v6, v[0:3], s[10:11] glc
	s_waitcnt vmcnt(0)
	v_cmp_eq_u64_e32 vcc, v[0:1], v[2:3]
	v_mov_b32_e32 v3, v1
	s_or_b64 s[0:1], vcc, s[0:1]
	v_mov_b32_e32 v2, v0
	s_andn2_b64 exec, exec, s[0:1]
	s_cbranch_execnz .LBB51_219
.LBB51_220:
	s_endpgm
	.section	.rodata,"a",@progbits
	.p2align	6, 0x0
	.amdhsa_kernel _ZN9rocsparseL6kernelILi1024ELi4E21rocsparse_complex_numIdEiiEEvbbbT3_PS3_NS_15floating_traitsIT1_E6data_tES3_T2_PKS9_SB_PKS3_PKS6_21rocsparse_index_base_SB_SB_SD_PS6_SH_SG_SB_SB_SD_SH_SH_SG_SH_SH_PS8_SI_PKS8_
		.amdhsa_group_segment_fixed_size 3072
		.amdhsa_private_segment_fixed_size 0
		.amdhsa_kernarg_size 208
		.amdhsa_user_sgpr_count 6
		.amdhsa_user_sgpr_private_segment_buffer 1
		.amdhsa_user_sgpr_dispatch_ptr 0
		.amdhsa_user_sgpr_queue_ptr 0
		.amdhsa_user_sgpr_kernarg_segment_ptr 1
		.amdhsa_user_sgpr_dispatch_id 0
		.amdhsa_user_sgpr_flat_scratch_init 0
		.amdhsa_user_sgpr_private_segment_size 0
		.amdhsa_uses_dynamic_stack 0
		.amdhsa_system_sgpr_private_segment_wavefront_offset 0
		.amdhsa_system_sgpr_workgroup_id_x 1
		.amdhsa_system_sgpr_workgroup_id_y 0
		.amdhsa_system_sgpr_workgroup_id_z 0
		.amdhsa_system_sgpr_workgroup_info 0
		.amdhsa_system_vgpr_workitem_id 0
		.amdhsa_next_free_vgpr 62
		.amdhsa_next_free_sgpr 96
		.amdhsa_reserve_vcc 1
		.amdhsa_reserve_flat_scratch 0
		.amdhsa_float_round_mode_32 0
		.amdhsa_float_round_mode_16_64 0
		.amdhsa_float_denorm_mode_32 3
		.amdhsa_float_denorm_mode_16_64 3
		.amdhsa_dx10_clamp 1
		.amdhsa_ieee_mode 1
		.amdhsa_fp16_overflow 0
		.amdhsa_exception_fp_ieee_invalid_op 0
		.amdhsa_exception_fp_denorm_src 0
		.amdhsa_exception_fp_ieee_div_zero 0
		.amdhsa_exception_fp_ieee_overflow 0
		.amdhsa_exception_fp_ieee_underflow 0
		.amdhsa_exception_fp_ieee_inexact 0
		.amdhsa_exception_int_div_zero 0
	.end_amdhsa_kernel
	.section	.text._ZN9rocsparseL6kernelILi1024ELi4E21rocsparse_complex_numIdEiiEEvbbbT3_PS3_NS_15floating_traitsIT1_E6data_tES3_T2_PKS9_SB_PKS3_PKS6_21rocsparse_index_base_SB_SB_SD_PS6_SH_SG_SB_SB_SD_SH_SH_SG_SH_SH_PS8_SI_PKS8_,"axG",@progbits,_ZN9rocsparseL6kernelILi1024ELi4E21rocsparse_complex_numIdEiiEEvbbbT3_PS3_NS_15floating_traitsIT1_E6data_tES3_T2_PKS9_SB_PKS3_PKS6_21rocsparse_index_base_SB_SB_SD_PS6_SH_SG_SB_SB_SD_SH_SH_SG_SH_SH_PS8_SI_PKS8_,comdat
.Lfunc_end51:
	.size	_ZN9rocsparseL6kernelILi1024ELi4E21rocsparse_complex_numIdEiiEEvbbbT3_PS3_NS_15floating_traitsIT1_E6data_tES3_T2_PKS9_SB_PKS3_PKS6_21rocsparse_index_base_SB_SB_SD_PS6_SH_SG_SB_SB_SD_SH_SH_SG_SH_SH_PS8_SI_PKS8_, .Lfunc_end51-_ZN9rocsparseL6kernelILi1024ELi4E21rocsparse_complex_numIdEiiEEvbbbT3_PS3_NS_15floating_traitsIT1_E6data_tES3_T2_PKS9_SB_PKS3_PKS6_21rocsparse_index_base_SB_SB_SD_PS6_SH_SG_SB_SB_SD_SH_SH_SG_SH_SH_PS8_SI_PKS8_
                                        ; -- End function
	.set _ZN9rocsparseL6kernelILi1024ELi4E21rocsparse_complex_numIdEiiEEvbbbT3_PS3_NS_15floating_traitsIT1_E6data_tES3_T2_PKS9_SB_PKS3_PKS6_21rocsparse_index_base_SB_SB_SD_PS6_SH_SG_SB_SB_SD_SH_SH_SG_SH_SH_PS8_SI_PKS8_.num_vgpr, 62
	.set _ZN9rocsparseL6kernelILi1024ELi4E21rocsparse_complex_numIdEiiEEvbbbT3_PS3_NS_15floating_traitsIT1_E6data_tES3_T2_PKS9_SB_PKS3_PKS6_21rocsparse_index_base_SB_SB_SD_PS6_SH_SG_SB_SB_SD_SH_SH_SG_SH_SH_PS8_SI_PKS8_.num_agpr, 0
	.set _ZN9rocsparseL6kernelILi1024ELi4E21rocsparse_complex_numIdEiiEEvbbbT3_PS3_NS_15floating_traitsIT1_E6data_tES3_T2_PKS9_SB_PKS3_PKS6_21rocsparse_index_base_SB_SB_SD_PS6_SH_SG_SB_SB_SD_SH_SH_SG_SH_SH_PS8_SI_PKS8_.numbered_sgpr, 96
	.set _ZN9rocsparseL6kernelILi1024ELi4E21rocsparse_complex_numIdEiiEEvbbbT3_PS3_NS_15floating_traitsIT1_E6data_tES3_T2_PKS9_SB_PKS3_PKS6_21rocsparse_index_base_SB_SB_SD_PS6_SH_SG_SB_SB_SD_SH_SH_SG_SH_SH_PS8_SI_PKS8_.num_named_barrier, 0
	.set _ZN9rocsparseL6kernelILi1024ELi4E21rocsparse_complex_numIdEiiEEvbbbT3_PS3_NS_15floating_traitsIT1_E6data_tES3_T2_PKS9_SB_PKS3_PKS6_21rocsparse_index_base_SB_SB_SD_PS6_SH_SG_SB_SB_SD_SH_SH_SG_SH_SH_PS8_SI_PKS8_.private_seg_size, 0
	.set _ZN9rocsparseL6kernelILi1024ELi4E21rocsparse_complex_numIdEiiEEvbbbT3_PS3_NS_15floating_traitsIT1_E6data_tES3_T2_PKS9_SB_PKS3_PKS6_21rocsparse_index_base_SB_SB_SD_PS6_SH_SG_SB_SB_SD_SH_SH_SG_SH_SH_PS8_SI_PKS8_.uses_vcc, 1
	.set _ZN9rocsparseL6kernelILi1024ELi4E21rocsparse_complex_numIdEiiEEvbbbT3_PS3_NS_15floating_traitsIT1_E6data_tES3_T2_PKS9_SB_PKS3_PKS6_21rocsparse_index_base_SB_SB_SD_PS6_SH_SG_SB_SB_SD_SH_SH_SG_SH_SH_PS8_SI_PKS8_.uses_flat_scratch, 0
	.set _ZN9rocsparseL6kernelILi1024ELi4E21rocsparse_complex_numIdEiiEEvbbbT3_PS3_NS_15floating_traitsIT1_E6data_tES3_T2_PKS9_SB_PKS3_PKS6_21rocsparse_index_base_SB_SB_SD_PS6_SH_SG_SB_SB_SD_SH_SH_SG_SH_SH_PS8_SI_PKS8_.has_dyn_sized_stack, 0
	.set _ZN9rocsparseL6kernelILi1024ELi4E21rocsparse_complex_numIdEiiEEvbbbT3_PS3_NS_15floating_traitsIT1_E6data_tES3_T2_PKS9_SB_PKS3_PKS6_21rocsparse_index_base_SB_SB_SD_PS6_SH_SG_SB_SB_SD_SH_SH_SG_SH_SH_PS8_SI_PKS8_.has_recursion, 0
	.set _ZN9rocsparseL6kernelILi1024ELi4E21rocsparse_complex_numIdEiiEEvbbbT3_PS3_NS_15floating_traitsIT1_E6data_tES3_T2_PKS9_SB_PKS3_PKS6_21rocsparse_index_base_SB_SB_SD_PS6_SH_SG_SB_SB_SD_SH_SH_SG_SH_SH_PS8_SI_PKS8_.has_indirect_call, 0
	.section	.AMDGPU.csdata,"",@progbits
; Kernel info:
; codeLenInByte = 9660
; TotalNumSgprs: 100
; NumVgprs: 62
; ScratchSize: 0
; MemoryBound: 1
; FloatMode: 240
; IeeeMode: 1
; LDSByteSize: 3072 bytes/workgroup (compile time only)
; SGPRBlocks: 12
; VGPRBlocks: 15
; NumSGPRsForWavesPerEU: 100
; NumVGPRsForWavesPerEU: 62
; Occupancy: 4
; WaveLimiterHint : 1
; COMPUTE_PGM_RSRC2:SCRATCH_EN: 0
; COMPUTE_PGM_RSRC2:USER_SGPR: 6
; COMPUTE_PGM_RSRC2:TRAP_HANDLER: 0
; COMPUTE_PGM_RSRC2:TGID_X_EN: 1
; COMPUTE_PGM_RSRC2:TGID_Y_EN: 0
; COMPUTE_PGM_RSRC2:TGID_Z_EN: 0
; COMPUTE_PGM_RSRC2:TIDIG_COMP_CNT: 0
	.section	.text._ZN9rocsparseL6kernelILi1024ELi8E21rocsparse_complex_numIdEiiEEvbbbT3_PS3_NS_15floating_traitsIT1_E6data_tES3_T2_PKS9_SB_PKS3_PKS6_21rocsparse_index_base_SB_SB_SD_PS6_SH_SG_SB_SB_SD_SH_SH_SG_SH_SH_PS8_SI_PKS8_,"axG",@progbits,_ZN9rocsparseL6kernelILi1024ELi8E21rocsparse_complex_numIdEiiEEvbbbT3_PS3_NS_15floating_traitsIT1_E6data_tES3_T2_PKS9_SB_PKS3_PKS6_21rocsparse_index_base_SB_SB_SD_PS6_SH_SG_SB_SB_SD_SH_SH_SG_SH_SH_PS8_SI_PKS8_,comdat
	.globl	_ZN9rocsparseL6kernelILi1024ELi8E21rocsparse_complex_numIdEiiEEvbbbT3_PS3_NS_15floating_traitsIT1_E6data_tES3_T2_PKS9_SB_PKS3_PKS6_21rocsparse_index_base_SB_SB_SD_PS6_SH_SG_SB_SB_SD_SH_SH_SG_SH_SH_PS8_SI_PKS8_ ; -- Begin function _ZN9rocsparseL6kernelILi1024ELi8E21rocsparse_complex_numIdEiiEEvbbbT3_PS3_NS_15floating_traitsIT1_E6data_tES3_T2_PKS9_SB_PKS3_PKS6_21rocsparse_index_base_SB_SB_SD_PS6_SH_SG_SB_SB_SD_SH_SH_SG_SH_SH_PS8_SI_PKS8_
	.p2align	8
	.type	_ZN9rocsparseL6kernelILi1024ELi8E21rocsparse_complex_numIdEiiEEvbbbT3_PS3_NS_15floating_traitsIT1_E6data_tES3_T2_PKS9_SB_PKS3_PKS6_21rocsparse_index_base_SB_SB_SD_PS6_SH_SG_SB_SB_SD_SH_SH_SG_SH_SH_PS8_SI_PKS8_,@function
_ZN9rocsparseL6kernelILi1024ELi8E21rocsparse_complex_numIdEiiEEvbbbT3_PS3_NS_15floating_traitsIT1_E6data_tES3_T2_PKS9_SB_PKS3_PKS6_21rocsparse_index_base_SB_SB_SD_PS6_SH_SG_SB_SB_SD_SH_SH_SG_SH_SH_PS8_SI_PKS8_: ; @_ZN9rocsparseL6kernelILi1024ELi8E21rocsparse_complex_numIdEiiEEvbbbT3_PS3_NS_15floating_traitsIT1_E6data_tES3_T2_PKS9_SB_PKS3_PKS6_21rocsparse_index_base_SB_SB_SD_PS6_SH_SG_SB_SB_SD_SH_SH_SG_SH_SH_PS8_SI_PKS8_
; %bb.0:
	s_load_dword s0, s[4:5], 0x0
	s_load_dwordx2 s[70:71], s[4:5], 0x0
	s_load_dwordx4 s[8:11], s[4:5], 0xb8
	s_load_dwordx4 s[12:15], s[4:5], 0x8
	s_load_dword s33, s[4:5], 0x18
	s_waitcnt lgkmcnt(0)
	s_bitcmp1_b32 s0, 0
	s_cselect_b64 s[68:69], -1, 0
	s_bitcmp1_b32 s0, 8
                                        ; implicit-def: $vgpr61 : SGPR spill to VGPR lane
	s_cselect_b64 s[34:35], -1, 0
	s_bitcmp1_b32 s70, 16
	v_writelane_b32 v61, s12, 0
	s_cselect_b64 s[26:27], -1, 0
	v_lshrrev_b32_e32 v37, 3, v0
	s_lshl_b32 s1, s6, 10
	v_writelane_b32 v61, s13, 1
	v_or_b32_e32 v39, s1, v37
	v_mov_b32_e32 v1, 0
	s_cmp_gt_i32 s71, 0
	v_mov_b32_e32 v15, 0
	v_mov_b32_e32 v13, 0
	v_writelane_b32 v61, s14, 2
	v_and_b32_e32 v38, 7, v0
	v_lshlrev_b32_e32 v40, 3, v0
	s_mov_b32 s70, 0
	v_mov_b32_e32 v2, v1
	v_cmp_gt_i32_e32 vcc, s33, v39
	s_cselect_b64 s[2:3], -1, 0
	v_mov_b32_e32 v16, 0
	v_mov_b32_e32 v14, 0
	v_writelane_b32 v61, s15, 3
	ds_write_b64 v40, v[1:2]
	s_waitcnt lgkmcnt(0)
	s_barrier
	s_and_b64 s[2:3], s[2:3], vcc
	s_mov_b64 s[6:7], exec
	v_writelane_b32 v61, s6, 4
	s_and_b64 s[2:3], s[6:7], s[2:3]
	v_writelane_b32 v61, s7, 5
	s_mov_b64 exec, s[2:3]
	s_cbranch_execz .LBB52_180
; %bb.1:
	s_load_dwordx2 s[2:3], s[4:5], 0xc8
	v_writelane_b32 v61, s8, 6
	v_writelane_b32 v61, s9, 7
	;; [unrolled: 1-line block ×4, first 2 shown]
	s_waitcnt lgkmcnt(0)
	v_writelane_b32 v61, s2, 10
	v_writelane_b32 v61, s3, 11
	s_xor_b64 s[2:3], s[34:35], -1
	v_writelane_b32 v61, s2, 12
	s_addk_i32 s1, 0x400
	v_writelane_b32 v61, s3, 13
	v_cmp_gt_u32_e64 s[2:3], s1, v39
	v_writelane_b32 v61, s2, 14
	s_load_dwordx4 s[64:67], s[4:5], 0xa8
	s_load_dwordx8 s[36:43], s[4:5], 0x78
	s_load_dword s74, s[4:5], 0x40
	s_load_dwordx2 s[78:79], s[4:5], 0x68
	s_load_dword s75, s[4:5], 0x70
	s_load_dwordx2 s[80:81], s[4:5], 0x98
	s_load_dword s0, s[4:5], 0xa0
	v_writelane_b32 v61, s3, 15
	v_cmp_eq_u32_e64 s[2:3], 7, v38
	v_writelane_b32 v61, s2, 16
	s_load_dwordx8 s[44:51], s[4:5], 0x48
	s_load_dwordx8 s[52:59], s[4:5], 0x20
	v_writelane_b32 v61, s3, 17
	s_and_b64 s[2:3], s[34:35], s[26:27]
	s_xor_b64 s[2:3], s[2:3], -1
	v_writelane_b32 v61, s2, 18
	v_mov_b32_e32 v13, 0
	s_mov_b32 s86, 0
	v_mov_b32_e32 v15, 0
	s_waitcnt lgkmcnt(0)
	v_subrev_u32_e32 v41, s74, v38
	v_lshlrev_b32_e32 v42, 3, v37
	v_cmp_gt_u32_e64 s[24:25], 64, v0
	v_cmp_gt_u32_e64 s[6:7], 32, v0
	;; [unrolled: 1-line block ×6, first 2 shown]
	v_cmp_eq_u32_e64 s[16:17], 0, v0
	v_subrev_u32_e32 v43, s75, v38
	v_subrev_u32_e32 v44, s0, v38
	v_cmp_eq_u32_e64 s[18:19], 0, v38
	v_writelane_b32 v61, s3, 19
	v_mov_b32_e32 v14, 0
	s_mov_b64 s[84:85], 0
	v_mov_b32_e32 v18, 0
	s_brev_b32 s87, 8
	v_mov_b32_e32 v45, 0x260
	s_movk_i32 s2, 0x1f8
	v_mov_b32_e32 v46, 0x100
	v_mov_b32_e32 v16, 0
	v_mov_b32_e32 v47, 0xffffff80
	s_branch .LBB52_3
.LBB52_2:                               ;   in Loop: Header=BB52_3 Depth=1
	s_or_b64 exec, exec, s[4:5]
	s_and_b64 s[4:5], exec, s[20:21]
	s_or_b64 s[84:85], s[4:5], s[84:85]
	s_andn2_b64 exec, exec, s[84:85]
	s_cbranch_execz .LBB52_179
.LBB52_3:                               ; =>This Loop Header: Depth=1
                                        ;     Child Loop BB52_7 Depth 2
                                        ;       Child Loop BB52_12 Depth 3
                                        ;         Child Loop BB52_16 Depth 4
                                        ;         Child Loop BB52_51 Depth 4
	;; [unrolled: 1-line block ×5, first 2 shown]
                                        ;     Child Loop BB52_158 Depth 2
                                        ;       Child Loop BB52_161 Depth 3
                                        ;       Child Loop BB52_164 Depth 3
	s_mov_b32 s3, 0
	v_cndmask_b32_e64 v16, v16, 0, s[34:35]
	v_cndmask_b32_e64 v15, v15, 0, s[34:35]
	;; [unrolled: 1-line block ×4, first 2 shown]
	s_branch .LBB52_7
.LBB52_4:                               ;   in Loop: Header=BB52_7 Depth=2
	s_or_b64 exec, exec, s[90:91]
.LBB52_5:                               ;   in Loop: Header=BB52_7 Depth=2
	s_or_b64 exec, exec, s[88:89]
.LBB52_6:                               ;   in Loop: Header=BB52_7 Depth=2
	s_or_b64 exec, exec, s[4:5]
	s_add_i32 s3, s3, 1
	s_cmp_eq_u32 s3, 8
	s_cbranch_scc1 .LBB52_119
.LBB52_7:                               ;   Parent Loop BB52_3 Depth=1
                                        ; =>  This Loop Header: Depth=2
                                        ;       Child Loop BB52_12 Depth 3
                                        ;         Child Loop BB52_16 Depth 4
                                        ;         Child Loop BB52_51 Depth 4
                                        ;         Child Loop BB52_67 Depth 4
                                        ;         Child Loop BB52_89 Depth 4
                                        ;         Child Loop BB52_102 Depth 4
	v_lshl_add_u32 v19, s3, 7, v39
	v_cmp_gt_i32_e32 vcc, s33, v19
	s_and_saveexec_b64 s[4:5], vcc
	s_cbranch_execz .LBB52_6
; %bb.8:                                ;   in Loop: Header=BB52_7 Depth=2
	v_ashrrev_i32_e32 v20, 31, v19
	v_lshlrev_b64 v[1:2], 2, v[19:20]
	v_mov_b32_e32 v4, s53
	v_add_co_u32_e32 v3, vcc, s52, v1
	v_addc_co_u32_e32 v4, vcc, v4, v2, vcc
	global_load_dword v5, v[3:4], off
	v_mov_b32_e32 v4, s55
	v_add_co_u32_e32 v3, vcc, s54, v1
	v_addc_co_u32_e32 v4, vcc, v4, v2, vcc
	global_load_dword v3, v[3:4], off
	s_waitcnt vmcnt(1)
	v_add_u32_e32 v20, v41, v5
	s_waitcnt vmcnt(0)
	v_subrev_u32_e32 v48, s74, v3
	v_cmp_lt_i32_e32 vcc, v20, v48
	s_and_saveexec_b64 s[88:89], vcc
	s_cbranch_execz .LBB52_5
; %bb.9:                                ;   in Loop: Header=BB52_7 Depth=2
	v_mov_b32_e32 v4, s47
	v_add_co_u32_e32 v3, vcc, s46, v1
	v_addc_co_u32_e32 v4, vcc, v4, v2, vcc
	v_mov_b32_e32 v5, s45
	v_add_co_u32_e32 v1, vcc, s44, v1
	v_addc_co_u32_e32 v2, vcc, v5, v2, vcc
	global_load_dword v1, v[1:2], off
	s_nop 0
	global_load_dword v2, v[3:4], off
	v_mov_b32_e32 v5, s49
	v_mov_b32_e32 v6, s51
	s_mov_b64 s[90:91], 0
	s_waitcnt vmcnt(1)
	v_subrev_u32_e32 v22, s75, v1
	v_ashrrev_i32_e32 v23, 31, v22
	s_waitcnt vmcnt(0)
	v_sub_u32_e32 v49, v2, v1
	v_lshlrev_b64 v[1:2], 2, v[22:23]
	v_lshlrev_b64 v[3:4], 4, v[22:23]
	v_add_co_u32_e32 v50, vcc, s48, v1
	v_addc_co_u32_e32 v51, vcc, v5, v2, vcc
	v_add_co_u32_e32 v52, vcc, s50, v3
	v_cmp_lt_i32_e64 s[20:21], 0, v49
	v_addc_co_u32_e32 v53, vcc, v6, v4, vcc
	s_branch .LBB52_12
.LBB52_10:                              ;   in Loop: Header=BB52_12 Depth=3
	s_or_b64 exec, exec, s[28:29]
.LBB52_11:                              ;   in Loop: Header=BB52_12 Depth=3
	s_or_b64 exec, exec, s[22:23]
	v_add_u32_e32 v20, 8, v20
	v_cmp_ge_i32_e32 vcc, v20, v48
	s_or_b64 s[90:91], vcc, s[90:91]
	s_andn2_b64 exec, exec, s[90:91]
	s_cbranch_execz .LBB52_4
.LBB52_12:                              ;   Parent Loop BB52_3 Depth=1
                                        ;     Parent Loop BB52_7 Depth=2
                                        ; =>    This Loop Header: Depth=3
                                        ;         Child Loop BB52_16 Depth 4
                                        ;         Child Loop BB52_51 Depth 4
	;; [unrolled: 1-line block ×5, first 2 shown]
	v_ashrrev_i32_e32 v21, 31, v20
	v_lshlrev_b64 v[1:2], 2, v[20:21]
	v_mov_b32_e32 v3, s57
	v_add_co_u32_e32 v1, vcc, s56, v1
	v_addc_co_u32_e32 v2, vcc, v3, v2, vcc
	global_load_dword v1, v[1:2], off
	v_mov_b32_e32 v4, s37
	v_mov_b32_e32 v5, s39
	v_mov_b32_e32 v17, 0
	v_mov_b32_e32 v25, 0
	v_mov_b32_e32 v27, 0
	v_mov_b32_e32 v26, 0
	v_mov_b32_e32 v28, 0
	v_mov_b32_e32 v30, v17
	s_waitcnt vmcnt(0)
	v_subrev_u32_e32 v23, s74, v1
	v_ashrrev_i32_e32 v24, 31, v23
	v_lshlrev_b64 v[1:2], 2, v[23:24]
	v_add_co_u32_e32 v3, vcc, s36, v1
	v_addc_co_u32_e32 v4, vcc, v4, v2, vcc
	v_add_co_u32_e32 v1, vcc, s38, v1
	v_addc_co_u32_e32 v2, vcc, v5, v2, vcc
	global_load_dword v3, v[3:4], off
	s_nop 0
	global_load_dword v1, v[1:2], off
	s_waitcnt vmcnt(1)
	v_subrev_u32_e32 v29, s0, v3
	s_waitcnt vmcnt(0)
	v_sub_u32_e32 v54, v1, v3
	s_and_saveexec_b64 s[22:23], s[20:21]
	s_cbranch_execz .LBB52_20
; %bb.13:                               ;   in Loop: Header=BB52_12 Depth=3
	v_ashrrev_i32_e32 v30, 31, v29
	v_lshlrev_b64 v[1:2], 2, v[29:30]
	v_mov_b32_e32 v3, s41
	v_add_co_u32_e32 v1, vcc, s40, v1
	v_addc_co_u32_e32 v2, vcc, v3, v2, vcc
	v_lshlrev_b64 v[3:4], 4, v[29:30]
	v_mov_b32_e32 v5, s43
	v_add_co_u32_e32 v3, vcc, s42, v3
	v_mov_b32_e32 v25, 0
	v_mov_b32_e32 v30, 0
	;; [unrolled: 1-line block ×3, first 2 shown]
	v_addc_co_u32_e32 v4, vcc, v5, v4, vcc
	v_mov_b32_e32 v26, 0
	s_mov_b64 s[72:73], 0
	v_mov_b32_e32 v28, 0
	v_mov_b32_e32 v17, v30
                                        ; implicit-def: $sgpr76_sgpr77
	s_branch .LBB52_16
.LBB52_14:                              ;   in Loop: Header=BB52_16 Depth=4
	s_or_b64 exec, exec, s[28:29]
	v_cmp_le_i32_e32 vcc, v5, v6
	v_addc_co_u32_e32 v17, vcc, 0, v17, vcc
	v_cmp_ge_i32_e32 vcc, v5, v6
	v_addc_co_u32_e32 v30, vcc, 0, v30, vcc
	v_cmp_ge_i32_e32 vcc, v17, v49
	s_andn2_b64 s[28:29], s[76:77], exec
	s_and_b64 s[30:31], vcc, exec
	s_or_b64 s[76:77], s[28:29], s[30:31]
.LBB52_15:                              ;   in Loop: Header=BB52_16 Depth=4
	s_or_b64 exec, exec, s[82:83]
	s_and_b64 s[28:29], exec, s[76:77]
	s_or_b64 s[72:73], s[28:29], s[72:73]
	s_andn2_b64 exec, exec, s[72:73]
	s_cbranch_execz .LBB52_19
.LBB52_16:                              ;   Parent Loop BB52_3 Depth=1
                                        ;     Parent Loop BB52_7 Depth=2
                                        ;       Parent Loop BB52_12 Depth=3
                                        ; =>      This Inner Loop Header: Depth=4
	v_cmp_lt_i32_e32 vcc, v30, v54
	s_or_b64 s[76:77], s[76:77], exec
	s_and_saveexec_b64 s[82:83], vcc
	s_cbranch_execz .LBB52_15
; %bb.17:                               ;   in Loop: Header=BB52_16 Depth=4
	v_lshlrev_b64 v[5:6], 2, v[17:18]
	v_mov_b32_e32 v31, v18
	v_add_co_u32_e32 v5, vcc, v50, v5
	v_addc_co_u32_e32 v6, vcc, v51, v6, vcc
	global_load_dword v7, v[5:6], off
	v_lshlrev_b64 v[5:6], 2, v[30:31]
	v_add_co_u32_e32 v5, vcc, v1, v5
	v_addc_co_u32_e32 v6, vcc, v2, v6, vcc
	global_load_dword v6, v[5:6], off
	s_waitcnt vmcnt(1)
	v_subrev_u32_e32 v5, s75, v7
	s_waitcnt vmcnt(0)
	v_subrev_u32_e32 v6, s0, v6
	v_cmp_eq_u32_e32 vcc, v5, v6
	s_and_saveexec_b64 s[28:29], vcc
	s_cbranch_execz .LBB52_14
; %bb.18:                               ;   in Loop: Header=BB52_16 Depth=4
	v_lshlrev_b64 v[7:8], 4, v[17:18]
	v_lshlrev_b64 v[11:12], 4, v[30:31]
	v_add_co_u32_e32 v7, vcc, v52, v7
	v_addc_co_u32_e32 v8, vcc, v53, v8, vcc
	v_add_co_u32_e32 v11, vcc, v3, v11
	v_addc_co_u32_e32 v12, vcc, v4, v12, vcc
	global_load_dwordx4 v[7:10], v[7:8], off
	s_nop 0
	global_load_dwordx4 v[31:34], v[11:12], off
	s_waitcnt vmcnt(0)
	v_fma_f64 v[11:12], v[7:8], v[31:32], v[25:26]
	v_fma_f64 v[27:28], v[9:10], v[31:32], v[27:28]
	v_fma_f64 v[25:26], -v[9:10], v[33:34], v[11:12]
	v_fma_f64 v[27:28], v[7:8], v[33:34], v[27:28]
	s_branch .LBB52_14
.LBB52_19:                              ;   in Loop: Header=BB52_12 Depth=3
	s_or_b64 exec, exec, s[72:73]
.LBB52_20:                              ;   in Loop: Header=BB52_12 Depth=3
	s_or_b64 exec, exec, s[22:23]
	v_lshlrev_b64 v[1:2], 4, v[20:21]
	v_mov_b32_e32 v3, s59
	v_add_co_u32_e32 v1, vcc, s58, v1
	v_addc_co_u32_e32 v2, vcc, v3, v2, vcc
	global_load_dwordx4 v[1:4], v[1:2], off
	v_cmp_le_i32_e64 s[22:23], v19, v23
	v_cmp_gt_i32_e32 vcc, v19, v23
	s_waitcnt vmcnt(0)
	v_add_f64 v[5:6], v[1:2], -v[25:26]
	v_add_f64 v[7:8], v[3:4], -v[27:28]
	s_and_saveexec_b64 s[72:73], vcc
	s_cbranch_execz .LBB52_30
; %bb.21:                               ;   in Loop: Header=BB52_12 Depth=3
	v_lshlrev_b64 v[9:10], 4, v[23:24]
	v_mov_b32_e32 v11, s65
	v_add_co_u32_e32 v9, vcc, s64, v9
	v_addc_co_u32_e32 v10, vcc, v11, v10, vcc
	global_load_dwordx4 v[9:12], v[9:10], off
                                        ; implicit-def: $vgpr35_vgpr36
	s_waitcnt vmcnt(0)
	v_cmp_gt_f64_e32 vcc, 0, v[9:10]
	v_xor_b32_e32 v21, 0x80000000, v10
	v_xor_b32_e32 v33, 0x80000000, v12
	v_mov_b32_e32 v31, v9
	v_cndmask_b32_e32 v32, v10, v21, vcc
	v_cmp_gt_f64_e32 vcc, 0, v[11:12]
	v_cndmask_b32_e32 v34, v12, v33, vcc
	v_mov_b32_e32 v33, v11
	v_cmp_ngt_f64_e32 vcc, v[31:32], v[33:34]
	s_and_saveexec_b64 s[28:29], vcc
	s_xor_b64 s[28:29], exec, s[28:29]
	s_cbranch_execz .LBB52_25
; %bb.22:                               ;   in Loop: Header=BB52_12 Depth=3
	v_cmp_neq_f64_e32 vcc, 0, v[11:12]
	v_mov_b32_e32 v35, 0
	v_mov_b32_e32 v36, 0
	s_and_saveexec_b64 s[30:31], vcc
	s_cbranch_execz .LBB52_24
; %bb.23:                               ;   in Loop: Header=BB52_12 Depth=3
	v_div_scale_f64 v[35:36], s[60:61], v[33:34], v[33:34], v[31:32]
	v_rcp_f64_e32 v[55:56], v[35:36]
	v_fma_f64 v[57:58], -v[35:36], v[55:56], 1.0
	v_fma_f64 v[55:56], v[55:56], v[57:58], v[55:56]
	v_div_scale_f64 v[57:58], vcc, v[31:32], v[33:34], v[31:32]
	v_fma_f64 v[59:60], -v[35:36], v[55:56], 1.0
	v_fma_f64 v[55:56], v[55:56], v[59:60], v[55:56]
	v_mul_f64 v[59:60], v[57:58], v[55:56]
	v_fma_f64 v[35:36], -v[35:36], v[59:60], v[57:58]
	v_div_fmas_f64 v[35:36], v[35:36], v[55:56], v[59:60]
	v_div_fixup_f64 v[31:32], v[35:36], v[33:34], v[31:32]
	v_fma_f64 v[31:32], v[31:32], v[31:32], 1.0
	v_cmp_gt_f64_e32 vcc, s[86:87], v[31:32]
	v_cndmask_b32_e32 v21, 0, v46, vcc
	v_ldexp_f64 v[31:32], v[31:32], v21
	v_cndmask_b32_e32 v21, 0, v47, vcc
	v_rsq_f64_e32 v[35:36], v[31:32]
	v_cmp_class_f64_e32 vcc, v[31:32], v45
	v_mul_f64 v[55:56], v[31:32], v[35:36]
	v_mul_f64 v[35:36], v[35:36], 0.5
	v_fma_f64 v[57:58], -v[35:36], v[55:56], 0.5
	v_fma_f64 v[55:56], v[55:56], v[57:58], v[55:56]
	v_fma_f64 v[35:36], v[35:36], v[57:58], v[35:36]
	v_fma_f64 v[57:58], -v[55:56], v[55:56], v[31:32]
	v_fma_f64 v[55:56], v[57:58], v[35:36], v[55:56]
	v_fma_f64 v[57:58], -v[55:56], v[55:56], v[31:32]
	v_fma_f64 v[35:36], v[57:58], v[35:36], v[55:56]
	v_ldexp_f64 v[35:36], v[35:36], v21
	v_cndmask_b32_e32 v32, v36, v32, vcc
	v_cndmask_b32_e32 v31, v35, v31, vcc
	v_mul_f64 v[35:36], v[33:34], v[31:32]
.LBB52_24:                              ;   in Loop: Header=BB52_12 Depth=3
	s_or_b64 exec, exec, s[30:31]
                                        ; implicit-def: $vgpr31_vgpr32
                                        ; implicit-def: $vgpr33_vgpr34
.LBB52_25:                              ;   in Loop: Header=BB52_12 Depth=3
	s_andn2_saveexec_b64 s[28:29], s[28:29]
	s_cbranch_execz .LBB52_27
; %bb.26:                               ;   in Loop: Header=BB52_12 Depth=3
	v_div_scale_f64 v[35:36], s[30:31], v[31:32], v[31:32], v[33:34]
	v_rcp_f64_e32 v[55:56], v[35:36]
	v_fma_f64 v[57:58], -v[35:36], v[55:56], 1.0
	v_fma_f64 v[55:56], v[55:56], v[57:58], v[55:56]
	v_div_scale_f64 v[57:58], vcc, v[33:34], v[31:32], v[33:34]
	v_fma_f64 v[59:60], -v[35:36], v[55:56], 1.0
	v_fma_f64 v[55:56], v[55:56], v[59:60], v[55:56]
	v_mul_f64 v[59:60], v[57:58], v[55:56]
	v_fma_f64 v[35:36], -v[35:36], v[59:60], v[57:58]
	v_div_fmas_f64 v[35:36], v[35:36], v[55:56], v[59:60]
	v_div_fixup_f64 v[33:34], v[35:36], v[31:32], v[33:34]
	v_fma_f64 v[33:34], v[33:34], v[33:34], 1.0
	v_cmp_gt_f64_e32 vcc, s[86:87], v[33:34]
	v_cndmask_b32_e32 v21, 0, v46, vcc
	v_ldexp_f64 v[33:34], v[33:34], v21
	v_cndmask_b32_e32 v21, 0, v47, vcc
	v_rsq_f64_e32 v[35:36], v[33:34]
	v_cmp_class_f64_e32 vcc, v[33:34], v45
	v_mul_f64 v[55:56], v[33:34], v[35:36]
	v_mul_f64 v[35:36], v[35:36], 0.5
	v_fma_f64 v[57:58], -v[35:36], v[55:56], 0.5
	v_fma_f64 v[55:56], v[55:56], v[57:58], v[55:56]
	v_fma_f64 v[35:36], v[35:36], v[57:58], v[35:36]
	v_fma_f64 v[57:58], -v[55:56], v[55:56], v[33:34]
	v_fma_f64 v[55:56], v[57:58], v[35:36], v[55:56]
	v_fma_f64 v[57:58], -v[55:56], v[55:56], v[33:34]
	v_fma_f64 v[35:36], v[57:58], v[35:36], v[55:56]
	v_ldexp_f64 v[35:36], v[35:36], v21
	v_cndmask_b32_e32 v34, v36, v34, vcc
	v_cndmask_b32_e32 v33, v35, v33, vcc
	v_mul_f64 v[35:36], v[31:32], v[33:34]
.LBB52_27:                              ;   in Loop: Header=BB52_12 Depth=3
	s_or_b64 exec, exec, s[28:29]
	v_cmp_lt_f64_e32 vcc, 0, v[35:36]
	v_mov_b32_e32 v31, 0
	v_mov_b32_e32 v33, 0
	v_mov_b32_e32 v32, 0
	v_mov_b32_e32 v34, 0
	s_and_saveexec_b64 s[28:29], vcc
	s_cbranch_execz .LBB52_29
; %bb.28:                               ;   in Loop: Header=BB52_12 Depth=3
	v_mul_f64 v[31:32], v[11:12], v[11:12]
	v_fma_f64 v[31:32], v[9:10], v[9:10], v[31:32]
	v_div_scale_f64 v[33:34], s[30:31], v[31:32], v[31:32], 1.0
	v_rcp_f64_e32 v[35:36], v[33:34]
	v_fma_f64 v[55:56], -v[33:34], v[35:36], 1.0
	v_fma_f64 v[35:36], v[35:36], v[55:56], v[35:36]
	v_div_scale_f64 v[55:56], vcc, 1.0, v[31:32], 1.0
	v_fma_f64 v[57:58], -v[33:34], v[35:36], 1.0
	v_fma_f64 v[35:36], v[35:36], v[57:58], v[35:36]
	v_mul_f64 v[57:58], v[55:56], v[35:36]
	v_fma_f64 v[33:34], -v[33:34], v[57:58], v[55:56]
	v_div_fmas_f64 v[33:34], v[33:34], v[35:36], v[57:58]
	v_mul_f64 v[35:36], v[7:8], v[11:12]
	v_mul_f64 v[11:12], v[11:12], -v[5:6]
	v_fma_f64 v[5:6], v[5:6], v[9:10], v[35:36]
	v_fma_f64 v[7:8], v[7:8], v[9:10], v[11:12]
	v_div_fixup_f64 v[31:32], v[33:34], v[31:32], 1.0
	v_mul_f64 v[33:34], v[5:6], v[31:32]
	v_mul_f64 v[31:32], v[7:8], v[31:32]
.LBB52_29:                              ;   in Loop: Header=BB52_12 Depth=3
	s_or_b64 exec, exec, s[28:29]
	v_mov_b32_e32 v7, v31
	v_mov_b32_e32 v5, v33
	;; [unrolled: 1-line block ×4, first 2 shown]
.LBB52_30:                              ;   in Loop: Header=BB52_12 Depth=3
	s_or_b64 exec, exec, s[72:73]
	v_cmp_gt_f64_e32 vcc, 0, v[5:6]
	v_xor_b32_e32 v9, 0x80000000, v6
	v_xor_b32_e32 v11, 0x80000000, v8
                                        ; implicit-def: $vgpr31_vgpr32
	v_cndmask_b32_e32 v10, v6, v9, vcc
	v_cmp_gt_f64_e32 vcc, 0, v[7:8]
	v_mov_b32_e32 v9, v5
	v_cndmask_b32_e32 v12, v8, v11, vcc
	v_mov_b32_e32 v11, v7
	v_cmp_ngt_f64_e32 vcc, v[9:10], v[11:12]
	s_and_saveexec_b64 s[28:29], vcc
	s_xor_b64 s[28:29], exec, s[28:29]
	s_cbranch_execnz .LBB52_34
; %bb.31:                               ;   in Loop: Header=BB52_12 Depth=3
	s_andn2_saveexec_b64 s[28:29], s[28:29]
	s_cbranch_execnz .LBB52_37
.LBB52_32:                              ;   in Loop: Header=BB52_12 Depth=3
	s_or_b64 exec, exec, s[28:29]
	v_cmp_class_f64_e64 s[92:93], v[31:32], s2
	s_and_saveexec_b64 s[94:95], s[92:93]
	s_cbranch_execnz .LBB52_38
.LBB52_33:                              ;   in Loop: Header=BB52_12 Depth=3
	s_or_b64 exec, exec, s[94:95]
	s_and_b64 s[28:29], s[26:27], s[92:93]
	s_and_saveexec_b64 s[22:23], s[28:29]
	s_cbranch_execz .LBB52_11
	s_branch .LBB52_79
.LBB52_34:                              ;   in Loop: Header=BB52_12 Depth=3
	v_cmp_neq_f64_e32 vcc, 0, v[7:8]
	v_mov_b32_e32 v31, 0
	v_mov_b32_e32 v32, 0
	s_and_saveexec_b64 s[30:31], vcc
	s_cbranch_execz .LBB52_36
; %bb.35:                               ;   in Loop: Header=BB52_12 Depth=3
	v_div_scale_f64 v[31:32], s[60:61], v[11:12], v[11:12], v[9:10]
	v_rcp_f64_e32 v[33:34], v[31:32]
	v_fma_f64 v[35:36], -v[31:32], v[33:34], 1.0
	v_fma_f64 v[33:34], v[33:34], v[35:36], v[33:34]
	v_div_scale_f64 v[35:36], vcc, v[9:10], v[11:12], v[9:10]
	v_fma_f64 v[55:56], -v[31:32], v[33:34], 1.0
	v_fma_f64 v[33:34], v[33:34], v[55:56], v[33:34]
	v_mul_f64 v[55:56], v[35:36], v[33:34]
	v_fma_f64 v[31:32], -v[31:32], v[55:56], v[35:36]
	v_div_fmas_f64 v[31:32], v[31:32], v[33:34], v[55:56]
	v_div_fixup_f64 v[9:10], v[31:32], v[11:12], v[9:10]
	v_fma_f64 v[9:10], v[9:10], v[9:10], 1.0
	v_cmp_gt_f64_e32 vcc, s[86:87], v[9:10]
	v_cndmask_b32_e32 v21, 0, v46, vcc
	v_ldexp_f64 v[9:10], v[9:10], v21
	v_cndmask_b32_e32 v21, 0, v47, vcc
	v_rsq_f64_e32 v[31:32], v[9:10]
	v_cmp_class_f64_e32 vcc, v[9:10], v45
	v_mul_f64 v[33:34], v[9:10], v[31:32]
	v_mul_f64 v[31:32], v[31:32], 0.5
	v_fma_f64 v[35:36], -v[31:32], v[33:34], 0.5
	v_fma_f64 v[33:34], v[33:34], v[35:36], v[33:34]
	v_fma_f64 v[31:32], v[31:32], v[35:36], v[31:32]
	v_fma_f64 v[35:36], -v[33:34], v[33:34], v[9:10]
	v_fma_f64 v[33:34], v[35:36], v[31:32], v[33:34]
	v_fma_f64 v[35:36], -v[33:34], v[33:34], v[9:10]
	v_fma_f64 v[31:32], v[35:36], v[31:32], v[33:34]
	v_ldexp_f64 v[31:32], v[31:32], v21
	v_cndmask_b32_e32 v10, v32, v10, vcc
	v_cndmask_b32_e32 v9, v31, v9, vcc
	v_mul_f64 v[31:32], v[11:12], v[9:10]
.LBB52_36:                              ;   in Loop: Header=BB52_12 Depth=3
	s_or_b64 exec, exec, s[30:31]
                                        ; implicit-def: $vgpr9_vgpr10
                                        ; implicit-def: $vgpr11_vgpr12
	s_andn2_saveexec_b64 s[28:29], s[28:29]
	s_cbranch_execz .LBB52_32
.LBB52_37:                              ;   in Loop: Header=BB52_12 Depth=3
	v_div_scale_f64 v[31:32], s[30:31], v[9:10], v[9:10], v[11:12]
	v_rcp_f64_e32 v[33:34], v[31:32]
	v_fma_f64 v[35:36], -v[31:32], v[33:34], 1.0
	v_fma_f64 v[33:34], v[33:34], v[35:36], v[33:34]
	v_div_scale_f64 v[35:36], vcc, v[11:12], v[9:10], v[11:12]
	v_fma_f64 v[55:56], -v[31:32], v[33:34], 1.0
	v_fma_f64 v[33:34], v[33:34], v[55:56], v[33:34]
	v_mul_f64 v[55:56], v[35:36], v[33:34]
	v_fma_f64 v[31:32], -v[31:32], v[55:56], v[35:36]
	v_div_fmas_f64 v[31:32], v[31:32], v[33:34], v[55:56]
	v_div_fixup_f64 v[11:12], v[31:32], v[9:10], v[11:12]
	v_fma_f64 v[11:12], v[11:12], v[11:12], 1.0
	v_cmp_gt_f64_e32 vcc, s[86:87], v[11:12]
	v_cndmask_b32_e32 v21, 0, v46, vcc
	v_ldexp_f64 v[11:12], v[11:12], v21
	v_cndmask_b32_e32 v21, 0, v47, vcc
	v_rsq_f64_e32 v[31:32], v[11:12]
	v_cmp_class_f64_e32 vcc, v[11:12], v45
	v_mul_f64 v[33:34], v[11:12], v[31:32]
	v_mul_f64 v[31:32], v[31:32], 0.5
	v_fma_f64 v[35:36], -v[31:32], v[33:34], 0.5
	v_fma_f64 v[33:34], v[33:34], v[35:36], v[33:34]
	v_fma_f64 v[31:32], v[31:32], v[35:36], v[31:32]
	v_fma_f64 v[35:36], -v[33:34], v[33:34], v[11:12]
	v_fma_f64 v[33:34], v[35:36], v[31:32], v[33:34]
	v_fma_f64 v[35:36], -v[33:34], v[33:34], v[11:12]
	v_fma_f64 v[31:32], v[35:36], v[31:32], v[33:34]
	v_ldexp_f64 v[31:32], v[31:32], v21
	v_cndmask_b32_e32 v12, v32, v12, vcc
	v_cndmask_b32_e32 v11, v31, v11, vcc
	v_mul_f64 v[31:32], v[9:10], v[11:12]
	s_or_b64 exec, exec, s[28:29]
	v_cmp_class_f64_e64 s[92:93], v[31:32], s2
	s_and_saveexec_b64 s[94:95], s[92:93]
	s_cbranch_execz .LBB52_33
.LBB52_38:                              ;   in Loop: Header=BB52_12 Depth=3
	s_and_saveexec_b64 s[28:29], s[22:23]
	s_xor_b64 s[22:23], exec, s[28:29]
	s_cbranch_execz .LBB52_63
; %bb.39:                               ;   in Loop: Header=BB52_12 Depth=3
	v_cmp_ge_i32_e32 vcc, v19, v23
	s_and_saveexec_b64 s[28:29], vcc
	s_xor_b64 s[72:73], exec, s[28:29]
	s_cbranch_execz .LBB52_47
; %bb.40:                               ;   in Loop: Header=BB52_12 Depth=3
	v_lshlrev_b64 v[9:10], 4, v[23:24]
	v_mov_b32_e32 v12, s67
	v_add_co_u32_e32 v11, vcc, s66, v9
	v_addc_co_u32_e32 v12, vcc, v12, v10, vcc
	s_andn2_b64 vcc, exec, s[34:35]
	global_store_dwordx4 v[11:12], v[5:8], off
	s_cbranch_vccnz .LBB52_46
; %bb.41:                               ;   in Loop: Header=BB52_12 Depth=3
	v_mov_b32_e32 v11, s65
	v_add_co_u32_e32 v9, vcc, s64, v9
	v_addc_co_u32_e32 v10, vcc, v11, v10, vcc
	global_load_dwordx4 v[9:12], v[9:10], off
	s_waitcnt vmcnt(0)
	v_add_f64 v[5:6], v[9:10], -v[5:6]
	v_add_f64 v[11:12], v[11:12], -v[7:8]
                                        ; implicit-def: $vgpr9_vgpr10
	v_cmp_gt_f64_e32 vcc, 0, v[5:6]
	v_xor_b32_e32 v7, 0x80000000, v6
	v_xor_b32_e32 v8, 0x80000000, v12
	v_cndmask_b32_e32 v6, v6, v7, vcc
	v_cmp_gt_f64_e32 vcc, 0, v[11:12]
	v_mov_b32_e32 v7, v11
	v_cndmask_b32_e32 v8, v12, v8, vcc
	v_cmp_ngt_f64_e32 vcc, v[5:6], v[7:8]
	s_and_saveexec_b64 s[28:29], vcc
	s_xor_b64 s[28:29], exec, s[28:29]
	s_cbranch_execnz .LBB52_107
; %bb.42:                               ;   in Loop: Header=BB52_12 Depth=3
	s_andn2_saveexec_b64 s[28:29], s[28:29]
	s_cbranch_execnz .LBB52_110
.LBB52_43:                              ;   in Loop: Header=BB52_12 Depth=3
	s_or_b64 exec, exec, s[28:29]
	v_cmp_class_f64_e64 s[30:31], v[9:10], s2
	s_and_saveexec_b64 s[28:29], s[30:31]
	s_cbranch_execz .LBB52_45
.LBB52_44:                              ;   in Loop: Header=BB52_12 Depth=3
	v_cmp_lt_f64_e32 vcc, v[15:16], v[9:10]
	v_cndmask_b32_e32 v16, v16, v10, vcc
	v_cndmask_b32_e32 v15, v15, v9, vcc
.LBB52_45:                              ;   in Loop: Header=BB52_12 Depth=3
	s_or_b64 exec, exec, s[28:29]
.LBB52_46:                              ;   in Loop: Header=BB52_12 Depth=3
                                        ; implicit-def: $vgpr5_vgpr6
.LBB52_47:                              ;   in Loop: Header=BB52_12 Depth=3
	s_andn2_saveexec_b64 s[72:73], s[72:73]
	s_cbranch_execz .LBB52_62
; %bb.48:                               ;   in Loop: Header=BB52_12 Depth=3
	v_cmp_lt_i32_e32 vcc, v30, v54
	s_and_saveexec_b64 s[76:77], vcc
	s_cbranch_execz .LBB52_61
; %bb.49:                               ;   in Loop: Header=BB52_12 Depth=3
	s_mov_b64 s[82:83], 0
	v_mov_b32_e32 v11, v30
                                        ; implicit-def: $sgpr60_sgpr61
                                        ; implicit-def: $sgpr28_sgpr29
                                        ; implicit-def: $sgpr62_sgpr63
	s_branch .LBB52_51
.LBB52_50:                              ;   in Loop: Header=BB52_51 Depth=4
	s_or_b64 exec, exec, s[30:31]
	s_and_b64 s[30:31], exec, s[28:29]
	s_or_b64 s[82:83], s[30:31], s[82:83]
	s_andn2_b64 s[30:31], s[60:61], exec
	s_and_b64 s[60:61], s[62:63], exec
	s_or_b64 s[60:61], s[30:31], s[60:61]
	s_andn2_b64 exec, exec, s[82:83]
	s_cbranch_execz .LBB52_53
.LBB52_51:                              ;   Parent Loop BB52_3 Depth=1
                                        ;     Parent Loop BB52_7 Depth=2
                                        ;       Parent Loop BB52_12 Depth=3
                                        ; =>      This Inner Loop Header: Depth=4
	v_add_u32_e32 v9, v29, v11
	v_ashrrev_i32_e32 v10, 31, v9
	v_lshlrev_b64 v[31:32], 2, v[9:10]
	v_mov_b32_e32 v12, s41
	v_add_co_u32_e32 v31, vcc, s40, v31
	v_addc_co_u32_e32 v32, vcc, v12, v32, vcc
	global_load_dword v12, v[31:32], off
	s_or_b64 s[62:63], s[62:63], exec
	s_or_b64 s[28:29], s[28:29], exec
	s_waitcnt vmcnt(0)
	v_subrev_u32_e32 v12, s0, v12
	v_cmp_ne_u32_e32 vcc, v12, v19
	s_and_saveexec_b64 s[30:31], vcc
	s_cbranch_execz .LBB52_50
; %bb.52:                               ;   in Loop: Header=BB52_51 Depth=4
	v_add_u32_e32 v11, 1, v11
	v_cmp_ge_i32_e32 vcc, v11, v54
	s_andn2_b64 s[28:29], s[28:29], exec
	s_and_b64 vcc, vcc, exec
	s_andn2_b64 s[62:63], s[62:63], exec
	s_or_b64 s[28:29], s[28:29], vcc
	s_branch .LBB52_50
.LBB52_53:                              ;   in Loop: Header=BB52_12 Depth=3
	s_or_b64 exec, exec, s[82:83]
	s_and_saveexec_b64 s[28:29], s[60:61]
	s_xor_b64 s[82:83], exec, s[28:29]
	s_cbranch_execz .LBB52_60
; %bb.54:                               ;   in Loop: Header=BB52_12 Depth=3
	v_lshlrev_b64 v[9:10], 4, v[9:10]
	v_mov_b32_e32 v12, s81
	v_add_co_u32_e32 v11, vcc, s80, v9
	v_addc_co_u32_e32 v12, vcc, v12, v10, vcc
	s_andn2_b64 vcc, exec, s[34:35]
	global_store_dwordx4 v[11:12], v[5:8], off
	s_cbranch_vccnz .LBB52_60
; %bb.55:                               ;   in Loop: Header=BB52_12 Depth=3
	v_mov_b32_e32 v11, s43
	v_add_co_u32_e32 v9, vcc, s42, v9
	v_addc_co_u32_e32 v10, vcc, v11, v10, vcc
	global_load_dwordx4 v[9:12], v[9:10], off
	s_waitcnt vmcnt(0)
	v_add_f64 v[5:6], v[9:10], -v[5:6]
	v_add_f64 v[11:12], v[11:12], -v[7:8]
                                        ; implicit-def: $vgpr9_vgpr10
	v_cmp_gt_f64_e32 vcc, 0, v[5:6]
	v_xor_b32_e32 v7, 0x80000000, v6
	v_xor_b32_e32 v8, 0x80000000, v12
	v_cndmask_b32_e32 v6, v6, v7, vcc
	v_cmp_gt_f64_e32 vcc, 0, v[11:12]
	v_mov_b32_e32 v7, v11
	v_cndmask_b32_e32 v8, v12, v8, vcc
	v_cmp_ngt_f64_e32 vcc, v[5:6], v[7:8]
	s_and_saveexec_b64 s[28:29], vcc
	s_xor_b64 s[28:29], exec, s[28:29]
	s_cbranch_execnz .LBB52_115
; %bb.56:                               ;   in Loop: Header=BB52_12 Depth=3
	s_andn2_saveexec_b64 s[28:29], s[28:29]
	s_cbranch_execnz .LBB52_118
.LBB52_57:                              ;   in Loop: Header=BB52_12 Depth=3
	s_or_b64 exec, exec, s[28:29]
	v_cmp_class_f64_e64 s[30:31], v[9:10], s2
	s_and_saveexec_b64 s[28:29], s[30:31]
	s_cbranch_execz .LBB52_59
.LBB52_58:                              ;   in Loop: Header=BB52_12 Depth=3
	v_cmp_lt_f64_e32 vcc, v[15:16], v[9:10]
	v_cndmask_b32_e32 v16, v16, v10, vcc
	v_cndmask_b32_e32 v15, v15, v9, vcc
.LBB52_59:                              ;   in Loop: Header=BB52_12 Depth=3
	s_or_b64 exec, exec, s[28:29]
.LBB52_60:                              ;   in Loop: Header=BB52_12 Depth=3
	s_or_b64 exec, exec, s[82:83]
.LBB52_61:                              ;   in Loop: Header=BB52_12 Depth=3
	s_or_b64 exec, exec, s[76:77]
.LBB52_62:                              ;   in Loop: Header=BB52_12 Depth=3
	s_or_b64 exec, exec, s[72:73]
                                        ; implicit-def: $vgpr5_vgpr6
.LBB52_63:                              ;   in Loop: Header=BB52_12 Depth=3
	s_andn2_saveexec_b64 s[22:23], s[22:23]
	s_cbranch_execz .LBB52_78
; %bb.64:                               ;   in Loop: Header=BB52_12 Depth=3
	v_cmp_lt_i32_e32 vcc, v17, v49
	s_and_saveexec_b64 s[72:73], vcc
	s_cbranch_execz .LBB52_77
; %bb.65:                               ;   in Loop: Header=BB52_12 Depth=3
	s_mov_b64 s[76:77], 0
	v_mov_b32_e32 v11, v17
                                        ; implicit-def: $sgpr60_sgpr61
                                        ; implicit-def: $sgpr28_sgpr29
                                        ; implicit-def: $sgpr62_sgpr63
	s_branch .LBB52_67
.LBB52_66:                              ;   in Loop: Header=BB52_67 Depth=4
	s_or_b64 exec, exec, s[30:31]
	s_and_b64 s[30:31], exec, s[28:29]
	s_or_b64 s[76:77], s[30:31], s[76:77]
	s_andn2_b64 s[30:31], s[60:61], exec
	s_and_b64 s[60:61], s[62:63], exec
	s_or_b64 s[60:61], s[30:31], s[60:61]
	s_andn2_b64 exec, exec, s[76:77]
	s_cbranch_execz .LBB52_69
.LBB52_67:                              ;   Parent Loop BB52_3 Depth=1
                                        ;     Parent Loop BB52_7 Depth=2
                                        ;       Parent Loop BB52_12 Depth=3
                                        ; =>      This Inner Loop Header: Depth=4
	v_add_u32_e32 v9, v22, v11
	v_ashrrev_i32_e32 v10, 31, v9
	v_lshlrev_b64 v[31:32], 2, v[9:10]
	v_mov_b32_e32 v12, s49
	v_add_co_u32_e32 v31, vcc, s48, v31
	v_addc_co_u32_e32 v32, vcc, v12, v32, vcc
	global_load_dword v12, v[31:32], off
	s_or_b64 s[62:63], s[62:63], exec
	s_or_b64 s[28:29], s[28:29], exec
	s_waitcnt vmcnt(0)
	v_subrev_u32_e32 v12, s75, v12
	v_cmp_ne_u32_e32 vcc, v12, v23
	s_and_saveexec_b64 s[30:31], vcc
	s_cbranch_execz .LBB52_66
; %bb.68:                               ;   in Loop: Header=BB52_67 Depth=4
	v_add_u32_e32 v11, 1, v11
	v_cmp_ge_i32_e32 vcc, v11, v49
	s_andn2_b64 s[28:29], s[28:29], exec
	s_and_b64 s[82:83], vcc, exec
	s_andn2_b64 s[62:63], s[62:63], exec
	s_or_b64 s[28:29], s[28:29], s[82:83]
	s_branch .LBB52_66
.LBB52_69:                              ;   in Loop: Header=BB52_12 Depth=3
	s_or_b64 exec, exec, s[76:77]
	s_and_saveexec_b64 s[28:29], s[60:61]
	s_xor_b64 s[76:77], exec, s[28:29]
	s_cbranch_execz .LBB52_76
; %bb.70:                               ;   in Loop: Header=BB52_12 Depth=3
	v_lshlrev_b64 v[9:10], 4, v[9:10]
	v_mov_b32_e32 v12, s79
	v_add_co_u32_e32 v11, vcc, s78, v9
	v_addc_co_u32_e32 v12, vcc, v12, v10, vcc
	s_andn2_b64 vcc, exec, s[34:35]
	global_store_dwordx4 v[11:12], v[5:8], off
	s_cbranch_vccnz .LBB52_76
; %bb.71:                               ;   in Loop: Header=BB52_12 Depth=3
	v_mov_b32_e32 v11, s51
	v_add_co_u32_e32 v9, vcc, s50, v9
	v_addc_co_u32_e32 v10, vcc, v11, v10, vcc
	global_load_dwordx4 v[9:12], v[9:10], off
	s_waitcnt vmcnt(0)
	v_add_f64 v[5:6], v[9:10], -v[5:6]
	v_add_f64 v[11:12], v[11:12], -v[7:8]
                                        ; implicit-def: $vgpr9_vgpr10
	v_cmp_gt_f64_e32 vcc, 0, v[5:6]
	v_xor_b32_e32 v7, 0x80000000, v6
	v_xor_b32_e32 v8, 0x80000000, v12
	v_cndmask_b32_e32 v6, v6, v7, vcc
	v_cmp_gt_f64_e32 vcc, 0, v[11:12]
	v_mov_b32_e32 v7, v11
	v_cndmask_b32_e32 v8, v12, v8, vcc
	v_cmp_ngt_f64_e32 vcc, v[5:6], v[7:8]
	s_and_saveexec_b64 s[28:29], vcc
	s_xor_b64 s[28:29], exec, s[28:29]
	s_cbranch_execnz .LBB52_111
; %bb.72:                               ;   in Loop: Header=BB52_12 Depth=3
	s_andn2_saveexec_b64 s[28:29], s[28:29]
	s_cbranch_execnz .LBB52_114
.LBB52_73:                              ;   in Loop: Header=BB52_12 Depth=3
	s_or_b64 exec, exec, s[28:29]
	v_cmp_class_f64_e64 s[30:31], v[9:10], s2
	s_and_saveexec_b64 s[28:29], s[30:31]
	s_cbranch_execz .LBB52_75
.LBB52_74:                              ;   in Loop: Header=BB52_12 Depth=3
	v_cmp_lt_f64_e32 vcc, v[15:16], v[9:10]
	v_cndmask_b32_e32 v16, v16, v10, vcc
	v_cndmask_b32_e32 v15, v15, v9, vcc
.LBB52_75:                              ;   in Loop: Header=BB52_12 Depth=3
	s_or_b64 exec, exec, s[28:29]
.LBB52_76:                              ;   in Loop: Header=BB52_12 Depth=3
	s_or_b64 exec, exec, s[76:77]
.LBB52_77:                              ;   in Loop: Header=BB52_12 Depth=3
	s_or_b64 exec, exec, s[72:73]
.LBB52_78:                              ;   in Loop: Header=BB52_12 Depth=3
	s_or_b64 exec, exec, s[22:23]
	s_or_b64 exec, exec, s[94:95]
	s_and_b64 s[28:29], s[26:27], s[92:93]
	s_and_saveexec_b64 s[22:23], s[28:29]
	s_cbranch_execz .LBB52_11
.LBB52_79:                              ;   in Loop: Header=BB52_12 Depth=3
	v_cmp_ge_i32_e32 vcc, v30, v54
	s_and_saveexec_b64 s[28:29], vcc
	s_xor_b64 s[72:73], exec, s[28:29]
	s_cbranch_execnz .LBB52_86
; %bb.80:                               ;   in Loop: Header=BB52_12 Depth=3
	s_andn2_saveexec_b64 s[72:73], s[72:73]
	s_cbranch_execnz .LBB52_100
.LBB52_81:                              ;   in Loop: Header=BB52_12 Depth=3
	s_or_b64 exec, exec, s[72:73]
	v_cmp_eq_u32_e32 vcc, v19, v23
	s_and_saveexec_b64 s[28:29], vcc
	s_cbranch_execz .LBB52_83
.LBB52_82:                              ;   in Loop: Header=BB52_12 Depth=3
	v_lshlrev_b64 v[5:6], 4, v[23:24]
	v_mov_b32_e32 v7, s65
	v_add_co_u32_e32 v5, vcc, s64, v5
	v_addc_co_u32_e32 v6, vcc, v7, v6, vcc
	global_load_dwordx4 v[5:8], v[5:6], off
	s_waitcnt vmcnt(0)
	v_add_f64 v[25:26], v[25:26], v[5:6]
	v_add_f64 v[27:28], v[27:28], v[7:8]
.LBB52_83:                              ;   in Loop: Header=BB52_12 Depth=3
	s_or_b64 exec, exec, s[28:29]
	v_add_f64 v[1:2], v[1:2], -v[25:26]
	v_add_f64 v[7:8], v[3:4], -v[27:28]
                                        ; implicit-def: $vgpr5_vgpr6
	v_cmp_gt_f64_e32 vcc, 0, v[1:2]
	v_xor_b32_e32 v3, 0x80000000, v2
	v_xor_b32_e32 v4, 0x80000000, v8
	v_cndmask_b32_e32 v2, v2, v3, vcc
	v_cmp_gt_f64_e32 vcc, 0, v[7:8]
	v_mov_b32_e32 v3, v7
	v_cndmask_b32_e32 v4, v8, v4, vcc
	v_cmp_ngt_f64_e32 vcc, v[1:2], v[3:4]
	s_and_saveexec_b64 s[28:29], vcc
	s_xor_b64 s[28:29], exec, s[28:29]
	s_cbranch_execnz .LBB52_91
; %bb.84:                               ;   in Loop: Header=BB52_12 Depth=3
	s_andn2_saveexec_b64 s[28:29], s[28:29]
	s_cbranch_execnz .LBB52_94
.LBB52_85:                              ;   in Loop: Header=BB52_12 Depth=3
	s_or_b64 exec, exec, s[28:29]
	v_cmp_class_f64_e64 s[30:31], v[5:6], s2
	s_and_saveexec_b64 s[28:29], s[30:31]
	s_cbranch_execz .LBB52_10
	s_branch .LBB52_95
.LBB52_86:                              ;   in Loop: Header=BB52_12 Depth=3
	v_cmp_lt_i32_e32 vcc, v17, v49
	s_and_saveexec_b64 s[76:77], vcc
	s_cbranch_execz .LBB52_99
; %bb.87:                               ;   in Loop: Header=BB52_12 Depth=3
	s_mov_b64 s[92:93], 0
                                        ; implicit-def: $sgpr82_sgpr83
                                        ; implicit-def: $sgpr28_sgpr29
                                        ; implicit-def: $sgpr60_sgpr61
	s_branch .LBB52_89
.LBB52_88:                              ;   in Loop: Header=BB52_89 Depth=4
	s_or_b64 exec, exec, s[30:31]
	s_and_b64 s[30:31], exec, s[28:29]
	s_or_b64 s[92:93], s[30:31], s[92:93]
	s_andn2_b64 s[30:31], s[82:83], exec
	s_and_b64 s[62:63], s[60:61], exec
	s_or_b64 s[82:83], s[30:31], s[62:63]
	s_andn2_b64 exec, exec, s[92:93]
	s_cbranch_execz .LBB52_96
.LBB52_89:                              ;   Parent Loop BB52_3 Depth=1
                                        ;     Parent Loop BB52_7 Depth=2
                                        ;       Parent Loop BB52_12 Depth=3
                                        ; =>      This Inner Loop Header: Depth=4
	v_add_u32_e32 v5, v22, v17
	v_ashrrev_i32_e32 v6, 31, v5
	v_lshlrev_b64 v[7:8], 2, v[5:6]
	v_mov_b32_e32 v9, s49
	v_add_co_u32_e32 v7, vcc, s48, v7
	v_addc_co_u32_e32 v8, vcc, v9, v8, vcc
	global_load_dword v7, v[7:8], off
	s_or_b64 s[60:61], s[60:61], exec
	s_or_b64 s[28:29], s[28:29], exec
	s_waitcnt vmcnt(0)
	v_subrev_u32_e32 v7, s75, v7
	v_cmp_ne_u32_e32 vcc, v7, v23
	s_and_saveexec_b64 s[30:31], vcc
	s_cbranch_execz .LBB52_88
; %bb.90:                               ;   in Loop: Header=BB52_89 Depth=4
	v_add_u32_e32 v17, 1, v17
	v_cmp_ge_i32_e32 vcc, v17, v49
	s_andn2_b64 s[28:29], s[28:29], exec
	s_and_b64 s[62:63], vcc, exec
	s_andn2_b64 s[60:61], s[60:61], exec
	s_or_b64 s[28:29], s[28:29], s[62:63]
	s_branch .LBB52_88
.LBB52_91:                              ;   in Loop: Header=BB52_12 Depth=3
	v_cmp_neq_f64_e32 vcc, 0, v[7:8]
	v_mov_b32_e32 v5, 0
	v_mov_b32_e32 v6, 0
	s_and_saveexec_b64 s[30:31], vcc
	s_cbranch_execz .LBB52_93
; %bb.92:                               ;   in Loop: Header=BB52_12 Depth=3
	v_div_scale_f64 v[5:6], s[60:61], v[3:4], v[3:4], v[1:2]
	v_rcp_f64_e32 v[7:8], v[5:6]
	v_fma_f64 v[9:10], -v[5:6], v[7:8], 1.0
	v_fma_f64 v[7:8], v[7:8], v[9:10], v[7:8]
	v_div_scale_f64 v[9:10], vcc, v[1:2], v[3:4], v[1:2]
	v_fma_f64 v[11:12], -v[5:6], v[7:8], 1.0
	v_fma_f64 v[7:8], v[7:8], v[11:12], v[7:8]
	v_mul_f64 v[11:12], v[9:10], v[7:8]
	v_fma_f64 v[5:6], -v[5:6], v[11:12], v[9:10]
	v_div_fmas_f64 v[5:6], v[5:6], v[7:8], v[11:12]
	v_div_fixup_f64 v[1:2], v[5:6], v[3:4], v[1:2]
	v_fma_f64 v[1:2], v[1:2], v[1:2], 1.0
	v_cmp_gt_f64_e32 vcc, s[86:87], v[1:2]
	v_cndmask_b32_e32 v5, 0, v46, vcc
	v_ldexp_f64 v[1:2], v[1:2], v5
	v_rsq_f64_e32 v[5:6], v[1:2]
	v_mul_f64 v[7:8], v[1:2], v[5:6]
	v_mul_f64 v[5:6], v[5:6], 0.5
	v_fma_f64 v[9:10], -v[5:6], v[7:8], 0.5
	v_fma_f64 v[7:8], v[7:8], v[9:10], v[7:8]
	v_fma_f64 v[5:6], v[5:6], v[9:10], v[5:6]
	v_fma_f64 v[9:10], -v[7:8], v[7:8], v[1:2]
	v_fma_f64 v[7:8], v[9:10], v[5:6], v[7:8]
	v_fma_f64 v[9:10], -v[7:8], v[7:8], v[1:2]
	v_fma_f64 v[5:6], v[9:10], v[5:6], v[7:8]
	v_cndmask_b32_e32 v7, 0, v47, vcc
	v_cmp_class_f64_e32 vcc, v[1:2], v45
	v_ldexp_f64 v[5:6], v[5:6], v7
	v_cndmask_b32_e32 v2, v6, v2, vcc
	v_cndmask_b32_e32 v1, v5, v1, vcc
	v_mul_f64 v[5:6], v[3:4], v[1:2]
.LBB52_93:                              ;   in Loop: Header=BB52_12 Depth=3
	s_or_b64 exec, exec, s[30:31]
                                        ; implicit-def: $vgpr1_vgpr2
                                        ; implicit-def: $vgpr3_vgpr4
	s_andn2_saveexec_b64 s[28:29], s[28:29]
	s_cbranch_execz .LBB52_85
.LBB52_94:                              ;   in Loop: Header=BB52_12 Depth=3
	v_div_scale_f64 v[5:6], s[30:31], v[1:2], v[1:2], v[3:4]
	v_rcp_f64_e32 v[7:8], v[5:6]
	v_fma_f64 v[9:10], -v[5:6], v[7:8], 1.0
	v_fma_f64 v[7:8], v[7:8], v[9:10], v[7:8]
	v_div_scale_f64 v[9:10], vcc, v[3:4], v[1:2], v[3:4]
	v_fma_f64 v[11:12], -v[5:6], v[7:8], 1.0
	v_fma_f64 v[7:8], v[7:8], v[11:12], v[7:8]
	v_mul_f64 v[11:12], v[9:10], v[7:8]
	v_fma_f64 v[5:6], -v[5:6], v[11:12], v[9:10]
	v_div_fmas_f64 v[5:6], v[5:6], v[7:8], v[11:12]
	v_div_fixup_f64 v[3:4], v[5:6], v[1:2], v[3:4]
	v_fma_f64 v[3:4], v[3:4], v[3:4], 1.0
	v_cmp_gt_f64_e32 vcc, s[86:87], v[3:4]
	v_cndmask_b32_e32 v5, 0, v46, vcc
	v_ldexp_f64 v[3:4], v[3:4], v5
	v_rsq_f64_e32 v[5:6], v[3:4]
	v_mul_f64 v[7:8], v[3:4], v[5:6]
	v_mul_f64 v[5:6], v[5:6], 0.5
	v_fma_f64 v[9:10], -v[5:6], v[7:8], 0.5
	v_fma_f64 v[7:8], v[7:8], v[9:10], v[7:8]
	v_fma_f64 v[5:6], v[5:6], v[9:10], v[5:6]
	v_fma_f64 v[9:10], -v[7:8], v[7:8], v[3:4]
	v_fma_f64 v[7:8], v[9:10], v[5:6], v[7:8]
	v_fma_f64 v[9:10], -v[7:8], v[7:8], v[3:4]
	v_fma_f64 v[5:6], v[9:10], v[5:6], v[7:8]
	v_cndmask_b32_e32 v7, 0, v47, vcc
	v_cmp_class_f64_e32 vcc, v[3:4], v45
	v_ldexp_f64 v[5:6], v[5:6], v7
	v_cndmask_b32_e32 v4, v6, v4, vcc
	v_cndmask_b32_e32 v3, v5, v3, vcc
	v_mul_f64 v[5:6], v[1:2], v[3:4]
	s_or_b64 exec, exec, s[28:29]
	v_cmp_class_f64_e64 s[30:31], v[5:6], s2
	s_and_saveexec_b64 s[28:29], s[30:31]
	s_cbranch_execz .LBB52_10
.LBB52_95:                              ;   in Loop: Header=BB52_12 Depth=3
	v_cmp_lt_f64_e32 vcc, v[13:14], v[5:6]
	v_cndmask_b32_e32 v14, v14, v6, vcc
	v_cndmask_b32_e32 v13, v13, v5, vcc
	s_branch .LBB52_10
.LBB52_96:                              ;   in Loop: Header=BB52_12 Depth=3
	s_or_b64 exec, exec, s[92:93]
	s_and_saveexec_b64 s[28:29], s[82:83]
	s_xor_b64 s[28:29], exec, s[28:29]
	s_cbranch_execz .LBB52_98
; %bb.97:                               ;   in Loop: Header=BB52_12 Depth=3
	v_lshlrev_b64 v[5:6], 4, v[5:6]
	v_mov_b32_e32 v7, s51
	v_add_co_u32_e32 v9, vcc, s50, v5
	v_addc_co_u32_e32 v10, vcc, v7, v6, vcc
	v_lshlrev_b64 v[5:6], 4, v[23:24]
	v_mov_b32_e32 v7, s65
	v_add_co_u32_e32 v5, vcc, s64, v5
	v_addc_co_u32_e32 v6, vcc, v7, v6, vcc
	global_load_dwordx4 v[5:8], v[5:6], off
	s_nop 0
	global_load_dwordx4 v[9:12], v[9:10], off
	s_waitcnt vmcnt(0)
	v_mul_f64 v[29:30], v[7:8], -v[11:12]
	v_mul_f64 v[7:8], v[7:8], v[9:10]
	v_fma_f64 v[9:10], v[9:10], v[5:6], v[29:30]
	v_fma_f64 v[5:6], v[11:12], v[5:6], v[7:8]
	v_add_f64 v[25:26], v[25:26], v[9:10]
	v_add_f64 v[27:28], v[27:28], v[5:6]
.LBB52_98:                              ;   in Loop: Header=BB52_12 Depth=3
	s_or_b64 exec, exec, s[28:29]
.LBB52_99:                              ;   in Loop: Header=BB52_12 Depth=3
	s_or_b64 exec, exec, s[76:77]
                                        ; implicit-def: $vgpr30
                                        ; implicit-def: $vgpr29
                                        ; implicit-def: $vgpr54
	s_andn2_saveexec_b64 s[72:73], s[72:73]
	s_cbranch_execz .LBB52_81
.LBB52_100:                             ;   in Loop: Header=BB52_12 Depth=3
	s_mov_b64 s[82:83], 0
                                        ; implicit-def: $sgpr76_sgpr77
                                        ; implicit-def: $sgpr28_sgpr29
                                        ; implicit-def: $sgpr60_sgpr61
	s_branch .LBB52_102
.LBB52_101:                             ;   in Loop: Header=BB52_102 Depth=4
	s_or_b64 exec, exec, s[30:31]
	s_and_b64 s[30:31], exec, s[28:29]
	s_or_b64 s[82:83], s[30:31], s[82:83]
	s_andn2_b64 s[30:31], s[76:77], exec
	s_and_b64 s[62:63], s[60:61], exec
	s_or_b64 s[76:77], s[30:31], s[62:63]
	s_andn2_b64 exec, exec, s[82:83]
	s_cbranch_execz .LBB52_104
.LBB52_102:                             ;   Parent Loop BB52_3 Depth=1
                                        ;     Parent Loop BB52_7 Depth=2
                                        ;       Parent Loop BB52_12 Depth=3
                                        ; =>      This Inner Loop Header: Depth=4
	v_add_u32_e32 v5, v29, v30
	v_ashrrev_i32_e32 v6, 31, v5
	v_lshlrev_b64 v[7:8], 2, v[5:6]
	v_mov_b32_e32 v9, s41
	v_add_co_u32_e32 v7, vcc, s40, v7
	v_addc_co_u32_e32 v8, vcc, v9, v8, vcc
	global_load_dword v7, v[7:8], off
	s_or_b64 s[60:61], s[60:61], exec
	s_or_b64 s[28:29], s[28:29], exec
	s_waitcnt vmcnt(0)
	v_subrev_u32_e32 v7, s0, v7
	v_cmp_ne_u32_e32 vcc, v7, v19
	s_and_saveexec_b64 s[30:31], vcc
	s_cbranch_execz .LBB52_101
; %bb.103:                              ;   in Loop: Header=BB52_102 Depth=4
	v_add_u32_e32 v30, 1, v30
	v_cmp_ge_i32_e32 vcc, v30, v54
	s_andn2_b64 s[28:29], s[28:29], exec
	s_and_b64 s[62:63], vcc, exec
	s_andn2_b64 s[60:61], s[60:61], exec
	s_or_b64 s[28:29], s[28:29], s[62:63]
	s_branch .LBB52_101
.LBB52_104:                             ;   in Loop: Header=BB52_12 Depth=3
	s_or_b64 exec, exec, s[82:83]
	s_and_saveexec_b64 s[28:29], s[76:77]
	s_xor_b64 s[28:29], exec, s[28:29]
	s_cbranch_execz .LBB52_106
; %bb.105:                              ;   in Loop: Header=BB52_12 Depth=3
	v_lshlrev_b64 v[5:6], 4, v[5:6]
	v_mov_b32_e32 v7, s43
	v_add_co_u32_e32 v5, vcc, s42, v5
	v_addc_co_u32_e32 v6, vcc, v7, v6, vcc
	global_load_dwordx4 v[5:8], v[5:6], off
	s_waitcnt vmcnt(0)
	v_add_f64 v[25:26], v[25:26], v[5:6]
	v_add_f64 v[27:28], v[27:28], v[7:8]
.LBB52_106:                             ;   in Loop: Header=BB52_12 Depth=3
	s_or_b64 exec, exec, s[28:29]
	s_or_b64 exec, exec, s[72:73]
	v_cmp_eq_u32_e32 vcc, v19, v23
	s_and_saveexec_b64 s[28:29], vcc
	s_cbranch_execnz .LBB52_82
	s_branch .LBB52_83
.LBB52_107:                             ;   in Loop: Header=BB52_12 Depth=3
	v_cmp_neq_f64_e32 vcc, 0, v[11:12]
	v_mov_b32_e32 v9, 0
	v_mov_b32_e32 v10, 0
	s_and_saveexec_b64 s[30:31], vcc
	s_cbranch_execz .LBB52_109
; %bb.108:                              ;   in Loop: Header=BB52_12 Depth=3
	v_div_scale_f64 v[9:10], s[60:61], v[7:8], v[7:8], v[5:6]
	v_rcp_f64_e32 v[11:12], v[9:10]
	v_fma_f64 v[31:32], -v[9:10], v[11:12], 1.0
	v_fma_f64 v[11:12], v[11:12], v[31:32], v[11:12]
	v_div_scale_f64 v[31:32], vcc, v[5:6], v[7:8], v[5:6]
	v_fma_f64 v[33:34], -v[9:10], v[11:12], 1.0
	v_fma_f64 v[11:12], v[11:12], v[33:34], v[11:12]
	v_mul_f64 v[33:34], v[31:32], v[11:12]
	v_fma_f64 v[9:10], -v[9:10], v[33:34], v[31:32]
	v_div_fmas_f64 v[9:10], v[9:10], v[11:12], v[33:34]
	v_div_fixup_f64 v[5:6], v[9:10], v[7:8], v[5:6]
	v_fma_f64 v[5:6], v[5:6], v[5:6], 1.0
	v_cmp_gt_f64_e32 vcc, s[86:87], v[5:6]
	v_cndmask_b32_e32 v9, 0, v46, vcc
	v_ldexp_f64 v[5:6], v[5:6], v9
	v_rsq_f64_e32 v[9:10], v[5:6]
	v_mul_f64 v[11:12], v[5:6], v[9:10]
	v_mul_f64 v[9:10], v[9:10], 0.5
	v_fma_f64 v[31:32], -v[9:10], v[11:12], 0.5
	v_fma_f64 v[11:12], v[11:12], v[31:32], v[11:12]
	v_fma_f64 v[9:10], v[9:10], v[31:32], v[9:10]
	v_fma_f64 v[31:32], -v[11:12], v[11:12], v[5:6]
	v_fma_f64 v[11:12], v[31:32], v[9:10], v[11:12]
	v_fma_f64 v[31:32], -v[11:12], v[11:12], v[5:6]
	v_fma_f64 v[9:10], v[31:32], v[9:10], v[11:12]
	v_cndmask_b32_e32 v11, 0, v47, vcc
	v_cmp_class_f64_e32 vcc, v[5:6], v45
	v_ldexp_f64 v[9:10], v[9:10], v11
	v_cndmask_b32_e32 v6, v10, v6, vcc
	v_cndmask_b32_e32 v5, v9, v5, vcc
	v_mul_f64 v[9:10], v[7:8], v[5:6]
.LBB52_109:                             ;   in Loop: Header=BB52_12 Depth=3
	s_or_b64 exec, exec, s[30:31]
                                        ; implicit-def: $vgpr5_vgpr6
                                        ; implicit-def: $vgpr7_vgpr8
	s_andn2_saveexec_b64 s[28:29], s[28:29]
	s_cbranch_execz .LBB52_43
.LBB52_110:                             ;   in Loop: Header=BB52_12 Depth=3
	v_div_scale_f64 v[9:10], s[30:31], v[5:6], v[5:6], v[7:8]
	v_rcp_f64_e32 v[11:12], v[9:10]
	v_fma_f64 v[31:32], -v[9:10], v[11:12], 1.0
	v_fma_f64 v[11:12], v[11:12], v[31:32], v[11:12]
	v_div_scale_f64 v[31:32], vcc, v[7:8], v[5:6], v[7:8]
	v_fma_f64 v[33:34], -v[9:10], v[11:12], 1.0
	v_fma_f64 v[11:12], v[11:12], v[33:34], v[11:12]
	v_mul_f64 v[33:34], v[31:32], v[11:12]
	v_fma_f64 v[9:10], -v[9:10], v[33:34], v[31:32]
	v_div_fmas_f64 v[9:10], v[9:10], v[11:12], v[33:34]
	v_div_fixup_f64 v[7:8], v[9:10], v[5:6], v[7:8]
	v_fma_f64 v[7:8], v[7:8], v[7:8], 1.0
	v_cmp_gt_f64_e32 vcc, s[86:87], v[7:8]
	v_cndmask_b32_e32 v9, 0, v46, vcc
	v_ldexp_f64 v[7:8], v[7:8], v9
	v_rsq_f64_e32 v[9:10], v[7:8]
	v_mul_f64 v[11:12], v[7:8], v[9:10]
	v_mul_f64 v[9:10], v[9:10], 0.5
	v_fma_f64 v[31:32], -v[9:10], v[11:12], 0.5
	v_fma_f64 v[11:12], v[11:12], v[31:32], v[11:12]
	v_fma_f64 v[9:10], v[9:10], v[31:32], v[9:10]
	v_fma_f64 v[31:32], -v[11:12], v[11:12], v[7:8]
	v_fma_f64 v[11:12], v[31:32], v[9:10], v[11:12]
	v_fma_f64 v[31:32], -v[11:12], v[11:12], v[7:8]
	v_fma_f64 v[9:10], v[31:32], v[9:10], v[11:12]
	v_cndmask_b32_e32 v11, 0, v47, vcc
	v_cmp_class_f64_e32 vcc, v[7:8], v45
	v_ldexp_f64 v[9:10], v[9:10], v11
	v_cndmask_b32_e32 v8, v10, v8, vcc
	v_cndmask_b32_e32 v7, v9, v7, vcc
	v_mul_f64 v[9:10], v[5:6], v[7:8]
	s_or_b64 exec, exec, s[28:29]
	v_cmp_class_f64_e64 s[30:31], v[9:10], s2
	s_and_saveexec_b64 s[28:29], s[30:31]
	s_cbranch_execnz .LBB52_44
	s_branch .LBB52_45
.LBB52_111:                             ;   in Loop: Header=BB52_12 Depth=3
	v_cmp_neq_f64_e32 vcc, 0, v[11:12]
	v_mov_b32_e32 v9, 0
	v_mov_b32_e32 v10, 0
	s_and_saveexec_b64 s[30:31], vcc
	s_cbranch_execz .LBB52_113
; %bb.112:                              ;   in Loop: Header=BB52_12 Depth=3
	v_div_scale_f64 v[9:10], s[60:61], v[7:8], v[7:8], v[5:6]
	v_rcp_f64_e32 v[11:12], v[9:10]
	v_fma_f64 v[31:32], -v[9:10], v[11:12], 1.0
	v_fma_f64 v[11:12], v[11:12], v[31:32], v[11:12]
	v_div_scale_f64 v[31:32], vcc, v[5:6], v[7:8], v[5:6]
	v_fma_f64 v[33:34], -v[9:10], v[11:12], 1.0
	v_fma_f64 v[11:12], v[11:12], v[33:34], v[11:12]
	v_mul_f64 v[33:34], v[31:32], v[11:12]
	v_fma_f64 v[9:10], -v[9:10], v[33:34], v[31:32]
	v_div_fmas_f64 v[9:10], v[9:10], v[11:12], v[33:34]
	v_div_fixup_f64 v[5:6], v[9:10], v[7:8], v[5:6]
	v_fma_f64 v[5:6], v[5:6], v[5:6], 1.0
	v_cmp_gt_f64_e32 vcc, s[86:87], v[5:6]
	v_cndmask_b32_e32 v9, 0, v46, vcc
	v_ldexp_f64 v[5:6], v[5:6], v9
	v_rsq_f64_e32 v[9:10], v[5:6]
	v_mul_f64 v[11:12], v[5:6], v[9:10]
	v_mul_f64 v[9:10], v[9:10], 0.5
	v_fma_f64 v[31:32], -v[9:10], v[11:12], 0.5
	v_fma_f64 v[11:12], v[11:12], v[31:32], v[11:12]
	v_fma_f64 v[9:10], v[9:10], v[31:32], v[9:10]
	v_fma_f64 v[31:32], -v[11:12], v[11:12], v[5:6]
	v_fma_f64 v[11:12], v[31:32], v[9:10], v[11:12]
	v_fma_f64 v[31:32], -v[11:12], v[11:12], v[5:6]
	v_fma_f64 v[9:10], v[31:32], v[9:10], v[11:12]
	v_cndmask_b32_e32 v11, 0, v47, vcc
	v_cmp_class_f64_e32 vcc, v[5:6], v45
	v_ldexp_f64 v[9:10], v[9:10], v11
	v_cndmask_b32_e32 v6, v10, v6, vcc
	v_cndmask_b32_e32 v5, v9, v5, vcc
	v_mul_f64 v[9:10], v[7:8], v[5:6]
.LBB52_113:                             ;   in Loop: Header=BB52_12 Depth=3
	s_or_b64 exec, exec, s[30:31]
                                        ; implicit-def: $vgpr5_vgpr6
                                        ; implicit-def: $vgpr7_vgpr8
	s_andn2_saveexec_b64 s[28:29], s[28:29]
	s_cbranch_execz .LBB52_73
.LBB52_114:                             ;   in Loop: Header=BB52_12 Depth=3
	v_div_scale_f64 v[9:10], s[30:31], v[5:6], v[5:6], v[7:8]
	v_rcp_f64_e32 v[11:12], v[9:10]
	v_fma_f64 v[31:32], -v[9:10], v[11:12], 1.0
	v_fma_f64 v[11:12], v[11:12], v[31:32], v[11:12]
	v_div_scale_f64 v[31:32], vcc, v[7:8], v[5:6], v[7:8]
	v_fma_f64 v[33:34], -v[9:10], v[11:12], 1.0
	v_fma_f64 v[11:12], v[11:12], v[33:34], v[11:12]
	v_mul_f64 v[33:34], v[31:32], v[11:12]
	v_fma_f64 v[9:10], -v[9:10], v[33:34], v[31:32]
	v_div_fmas_f64 v[9:10], v[9:10], v[11:12], v[33:34]
	v_div_fixup_f64 v[7:8], v[9:10], v[5:6], v[7:8]
	v_fma_f64 v[7:8], v[7:8], v[7:8], 1.0
	v_cmp_gt_f64_e32 vcc, s[86:87], v[7:8]
	v_cndmask_b32_e32 v9, 0, v46, vcc
	v_ldexp_f64 v[7:8], v[7:8], v9
	v_rsq_f64_e32 v[9:10], v[7:8]
	v_mul_f64 v[11:12], v[7:8], v[9:10]
	v_mul_f64 v[9:10], v[9:10], 0.5
	v_fma_f64 v[31:32], -v[9:10], v[11:12], 0.5
	v_fma_f64 v[11:12], v[11:12], v[31:32], v[11:12]
	v_fma_f64 v[9:10], v[9:10], v[31:32], v[9:10]
	v_fma_f64 v[31:32], -v[11:12], v[11:12], v[7:8]
	v_fma_f64 v[11:12], v[31:32], v[9:10], v[11:12]
	v_fma_f64 v[31:32], -v[11:12], v[11:12], v[7:8]
	v_fma_f64 v[9:10], v[31:32], v[9:10], v[11:12]
	v_cndmask_b32_e32 v11, 0, v47, vcc
	v_cmp_class_f64_e32 vcc, v[7:8], v45
	v_ldexp_f64 v[9:10], v[9:10], v11
	v_cndmask_b32_e32 v8, v10, v8, vcc
	v_cndmask_b32_e32 v7, v9, v7, vcc
	v_mul_f64 v[9:10], v[5:6], v[7:8]
	s_or_b64 exec, exec, s[28:29]
	v_cmp_class_f64_e64 s[30:31], v[9:10], s2
	s_and_saveexec_b64 s[28:29], s[30:31]
	s_cbranch_execnz .LBB52_74
	s_branch .LBB52_75
.LBB52_115:                             ;   in Loop: Header=BB52_12 Depth=3
	v_cmp_neq_f64_e32 vcc, 0, v[11:12]
	v_mov_b32_e32 v9, 0
	v_mov_b32_e32 v10, 0
	s_and_saveexec_b64 s[30:31], vcc
	s_cbranch_execz .LBB52_117
; %bb.116:                              ;   in Loop: Header=BB52_12 Depth=3
	v_div_scale_f64 v[9:10], s[60:61], v[7:8], v[7:8], v[5:6]
	v_rcp_f64_e32 v[11:12], v[9:10]
	v_fma_f64 v[31:32], -v[9:10], v[11:12], 1.0
	v_fma_f64 v[11:12], v[11:12], v[31:32], v[11:12]
	v_div_scale_f64 v[31:32], vcc, v[5:6], v[7:8], v[5:6]
	v_fma_f64 v[33:34], -v[9:10], v[11:12], 1.0
	v_fma_f64 v[11:12], v[11:12], v[33:34], v[11:12]
	v_mul_f64 v[33:34], v[31:32], v[11:12]
	v_fma_f64 v[9:10], -v[9:10], v[33:34], v[31:32]
	v_div_fmas_f64 v[9:10], v[9:10], v[11:12], v[33:34]
	v_div_fixup_f64 v[5:6], v[9:10], v[7:8], v[5:6]
	v_fma_f64 v[5:6], v[5:6], v[5:6], 1.0
	v_cmp_gt_f64_e32 vcc, s[86:87], v[5:6]
	v_cndmask_b32_e32 v9, 0, v46, vcc
	v_ldexp_f64 v[5:6], v[5:6], v9
	v_rsq_f64_e32 v[9:10], v[5:6]
	v_mul_f64 v[11:12], v[5:6], v[9:10]
	v_mul_f64 v[9:10], v[9:10], 0.5
	v_fma_f64 v[31:32], -v[9:10], v[11:12], 0.5
	v_fma_f64 v[11:12], v[11:12], v[31:32], v[11:12]
	v_fma_f64 v[9:10], v[9:10], v[31:32], v[9:10]
	v_fma_f64 v[31:32], -v[11:12], v[11:12], v[5:6]
	v_fma_f64 v[11:12], v[31:32], v[9:10], v[11:12]
	v_fma_f64 v[31:32], -v[11:12], v[11:12], v[5:6]
	v_fma_f64 v[9:10], v[31:32], v[9:10], v[11:12]
	v_cndmask_b32_e32 v11, 0, v47, vcc
	v_cmp_class_f64_e32 vcc, v[5:6], v45
	v_ldexp_f64 v[9:10], v[9:10], v11
	v_cndmask_b32_e32 v6, v10, v6, vcc
	v_cndmask_b32_e32 v5, v9, v5, vcc
	v_mul_f64 v[9:10], v[7:8], v[5:6]
.LBB52_117:                             ;   in Loop: Header=BB52_12 Depth=3
	s_or_b64 exec, exec, s[30:31]
                                        ; implicit-def: $vgpr5_vgpr6
                                        ; implicit-def: $vgpr7_vgpr8
	s_andn2_saveexec_b64 s[28:29], s[28:29]
	s_cbranch_execz .LBB52_57
.LBB52_118:                             ;   in Loop: Header=BB52_12 Depth=3
	v_div_scale_f64 v[9:10], s[30:31], v[5:6], v[5:6], v[7:8]
	v_rcp_f64_e32 v[11:12], v[9:10]
	v_fma_f64 v[31:32], -v[9:10], v[11:12], 1.0
	v_fma_f64 v[11:12], v[11:12], v[31:32], v[11:12]
	v_div_scale_f64 v[31:32], vcc, v[7:8], v[5:6], v[7:8]
	v_fma_f64 v[33:34], -v[9:10], v[11:12], 1.0
	v_fma_f64 v[11:12], v[11:12], v[33:34], v[11:12]
	v_mul_f64 v[33:34], v[31:32], v[11:12]
	v_fma_f64 v[9:10], -v[9:10], v[33:34], v[31:32]
	v_div_fmas_f64 v[9:10], v[9:10], v[11:12], v[33:34]
	v_div_fixup_f64 v[7:8], v[9:10], v[5:6], v[7:8]
	v_fma_f64 v[7:8], v[7:8], v[7:8], 1.0
	v_cmp_gt_f64_e32 vcc, s[86:87], v[7:8]
	v_cndmask_b32_e32 v9, 0, v46, vcc
	v_ldexp_f64 v[7:8], v[7:8], v9
	v_rsq_f64_e32 v[9:10], v[7:8]
	v_mul_f64 v[11:12], v[7:8], v[9:10]
	v_mul_f64 v[9:10], v[9:10], 0.5
	v_fma_f64 v[31:32], -v[9:10], v[11:12], 0.5
	v_fma_f64 v[11:12], v[11:12], v[31:32], v[11:12]
	v_fma_f64 v[9:10], v[9:10], v[31:32], v[9:10]
	v_fma_f64 v[31:32], -v[11:12], v[11:12], v[7:8]
	v_fma_f64 v[11:12], v[31:32], v[9:10], v[11:12]
	v_fma_f64 v[31:32], -v[11:12], v[11:12], v[7:8]
	v_fma_f64 v[9:10], v[31:32], v[9:10], v[11:12]
	v_cndmask_b32_e32 v11, 0, v47, vcc
	v_cmp_class_f64_e32 vcc, v[7:8], v45
	v_ldexp_f64 v[9:10], v[9:10], v11
	v_cndmask_b32_e32 v8, v10, v8, vcc
	v_cndmask_b32_e32 v7, v9, v7, vcc
	v_mul_f64 v[9:10], v[5:6], v[7:8]
	s_or_b64 exec, exec, s[28:29]
	v_cmp_class_f64_e64 s[30:31], v[9:10], s2
	s_and_saveexec_b64 s[28:29], s[30:31]
	s_cbranch_execnz .LBB52_58
	s_branch .LBB52_59
.LBB52_119:                             ;   in Loop: Header=BB52_3 Depth=1
	s_and_b64 vcc, exec, s[34:35]
	s_cbranch_vccz .LBB52_137
; %bb.120:                              ;   in Loop: Header=BB52_3 Depth=1
	v_mov_b32_dpp v1, v15 row_shr:1 row_mask:0xf bank_mask:0xf
	v_mov_b32_dpp v2, v16 row_shr:1 row_mask:0xf bank_mask:0xf
	v_cmp_lt_f64_e32 vcc, v[15:16], v[1:2]
	v_cndmask_b32_e32 v2, v16, v2, vcc
	v_cndmask_b32_e32 v1, v15, v1, vcc
	s_nop 0
	v_mov_b32_dpp v4, v2 row_shr:2 row_mask:0xf bank_mask:0xf
	v_mov_b32_dpp v3, v1 row_shr:2 row_mask:0xf bank_mask:0xf
	v_cmp_lt_f64_e32 vcc, v[1:2], v[3:4]
	v_cndmask_b32_e32 v2, v2, v4, vcc
	v_cndmask_b32_e32 v1, v1, v3, vcc
	s_nop 0
	v_mov_b32_dpp v5, v2 row_shr:4 row_mask:0xf bank_mask:0xe
	v_mov_b32_dpp v3, v1 row_shr:4 row_mask:0xf bank_mask:0xe
	s_mov_b64 s[4:5], exec
	v_readlane_b32 s20, v61, 16
	v_readlane_b32 s21, v61, 17
	s_and_b64 s[20:21], s[4:5], s[20:21]
	s_mov_b64 exec, s[20:21]
	s_cbranch_execz .LBB52_122
; %bb.121:                              ;   in Loop: Header=BB52_3 Depth=1
	v_mov_b32_e32 v4, v5
	v_cmp_lt_f64_e32 vcc, v[1:2], v[3:4]
	v_cndmask_b32_e32 v2, v2, v5, vcc
	v_cndmask_b32_e32 v1, v1, v3, vcc
	ds_write_b64 v42, v[1:2]
.LBB52_122:                             ;   in Loop: Header=BB52_3 Depth=1
	s_or_b64 exec, exec, s[4:5]
	s_waitcnt vmcnt(0) lgkmcnt(0)
	s_barrier
	s_and_saveexec_b64 s[4:5], s[24:25]
	s_cbranch_execz .LBB52_124
; %bb.123:                              ;   in Loop: Header=BB52_3 Depth=1
	ds_read2st64_b64 v[1:4], v40 offset1:1
	s_waitcnt lgkmcnt(0)
	v_cmp_lt_f64_e32 vcc, v[1:2], v[3:4]
	v_cndmask_b32_e32 v2, v2, v4, vcc
	v_cndmask_b32_e32 v1, v1, v3, vcc
	ds_write_b64 v40, v[1:2]
.LBB52_124:                             ;   in Loop: Header=BB52_3 Depth=1
	s_or_b64 exec, exec, s[4:5]
	s_waitcnt lgkmcnt(0)
	s_barrier
	s_and_saveexec_b64 s[4:5], s[6:7]
	s_cbranch_execz .LBB52_126
; %bb.125:                              ;   in Loop: Header=BB52_3 Depth=1
	ds_read2_b64 v[1:4], v40 offset1:32
	s_waitcnt lgkmcnt(0)
	v_cmp_lt_f64_e32 vcc, v[1:2], v[3:4]
	v_cndmask_b32_e32 v2, v2, v4, vcc
	v_cndmask_b32_e32 v1, v1, v3, vcc
	ds_write_b64 v40, v[1:2]
.LBB52_126:                             ;   in Loop: Header=BB52_3 Depth=1
	s_or_b64 exec, exec, s[4:5]
	s_waitcnt lgkmcnt(0)
	s_barrier
	s_and_saveexec_b64 s[4:5], s[8:9]
	s_cbranch_execz .LBB52_128
; %bb.127:                              ;   in Loop: Header=BB52_3 Depth=1
	ds_read2_b64 v[1:4], v40 offset1:16
	s_waitcnt lgkmcnt(0)
	v_cmp_lt_f64_e32 vcc, v[1:2], v[3:4]
	v_cndmask_b32_e32 v2, v2, v4, vcc
	v_cndmask_b32_e32 v1, v1, v3, vcc
	ds_write_b64 v40, v[1:2]
.LBB52_128:                             ;   in Loop: Header=BB52_3 Depth=1
	;; [unrolled: 13-line block ×5, first 2 shown]
	s_or_b64 exec, exec, s[4:5]
	s_waitcnt lgkmcnt(0)
	s_barrier
	s_and_saveexec_b64 s[4:5], s[16:17]
	s_cbranch_execz .LBB52_136
; %bb.135:                              ;   in Loop: Header=BB52_3 Depth=1
	ds_read_b128 v[1:4], v18
	s_waitcnt lgkmcnt(0)
	v_cmp_lt_f64_e32 vcc, v[1:2], v[3:4]
	v_cndmask_b32_e32 v2, v2, v4, vcc
	v_cndmask_b32_e32 v1, v1, v3, vcc
	ds_write_b64 v18, v[1:2]
.LBB52_136:                             ;   in Loop: Header=BB52_3 Depth=1
	s_or_b64 exec, exec, s[4:5]
	v_readlane_b32 s4, v61, 10
	v_readlane_b32 s5, v61, 11
	s_waitcnt lgkmcnt(0)
	s_barrier
	ds_read_b64 v[1:2], v18
	s_load_dwordx2 s[4:5], s[4:5], 0x0
	s_waitcnt lgkmcnt(0)
	v_div_scale_f64 v[3:4], s[20:21], s[4:5], s[4:5], v[1:2]
	v_div_scale_f64 v[9:10], vcc, v[1:2], s[4:5], v[1:2]
	v_rcp_f64_e32 v[5:6], v[3:4]
	v_fma_f64 v[7:8], -v[3:4], v[5:6], 1.0
	v_fma_f64 v[5:6], v[5:6], v[7:8], v[5:6]
	v_fma_f64 v[7:8], -v[3:4], v[5:6], 1.0
	v_fma_f64 v[5:6], v[5:6], v[7:8], v[5:6]
	v_mul_f64 v[7:8], v[9:10], v[5:6]
	v_fma_f64 v[3:4], -v[3:4], v[7:8], v[9:10]
	v_div_fmas_f64 v[3:4], v[3:4], v[5:6], v[7:8]
	v_div_fixup_f64 v[15:16], v[3:4], s[4:5], v[1:2]
.LBB52_137:                             ;   in Loop: Header=BB52_3 Depth=1
	s_andn2_b64 vcc, exec, s[26:27]
	s_cbranch_vccnz .LBB52_155
; %bb.138:                              ;   in Loop: Header=BB52_3 Depth=1
	v_mov_b32_dpp v1, v13 row_shr:1 row_mask:0xf bank_mask:0xf
	v_mov_b32_dpp v2, v14 row_shr:1 row_mask:0xf bank_mask:0xf
	v_cmp_lt_f64_e32 vcc, v[13:14], v[1:2]
	v_cndmask_b32_e32 v2, v14, v2, vcc
	v_cndmask_b32_e32 v1, v13, v1, vcc
	s_nop 0
	v_mov_b32_dpp v4, v2 row_shr:2 row_mask:0xf bank_mask:0xf
	v_mov_b32_dpp v3, v1 row_shr:2 row_mask:0xf bank_mask:0xf
	v_cmp_lt_f64_e32 vcc, v[1:2], v[3:4]
	v_cndmask_b32_e32 v2, v2, v4, vcc
	v_cndmask_b32_e32 v1, v1, v3, vcc
	s_nop 0
	v_mov_b32_dpp v5, v2 row_shr:4 row_mask:0xf bank_mask:0xe
	v_mov_b32_dpp v3, v1 row_shr:4 row_mask:0xf bank_mask:0xe
	s_mov_b64 s[4:5], exec
	v_readlane_b32 s20, v61, 16
	v_readlane_b32 s21, v61, 17
	s_and_b64 s[20:21], s[4:5], s[20:21]
	s_mov_b64 exec, s[20:21]
	s_cbranch_execz .LBB52_140
; %bb.139:                              ;   in Loop: Header=BB52_3 Depth=1
	v_mov_b32_e32 v4, v5
	v_cmp_lt_f64_e32 vcc, v[1:2], v[3:4]
	v_cndmask_b32_e32 v2, v2, v5, vcc
	v_cndmask_b32_e32 v1, v1, v3, vcc
	ds_write_b64 v42, v[1:2]
.LBB52_140:                             ;   in Loop: Header=BB52_3 Depth=1
	s_or_b64 exec, exec, s[4:5]
	s_waitcnt vmcnt(0) lgkmcnt(0)
	s_barrier
	s_and_saveexec_b64 s[4:5], s[24:25]
	s_cbranch_execz .LBB52_142
; %bb.141:                              ;   in Loop: Header=BB52_3 Depth=1
	ds_read2st64_b64 v[1:4], v40 offset1:1
	s_waitcnt lgkmcnt(0)
	v_cmp_lt_f64_e32 vcc, v[1:2], v[3:4]
	v_cndmask_b32_e32 v2, v2, v4, vcc
	v_cndmask_b32_e32 v1, v1, v3, vcc
	ds_write_b64 v40, v[1:2]
.LBB52_142:                             ;   in Loop: Header=BB52_3 Depth=1
	s_or_b64 exec, exec, s[4:5]
	s_waitcnt lgkmcnt(0)
	s_barrier
	s_and_saveexec_b64 s[4:5], s[6:7]
	s_cbranch_execz .LBB52_144
; %bb.143:                              ;   in Loop: Header=BB52_3 Depth=1
	ds_read2_b64 v[1:4], v40 offset1:32
	s_waitcnt lgkmcnt(0)
	v_cmp_lt_f64_e32 vcc, v[1:2], v[3:4]
	v_cndmask_b32_e32 v2, v2, v4, vcc
	v_cndmask_b32_e32 v1, v1, v3, vcc
	ds_write_b64 v40, v[1:2]
.LBB52_144:                             ;   in Loop: Header=BB52_3 Depth=1
	s_or_b64 exec, exec, s[4:5]
	s_waitcnt lgkmcnt(0)
	s_barrier
	s_and_saveexec_b64 s[4:5], s[8:9]
	s_cbranch_execz .LBB52_146
; %bb.145:                              ;   in Loop: Header=BB52_3 Depth=1
	ds_read2_b64 v[1:4], v40 offset1:16
	s_waitcnt lgkmcnt(0)
	v_cmp_lt_f64_e32 vcc, v[1:2], v[3:4]
	v_cndmask_b32_e32 v2, v2, v4, vcc
	v_cndmask_b32_e32 v1, v1, v3, vcc
	ds_write_b64 v40, v[1:2]
.LBB52_146:                             ;   in Loop: Header=BB52_3 Depth=1
	;; [unrolled: 13-line block ×5, first 2 shown]
	s_or_b64 exec, exec, s[4:5]
	s_waitcnt lgkmcnt(0)
	s_barrier
	s_and_saveexec_b64 s[4:5], s[16:17]
	s_cbranch_execz .LBB52_154
; %bb.153:                              ;   in Loop: Header=BB52_3 Depth=1
	ds_read_b128 v[1:4], v18
	s_waitcnt lgkmcnt(0)
	v_cmp_lt_f64_e32 vcc, v[1:2], v[3:4]
	v_cndmask_b32_e32 v2, v2, v4, vcc
	v_cndmask_b32_e32 v1, v1, v3, vcc
	ds_write_b64 v18, v[1:2]
.LBB52_154:                             ;   in Loop: Header=BB52_3 Depth=1
	s_or_b64 exec, exec, s[4:5]
	v_readlane_b32 s4, v61, 10
	v_readlane_b32 s5, v61, 11
	s_waitcnt lgkmcnt(0)
	s_barrier
	ds_read_b64 v[1:2], v18
	s_load_dwordx2 s[4:5], s[4:5], 0x0
	s_waitcnt lgkmcnt(0)
	v_div_scale_f64 v[3:4], s[20:21], s[4:5], s[4:5], v[1:2]
	v_div_scale_f64 v[9:10], vcc, v[1:2], s[4:5], v[1:2]
	v_rcp_f64_e32 v[5:6], v[3:4]
	v_fma_f64 v[7:8], -v[3:4], v[5:6], 1.0
	v_fma_f64 v[5:6], v[5:6], v[7:8], v[5:6]
	v_fma_f64 v[7:8], -v[3:4], v[5:6], 1.0
	v_fma_f64 v[5:6], v[5:6], v[7:8], v[5:6]
	v_mul_f64 v[7:8], v[9:10], v[5:6]
	v_fma_f64 v[3:4], -v[3:4], v[7:8], v[9:10]
	v_div_fmas_f64 v[3:4], v[3:4], v[5:6], v[7:8]
	v_div_fixup_f64 v[13:14], v[3:4], s[4:5], v[1:2]
.LBB52_155:                             ;   in Loop: Header=BB52_3 Depth=1
	s_mov_b64 s[4:5], exec
	v_readlane_b32 s20, v61, 14
	v_readlane_b32 s21, v61, 15
	s_and_b64 s[20:21], s[4:5], s[20:21]
	s_mov_b64 exec, s[20:21]
	s_cbranch_execz .LBB52_167
; %bb.156:                              ;   in Loop: Header=BB52_3 Depth=1
	s_mov_b64 s[20:21], 0
	v_mov_b32_e32 v1, v39
	s_branch .LBB52_158
.LBB52_157:                             ;   in Loop: Header=BB52_158 Depth=2
	s_or_b64 exec, exec, s[22:23]
	v_add_u32_e32 v1, 0x80, v1
	v_cmp_le_u32_e32 vcc, s1, v1
	s_or_b64 s[20:21], vcc, s[20:21]
	s_andn2_b64 exec, exec, s[20:21]
	s_cbranch_execz .LBB52_167
.LBB52_158:                             ;   Parent Loop BB52_3 Depth=1
                                        ; =>  This Loop Header: Depth=2
                                        ;       Child Loop BB52_161 Depth 3
                                        ;       Child Loop BB52_164 Depth 3
	v_cmp_gt_i32_e32 vcc, s33, v1
	s_and_saveexec_b64 s[22:23], vcc
	s_cbranch_execz .LBB52_157
; %bb.159:                              ;   in Loop: Header=BB52_158 Depth=2
	v_ashrrev_i32_e32 v2, 31, v1
	v_lshlrev_b64 v[3:4], 2, v[1:2]
	v_mov_b32_e32 v6, s45
	v_add_co_u32_e32 v5, vcc, s44, v3
	v_addc_co_u32_e32 v6, vcc, v6, v4, vcc
	global_load_dword v7, v[5:6], off
	v_mov_b32_e32 v6, s47
	v_add_co_u32_e32 v5, vcc, s46, v3
	v_addc_co_u32_e32 v6, vcc, v6, v4, vcc
	global_load_dword v6, v[5:6], off
	s_waitcnt vmcnt(1)
	v_add_u32_e32 v5, v43, v7
	s_waitcnt vmcnt(0)
	v_subrev_u32_e32 v10, s75, v6
	v_cmp_lt_i32_e32 vcc, v5, v10
	s_and_saveexec_b64 s[60:61], vcc
	s_cbranch_execz .LBB52_162
; %bb.160:                              ;   in Loop: Header=BB52_158 Depth=2
	v_ashrrev_i32_e32 v6, 31, v5
	v_lshlrev_b64 v[8:9], 4, v[5:6]
	v_mov_b32_e32 v7, s51
	v_add_co_u32_e32 v6, vcc, s50, v8
	v_addc_co_u32_e32 v7, vcc, v7, v9, vcc
	v_mov_b32_e32 v11, s79
	v_add_co_u32_e32 v8, vcc, s78, v8
	v_addc_co_u32_e32 v9, vcc, v11, v9, vcc
	s_mov_b64 s[28:29], 0
.LBB52_161:                             ;   Parent Loop BB52_3 Depth=1
                                        ;     Parent Loop BB52_158 Depth=2
                                        ; =>    This Inner Loop Header: Depth=3
	global_load_dwordx4 v[19:22], v[8:9], off
	v_add_u32_e32 v5, 8, v5
	v_cmp_ge_i32_e32 vcc, v5, v10
	s_or_b64 s[28:29], vcc, s[28:29]
	s_waitcnt vmcnt(0)
	global_store_dwordx4 v[6:7], v[19:22], off
	v_add_co_u32_e32 v6, vcc, 0x80, v6
	v_addc_co_u32_e32 v7, vcc, 0, v7, vcc
	v_add_co_u32_e32 v8, vcc, 0x80, v8
	v_addc_co_u32_e32 v9, vcc, 0, v9, vcc
	s_andn2_b64 exec, exec, s[28:29]
	s_cbranch_execnz .LBB52_161
.LBB52_162:                             ;   in Loop: Header=BB52_158 Depth=2
	s_or_b64 exec, exec, s[60:61]
	v_mov_b32_e32 v6, s37
	v_add_co_u32_e32 v5, vcc, s36, v3
	v_addc_co_u32_e32 v6, vcc, v6, v4, vcc
	global_load_dword v5, v[5:6], off
	v_mov_b32_e32 v6, s39
	v_add_co_u32_e32 v3, vcc, s38, v3
	v_addc_co_u32_e32 v4, vcc, v6, v4, vcc
	global_load_dword v4, v[3:4], off
	s_waitcnt vmcnt(1)
	v_add_u32_e32 v3, v44, v5
	s_waitcnt vmcnt(0)
	v_subrev_u32_e32 v8, s0, v4
	v_cmp_lt_i32_e32 vcc, v3, v8
	s_and_saveexec_b64 s[60:61], vcc
	s_cbranch_execz .LBB52_165
; %bb.163:                              ;   in Loop: Header=BB52_158 Depth=2
	v_ashrrev_i32_e32 v4, 31, v3
	v_lshlrev_b64 v[6:7], 4, v[3:4]
	v_mov_b32_e32 v5, s43
	v_add_co_u32_e32 v4, vcc, s42, v6
	v_addc_co_u32_e32 v5, vcc, v5, v7, vcc
	v_mov_b32_e32 v9, s81
	v_add_co_u32_e32 v6, vcc, s80, v6
	v_addc_co_u32_e32 v7, vcc, v9, v7, vcc
	s_mov_b64 s[28:29], 0
.LBB52_164:                             ;   Parent Loop BB52_3 Depth=1
                                        ;     Parent Loop BB52_158 Depth=2
                                        ; =>    This Inner Loop Header: Depth=3
	global_load_dwordx4 v[9:12], v[6:7], off
	v_add_u32_e32 v3, 8, v3
	v_cmp_ge_i32_e32 vcc, v3, v8
	s_or_b64 s[28:29], vcc, s[28:29]
	s_waitcnt vmcnt(0)
	global_store_dwordx4 v[4:5], v[9:12], off
	v_add_co_u32_e32 v4, vcc, 0x80, v4
	v_addc_co_u32_e32 v5, vcc, 0, v5, vcc
	v_add_co_u32_e32 v6, vcc, 0x80, v6
	v_addc_co_u32_e32 v7, vcc, 0, v7, vcc
	s_andn2_b64 exec, exec, s[28:29]
	s_cbranch_execnz .LBB52_164
.LBB52_165:                             ;   in Loop: Header=BB52_158 Depth=2
	s_or_b64 exec, exec, s[60:61]
	s_and_b64 exec, exec, s[18:19]
	s_cbranch_execz .LBB52_157
; %bb.166:                              ;   in Loop: Header=BB52_158 Depth=2
	v_lshlrev_b64 v[6:7], 4, v[1:2]
	v_mov_b32_e32 v3, s67
	v_add_co_u32_e32 v2, vcc, s66, v6
	v_addc_co_u32_e32 v3, vcc, v3, v7, vcc
	global_load_dwordx4 v[2:5], v[2:3], off
	v_mov_b32_e32 v8, s65
	v_add_co_u32_e32 v6, vcc, s64, v6
	v_addc_co_u32_e32 v7, vcc, v8, v7, vcc
	s_waitcnt vmcnt(0)
	global_store_dwordx4 v[6:7], v[2:5], off
	s_branch .LBB52_157
.LBB52_167:                             ;   in Loop: Header=BB52_3 Depth=1
	s_or_b64 exec, exec, s[4:5]
	s_mov_b64 s[20:21], -1
	s_and_b64 vcc, exec, s[68:69]
	s_mov_b64 s[22:23], -1
	s_cbranch_vccz .LBB52_177
; %bb.168:                              ;   in Loop: Header=BB52_3 Depth=1
	v_readlane_b32 s22, v61, 18
	v_readlane_b32 s23, v61, 19
	s_mov_b64 s[4:5], -1
	s_and_b64 vcc, exec, s[22:23]
                                        ; implicit-def: $sgpr22_sgpr23
	s_cbranch_vccz .LBB52_174
; %bb.169:                              ;   in Loop: Header=BB52_3 Depth=1
	v_readlane_b32 s22, v61, 12
	v_readlane_b32 s23, v61, 13
	s_and_b64 vcc, exec, s[22:23]
                                        ; implicit-def: $sgpr22_sgpr23
	s_cbranch_vccz .LBB52_171
; %bb.170:                              ;   in Loop: Header=BB52_3 Depth=1
	v_readlane_b32 s28, v61, 0
	v_readlane_b32 s30, v61, 2
	;; [unrolled: 1-line block ×4, first 2 shown]
	v_cmp_ge_f64_e64 s[22:23], s[30:31], v[13:14]
	s_mov_b64 s[4:5], 0
.LBB52_171:                             ;   in Loop: Header=BB52_3 Depth=1
	s_andn2_b64 vcc, exec, s[4:5]
	s_cbranch_vccnz .LBB52_173
; %bb.172:                              ;   in Loop: Header=BB52_3 Depth=1
	v_readlane_b32 s28, v61, 0
	v_readlane_b32 s30, v61, 2
	;; [unrolled: 1-line block ×3, first 2 shown]
	v_cmp_ge_f64_e32 vcc, s[30:31], v[15:16]
	s_andn2_b64 s[4:5], s[22:23], exec
	v_readlane_b32 s29, v61, 1
	s_and_b64 s[22:23], vcc, exec
	s_or_b64 s[22:23], s[4:5], s[22:23]
.LBB52_173:                             ;   in Loop: Header=BB52_3 Depth=1
	s_mov_b64 s[4:5], 0
.LBB52_174:                             ;   in Loop: Header=BB52_3 Depth=1
	s_andn2_b64 vcc, exec, s[4:5]
	s_cbranch_vccnz .LBB52_176
; %bb.175:                              ;   in Loop: Header=BB52_3 Depth=1
	v_readlane_b32 s28, v61, 0
	v_readlane_b32 s30, v61, 2
	;; [unrolled: 1-line block ×3, first 2 shown]
	v_cmp_ge_f64_e32 vcc, s[30:31], v[15:16]
	v_cmp_ge_f64_e64 s[4:5], s[30:31], v[13:14]
	s_andn2_b64 s[22:23], s[22:23], exec
	v_readlane_b32 s29, v61, 1
	s_and_b64 s[4:5], vcc, s[4:5]
	s_and_b64 s[4:5], s[4:5], exec
	s_or_b64 s[22:23], s[22:23], s[4:5]
.LBB52_176:                             ;   in Loop: Header=BB52_3 Depth=1
	s_xor_b64 s[22:23], s[22:23], -1
.LBB52_177:                             ;   in Loop: Header=BB52_3 Depth=1
	v_mov_b32_e32 v1, s70
	s_and_saveexec_b64 s[4:5], s[22:23]
	s_cbranch_execz .LBB52_2
; %bb.178:                              ;   in Loop: Header=BB52_3 Depth=1
	s_add_i32 s70, s70, 1
	s_cmp_eq_u32 s70, s71
	s_cselect_b64 s[20:21], -1, 0
	v_mov_b32_e32 v1, s71
	s_orn2_b64 s[20:21], s[20:21], exec
	s_branch .LBB52_2
.LBB52_179:
	s_or_b64 exec, exec, s[84:85]
	v_readlane_b32 s8, v61, 6
	v_readlane_b32 s9, v61, 7
	;; [unrolled: 1-line block ×4, first 2 shown]
.LBB52_180:
	v_readlane_b32 s0, v61, 4
	v_readlane_b32 s1, v61, 5
	s_or_b64 exec, exec, s[0:1]
	s_andn2_b64 vcc, exec, s[68:69]
	s_cbranch_vccnz .LBB52_201
; %bb.181:
	v_mov_b32_dpp v2, v1 row_shr:1 row_mask:0xf bank_mask:0xf
	v_max_i32_e32 v1, v1, v2
	v_cmp_eq_u32_e32 vcc, 7, v38
	s_nop 0
	v_mov_b32_dpp v2, v1 row_shr:2 row_mask:0xf bank_mask:0xf
	v_max_i32_e32 v1, v1, v2
	s_nop 1
	v_mov_b32_dpp v2, v1 row_shr:4 row_mask:0xf bank_mask:0xe
	s_and_saveexec_b64 s[0:1], vcc
; %bb.182:
	v_lshlrev_b32_e32 v3, 2, v37
	v_max_i32_e32 v1, v1, v2
	ds_write_b32 v3, v1 offset:1024
; %bb.183:
	s_or_b64 exec, exec, s[0:1]
	v_cmp_gt_u32_e32 vcc, 64, v0
	v_lshlrev_b32_e32 v1, 2, v0
	s_waitcnt vmcnt(0) lgkmcnt(0)
	s_barrier
	s_and_saveexec_b64 s[0:1], vcc
	s_cbranch_execz .LBB52_185
; %bb.184:
	ds_read2st64_b32 v[2:3], v1 offset0:4 offset1:5
	s_waitcnt lgkmcnt(0)
	v_max_i32_e32 v2, v2, v3
	ds_write_b32 v1, v2 offset:1024
.LBB52_185:
	s_or_b64 exec, exec, s[0:1]
	v_cmp_gt_u32_e32 vcc, 32, v0
	s_waitcnt lgkmcnt(0)
	s_barrier
	s_and_saveexec_b64 s[0:1], vcc
	s_cbranch_execz .LBB52_187
; %bb.186:
	v_add_u32_e32 v2, 0x400, v1
	ds_read2_b32 v[2:3], v2 offset1:32
	s_waitcnt lgkmcnt(0)
	v_max_i32_e32 v2, v2, v3
	ds_write_b32 v1, v2 offset:1024
.LBB52_187:
	s_or_b64 exec, exec, s[0:1]
	v_cmp_gt_u32_e32 vcc, 16, v0
	s_waitcnt lgkmcnt(0)
	s_barrier
	s_and_saveexec_b64 s[0:1], vcc
	s_cbranch_execz .LBB52_189
; %bb.188:
	v_add_u32_e32 v2, 0x400, v1
	ds_read2_b32 v[2:3], v2 offset1:16
	s_waitcnt lgkmcnt(0)
	v_max_i32_e32 v2, v2, v3
	ds_write_b32 v1, v2 offset:1024
.LBB52_189:
	;; [unrolled: 13-line block ×5, first 2 shown]
	s_or_b64 exec, exec, s[0:1]
	v_cmp_eq_u32_e32 vcc, 0, v0
	s_waitcnt lgkmcnt(0)
	s_barrier
	s_and_saveexec_b64 s[0:1], vcc
	s_cbranch_execz .LBB52_197
; %bb.196:
	v_mov_b32_e32 v3, 0
	ds_read_b64 v[1:2], v3 offset:1024
	s_waitcnt lgkmcnt(0)
	v_max_i32_e32 v1, v1, v2
	ds_write_b32 v3, v1 offset:1024
.LBB52_197:
	s_or_b64 exec, exec, s[0:1]
	s_waitcnt lgkmcnt(0)
	s_barrier
	s_and_saveexec_b64 s[0:1], vcc
	s_cbranch_execz .LBB52_200
; %bb.198:
	v_mbcnt_lo_u32_b32 v1, exec_lo, 0
	v_mbcnt_hi_u32_b32 v1, exec_hi, v1
	v_cmp_eq_u32_e32 vcc, 0, v1
	s_and_b64 exec, exec, vcc
	s_cbranch_execz .LBB52_200
; %bb.199:
	v_mov_b32_e32 v1, 0
	ds_read_b32 v2, v1 offset:1024
	v_readlane_b32 s4, v61, 0
	v_readlane_b32 s5, v61, 1
	;; [unrolled: 1-line block ×4, first 2 shown]
	s_waitcnt lgkmcnt(0)
	v_add_u32_e32 v2, 1, v2
	s_nop 0
	global_atomic_smax v1, v2, s[4:5]
.LBB52_200:
	s_or_b64 exec, exec, s[0:1]
.LBB52_201:
	v_cmp_eq_u32_e32 vcc, 0, v0
	s_and_b64 s[0:1], vcc, s[34:35]
	s_and_saveexec_b64 s[2:3], s[0:1]
	s_cbranch_execz .LBB52_208
; %bb.202:
	v_mov_b32_e32 v0, 0
	s_mov_b64 s[0:1], exec
	v_mov_b32_e32 v1, 0x7ff80000
.LBB52_203:                             ; =>This Inner Loop Header: Depth=1
	s_ff1_i32_b64 s6, s[0:1]
	v_readlane_b32 s5, v16, s6
	v_readlane_b32 s4, v15, s6
	v_max_f64 v[0:1], v[0:1], v[0:1]
	v_max_f64 v[2:3], s[4:5], s[4:5]
	s_lshl_b64 s[4:5], 1, s6
	s_andn2_b64 s[0:1], s[0:1], s[4:5]
	s_cmp_lg_u64 s[0:1], 0
	v_max_f64 v[0:1], v[0:1], v[2:3]
	s_cbranch_scc1 .LBB52_203
; %bb.204:
	v_mbcnt_lo_u32_b32 v2, exec_lo, 0
	v_mbcnt_hi_u32_b32 v2, exec_hi, v2
	v_cmp_eq_u32_e64 s[0:1], 0, v2
	s_and_saveexec_b64 s[4:5], s[0:1]
	s_xor_b64 s[4:5], exec, s[4:5]
	s_cbranch_execz .LBB52_208
; %bb.205:
	v_mov_b32_e32 v6, 0
	global_load_dwordx2 v[2:3], v6, s[8:9]
	v_max_f64 v[4:5], v[0:1], v[0:1]
	s_mov_b64 s[4:5], 0
.LBB52_206:                             ; =>This Inner Loop Header: Depth=1
	s_waitcnt vmcnt(0)
	v_max_f64 v[0:1], v[2:3], v[2:3]
	v_max_f64 v[0:1], v[0:1], v[4:5]
	global_atomic_cmpswap_x2 v[0:1], v6, v[0:3], s[8:9] glc
	s_waitcnt vmcnt(0)
	v_cmp_eq_u64_e64 s[0:1], v[0:1], v[2:3]
	v_mov_b32_e32 v3, v1
	s_or_b64 s[4:5], s[0:1], s[4:5]
	v_mov_b32_e32 v2, v0
	s_andn2_b64 exec, exec, s[4:5]
	s_cbranch_execnz .LBB52_206
; %bb.207:
	s_or_b64 exec, exec, s[4:5]
.LBB52_208:
	s_or_b64 exec, exec, s[2:3]
	s_and_b64 s[0:1], vcc, s[26:27]
	s_and_saveexec_b64 s[2:3], s[0:1]
	s_cbranch_execz .LBB52_214
; %bb.209:
	v_mov_b32_e32 v0, 0
	s_mov_b64 s[0:1], exec
	v_mov_b32_e32 v1, 0x7ff80000
.LBB52_210:                             ; =>This Inner Loop Header: Depth=1
	s_ff1_i32_b64 s4, s[0:1]
	v_readlane_b32 s3, v14, s4
	v_readlane_b32 s2, v13, s4
	v_max_f64 v[0:1], v[0:1], v[0:1]
	v_max_f64 v[2:3], s[2:3], s[2:3]
	s_lshl_b64 s[2:3], 1, s4
	s_andn2_b64 s[0:1], s[0:1], s[2:3]
	s_cmp_lg_u64 s[0:1], 0
	v_max_f64 v[0:1], v[0:1], v[2:3]
	s_cbranch_scc1 .LBB52_210
; %bb.211:
	v_mbcnt_lo_u32_b32 v2, exec_lo, 0
	v_mbcnt_hi_u32_b32 v2, exec_hi, v2
	v_cmp_eq_u32_e32 vcc, 0, v2
	s_and_saveexec_b64 s[0:1], vcc
	s_xor_b64 s[0:1], exec, s[0:1]
	s_cbranch_execz .LBB52_214
; %bb.212:
	v_mov_b32_e32 v6, 0
	global_load_dwordx2 v[2:3], v6, s[10:11]
	v_max_f64 v[4:5], v[0:1], v[0:1]
	s_mov_b64 s[0:1], 0
.LBB52_213:                             ; =>This Inner Loop Header: Depth=1
	s_waitcnt vmcnt(0)
	v_max_f64 v[0:1], v[2:3], v[2:3]
	v_max_f64 v[0:1], v[0:1], v[4:5]
	global_atomic_cmpswap_x2 v[0:1], v6, v[0:3], s[10:11] glc
	s_waitcnt vmcnt(0)
	v_cmp_eq_u64_e32 vcc, v[0:1], v[2:3]
	v_mov_b32_e32 v3, v1
	s_or_b64 s[0:1], vcc, s[0:1]
	v_mov_b32_e32 v2, v0
	s_andn2_b64 exec, exec, s[0:1]
	s_cbranch_execnz .LBB52_213
.LBB52_214:
	s_endpgm
	.section	.rodata,"a",@progbits
	.p2align	6, 0x0
	.amdhsa_kernel _ZN9rocsparseL6kernelILi1024ELi8E21rocsparse_complex_numIdEiiEEvbbbT3_PS3_NS_15floating_traitsIT1_E6data_tES3_T2_PKS9_SB_PKS3_PKS6_21rocsparse_index_base_SB_SB_SD_PS6_SH_SG_SB_SB_SD_SH_SH_SG_SH_SH_PS8_SI_PKS8_
		.amdhsa_group_segment_fixed_size 1536
		.amdhsa_private_segment_fixed_size 0
		.amdhsa_kernarg_size 208
		.amdhsa_user_sgpr_count 6
		.amdhsa_user_sgpr_private_segment_buffer 1
		.amdhsa_user_sgpr_dispatch_ptr 0
		.amdhsa_user_sgpr_queue_ptr 0
		.amdhsa_user_sgpr_kernarg_segment_ptr 1
		.amdhsa_user_sgpr_dispatch_id 0
		.amdhsa_user_sgpr_flat_scratch_init 0
		.amdhsa_user_sgpr_private_segment_size 0
		.amdhsa_uses_dynamic_stack 0
		.amdhsa_system_sgpr_private_segment_wavefront_offset 0
		.amdhsa_system_sgpr_workgroup_id_x 1
		.amdhsa_system_sgpr_workgroup_id_y 0
		.amdhsa_system_sgpr_workgroup_id_z 0
		.amdhsa_system_sgpr_workgroup_info 0
		.amdhsa_system_vgpr_workitem_id 0
		.amdhsa_next_free_vgpr 62
		.amdhsa_next_free_sgpr 96
		.amdhsa_reserve_vcc 1
		.amdhsa_reserve_flat_scratch 0
		.amdhsa_float_round_mode_32 0
		.amdhsa_float_round_mode_16_64 0
		.amdhsa_float_denorm_mode_32 3
		.amdhsa_float_denorm_mode_16_64 3
		.amdhsa_dx10_clamp 1
		.amdhsa_ieee_mode 1
		.amdhsa_fp16_overflow 0
		.amdhsa_exception_fp_ieee_invalid_op 0
		.amdhsa_exception_fp_denorm_src 0
		.amdhsa_exception_fp_ieee_div_zero 0
		.amdhsa_exception_fp_ieee_overflow 0
		.amdhsa_exception_fp_ieee_underflow 0
		.amdhsa_exception_fp_ieee_inexact 0
		.amdhsa_exception_int_div_zero 0
	.end_amdhsa_kernel
	.section	.text._ZN9rocsparseL6kernelILi1024ELi8E21rocsparse_complex_numIdEiiEEvbbbT3_PS3_NS_15floating_traitsIT1_E6data_tES3_T2_PKS9_SB_PKS3_PKS6_21rocsparse_index_base_SB_SB_SD_PS6_SH_SG_SB_SB_SD_SH_SH_SG_SH_SH_PS8_SI_PKS8_,"axG",@progbits,_ZN9rocsparseL6kernelILi1024ELi8E21rocsparse_complex_numIdEiiEEvbbbT3_PS3_NS_15floating_traitsIT1_E6data_tES3_T2_PKS9_SB_PKS3_PKS6_21rocsparse_index_base_SB_SB_SD_PS6_SH_SG_SB_SB_SD_SH_SH_SG_SH_SH_PS8_SI_PKS8_,comdat
.Lfunc_end52:
	.size	_ZN9rocsparseL6kernelILi1024ELi8E21rocsparse_complex_numIdEiiEEvbbbT3_PS3_NS_15floating_traitsIT1_E6data_tES3_T2_PKS9_SB_PKS3_PKS6_21rocsparse_index_base_SB_SB_SD_PS6_SH_SG_SB_SB_SD_SH_SH_SG_SH_SH_PS8_SI_PKS8_, .Lfunc_end52-_ZN9rocsparseL6kernelILi1024ELi8E21rocsparse_complex_numIdEiiEEvbbbT3_PS3_NS_15floating_traitsIT1_E6data_tES3_T2_PKS9_SB_PKS3_PKS6_21rocsparse_index_base_SB_SB_SD_PS6_SH_SG_SB_SB_SD_SH_SH_SG_SH_SH_PS8_SI_PKS8_
                                        ; -- End function
	.set _ZN9rocsparseL6kernelILi1024ELi8E21rocsparse_complex_numIdEiiEEvbbbT3_PS3_NS_15floating_traitsIT1_E6data_tES3_T2_PKS9_SB_PKS3_PKS6_21rocsparse_index_base_SB_SB_SD_PS6_SH_SG_SB_SB_SD_SH_SH_SG_SH_SH_PS8_SI_PKS8_.num_vgpr, 62
	.set _ZN9rocsparseL6kernelILi1024ELi8E21rocsparse_complex_numIdEiiEEvbbbT3_PS3_NS_15floating_traitsIT1_E6data_tES3_T2_PKS9_SB_PKS3_PKS6_21rocsparse_index_base_SB_SB_SD_PS6_SH_SG_SB_SB_SD_SH_SH_SG_SH_SH_PS8_SI_PKS8_.num_agpr, 0
	.set _ZN9rocsparseL6kernelILi1024ELi8E21rocsparse_complex_numIdEiiEEvbbbT3_PS3_NS_15floating_traitsIT1_E6data_tES3_T2_PKS9_SB_PKS3_PKS6_21rocsparse_index_base_SB_SB_SD_PS6_SH_SG_SB_SB_SD_SH_SH_SG_SH_SH_PS8_SI_PKS8_.numbered_sgpr, 96
	.set _ZN9rocsparseL6kernelILi1024ELi8E21rocsparse_complex_numIdEiiEEvbbbT3_PS3_NS_15floating_traitsIT1_E6data_tES3_T2_PKS9_SB_PKS3_PKS6_21rocsparse_index_base_SB_SB_SD_PS6_SH_SG_SB_SB_SD_SH_SH_SG_SH_SH_PS8_SI_PKS8_.num_named_barrier, 0
	.set _ZN9rocsparseL6kernelILi1024ELi8E21rocsparse_complex_numIdEiiEEvbbbT3_PS3_NS_15floating_traitsIT1_E6data_tES3_T2_PKS9_SB_PKS3_PKS6_21rocsparse_index_base_SB_SB_SD_PS6_SH_SG_SB_SB_SD_SH_SH_SG_SH_SH_PS8_SI_PKS8_.private_seg_size, 0
	.set _ZN9rocsparseL6kernelILi1024ELi8E21rocsparse_complex_numIdEiiEEvbbbT3_PS3_NS_15floating_traitsIT1_E6data_tES3_T2_PKS9_SB_PKS3_PKS6_21rocsparse_index_base_SB_SB_SD_PS6_SH_SG_SB_SB_SD_SH_SH_SG_SH_SH_PS8_SI_PKS8_.uses_vcc, 1
	.set _ZN9rocsparseL6kernelILi1024ELi8E21rocsparse_complex_numIdEiiEEvbbbT3_PS3_NS_15floating_traitsIT1_E6data_tES3_T2_PKS9_SB_PKS3_PKS6_21rocsparse_index_base_SB_SB_SD_PS6_SH_SG_SB_SB_SD_SH_SH_SG_SH_SH_PS8_SI_PKS8_.uses_flat_scratch, 0
	.set _ZN9rocsparseL6kernelILi1024ELi8E21rocsparse_complex_numIdEiiEEvbbbT3_PS3_NS_15floating_traitsIT1_E6data_tES3_T2_PKS9_SB_PKS3_PKS6_21rocsparse_index_base_SB_SB_SD_PS6_SH_SG_SB_SB_SD_SH_SH_SG_SH_SH_PS8_SI_PKS8_.has_dyn_sized_stack, 0
	.set _ZN9rocsparseL6kernelILi1024ELi8E21rocsparse_complex_numIdEiiEEvbbbT3_PS3_NS_15floating_traitsIT1_E6data_tES3_T2_PKS9_SB_PKS3_PKS6_21rocsparse_index_base_SB_SB_SD_PS6_SH_SG_SB_SB_SD_SH_SH_SG_SH_SH_PS8_SI_PKS8_.has_recursion, 0
	.set _ZN9rocsparseL6kernelILi1024ELi8E21rocsparse_complex_numIdEiiEEvbbbT3_PS3_NS_15floating_traitsIT1_E6data_tES3_T2_PKS9_SB_PKS3_PKS6_21rocsparse_index_base_SB_SB_SD_PS6_SH_SG_SB_SB_SD_SH_SH_SG_SH_SH_PS8_SI_PKS8_.has_indirect_call, 0
	.section	.AMDGPU.csdata,"",@progbits
; Kernel info:
; codeLenInByte = 9524
; TotalNumSgprs: 100
; NumVgprs: 62
; ScratchSize: 0
; MemoryBound: 1
; FloatMode: 240
; IeeeMode: 1
; LDSByteSize: 1536 bytes/workgroup (compile time only)
; SGPRBlocks: 12
; VGPRBlocks: 15
; NumSGPRsForWavesPerEU: 100
; NumVGPRsForWavesPerEU: 62
; Occupancy: 4
; WaveLimiterHint : 1
; COMPUTE_PGM_RSRC2:SCRATCH_EN: 0
; COMPUTE_PGM_RSRC2:USER_SGPR: 6
; COMPUTE_PGM_RSRC2:TRAP_HANDLER: 0
; COMPUTE_PGM_RSRC2:TGID_X_EN: 1
; COMPUTE_PGM_RSRC2:TGID_Y_EN: 0
; COMPUTE_PGM_RSRC2:TGID_Z_EN: 0
; COMPUTE_PGM_RSRC2:TIDIG_COMP_CNT: 0
	.section	.text._ZN9rocsparseL6kernelILi1024ELi16E21rocsparse_complex_numIdEiiEEvbbbT3_PS3_NS_15floating_traitsIT1_E6data_tES3_T2_PKS9_SB_PKS3_PKS6_21rocsparse_index_base_SB_SB_SD_PS6_SH_SG_SB_SB_SD_SH_SH_SG_SH_SH_PS8_SI_PKS8_,"axG",@progbits,_ZN9rocsparseL6kernelILi1024ELi16E21rocsparse_complex_numIdEiiEEvbbbT3_PS3_NS_15floating_traitsIT1_E6data_tES3_T2_PKS9_SB_PKS3_PKS6_21rocsparse_index_base_SB_SB_SD_PS6_SH_SG_SB_SB_SD_SH_SH_SG_SH_SH_PS8_SI_PKS8_,comdat
	.globl	_ZN9rocsparseL6kernelILi1024ELi16E21rocsparse_complex_numIdEiiEEvbbbT3_PS3_NS_15floating_traitsIT1_E6data_tES3_T2_PKS9_SB_PKS3_PKS6_21rocsparse_index_base_SB_SB_SD_PS6_SH_SG_SB_SB_SD_SH_SH_SG_SH_SH_PS8_SI_PKS8_ ; -- Begin function _ZN9rocsparseL6kernelILi1024ELi16E21rocsparse_complex_numIdEiiEEvbbbT3_PS3_NS_15floating_traitsIT1_E6data_tES3_T2_PKS9_SB_PKS3_PKS6_21rocsparse_index_base_SB_SB_SD_PS6_SH_SG_SB_SB_SD_SH_SH_SG_SH_SH_PS8_SI_PKS8_
	.p2align	8
	.type	_ZN9rocsparseL6kernelILi1024ELi16E21rocsparse_complex_numIdEiiEEvbbbT3_PS3_NS_15floating_traitsIT1_E6data_tES3_T2_PKS9_SB_PKS3_PKS6_21rocsparse_index_base_SB_SB_SD_PS6_SH_SG_SB_SB_SD_SH_SH_SG_SH_SH_PS8_SI_PKS8_,@function
_ZN9rocsparseL6kernelILi1024ELi16E21rocsparse_complex_numIdEiiEEvbbbT3_PS3_NS_15floating_traitsIT1_E6data_tES3_T2_PKS9_SB_PKS3_PKS6_21rocsparse_index_base_SB_SB_SD_PS6_SH_SG_SB_SB_SD_SH_SH_SG_SH_SH_PS8_SI_PKS8_: ; @_ZN9rocsparseL6kernelILi1024ELi16E21rocsparse_complex_numIdEiiEEvbbbT3_PS3_NS_15floating_traitsIT1_E6data_tES3_T2_PKS9_SB_PKS3_PKS6_21rocsparse_index_base_SB_SB_SD_PS6_SH_SG_SB_SB_SD_SH_SH_SG_SH_SH_PS8_SI_PKS8_
; %bb.0:
	s_load_dword s0, s[4:5], 0x0
	s_load_dwordx2 s[68:69], s[4:5], 0x0
	s_load_dwordx4 s[8:11], s[4:5], 0xb8
	s_load_dwordx4 s[12:15], s[4:5], 0x8
	s_load_dword s33, s[4:5], 0x18
	s_waitcnt lgkmcnt(0)
	s_bitcmp1_b32 s0, 0
	s_cselect_b64 s[66:67], -1, 0
	s_bitcmp1_b32 s0, 8
                                        ; implicit-def: $vgpr61 : SGPR spill to VGPR lane
	s_cselect_b64 s[64:65], -1, 0
	s_bitcmp1_b32 s68, 16
	v_writelane_b32 v61, s12, 0
	s_cselect_b64 s[34:35], -1, 0
	v_lshrrev_b32_e32 v37, 4, v0
	s_lshl_b32 s73, s6, 10
	v_writelane_b32 v61, s13, 1
	v_or_b32_e32 v39, s73, v37
	v_mov_b32_e32 v1, 0
	s_cmp_gt_i32 s69, 0
	v_mov_b32_e32 v15, 0
	v_mov_b32_e32 v13, 0
	v_writelane_b32 v61, s14, 2
	v_and_b32_e32 v38, 15, v0
	v_lshlrev_b32_e32 v40, 3, v0
	s_mov_b32 s54, 0
	v_mov_b32_e32 v2, v1
	v_cmp_gt_i32_e32 vcc, s33, v39
	s_cselect_b64 s[0:1], -1, 0
	v_mov_b32_e32 v16, 0
	v_mov_b32_e32 v14, 0
	v_writelane_b32 v61, s15, 3
	ds_write_b64 v40, v[1:2]
	s_waitcnt lgkmcnt(0)
	s_barrier
	s_and_b64 s[0:1], s[0:1], vcc
	s_mov_b64 s[2:3], exec
	v_writelane_b32 v61, s2, 4
	s_and_b64 s[0:1], s[2:3], s[0:1]
	v_writelane_b32 v61, s3, 5
	s_mov_b64 exec, s[0:1]
	s_cbranch_execz .LBB53_176
; %bb.1:
	s_load_dwordx2 s[0:1], s[4:5], 0xc8
	v_writelane_b32 v61, s8, 6
	v_writelane_b32 v61, s9, 7
	;; [unrolled: 1-line block ×4, first 2 shown]
	s_waitcnt lgkmcnt(0)
	v_writelane_b32 v61, s0, 10
	v_writelane_b32 v61, s1, 11
	s_xor_b64 s[0:1], s[64:65], -1
	v_writelane_b32 v61, s0, 12
	s_addk_i32 s73, 0x400
	s_load_dwordx4 s[60:63], s[4:5], 0xa8
	s_load_dwordx8 s[24:31], s[4:5], 0x78
	v_writelane_b32 v61, s1, 13
	s_load_dword s55, s[4:5], 0x40
	s_load_dwordx2 s[76:77], s[4:5], 0x68
	s_load_dword s68, s[4:5], 0x70
	s_load_dwordx2 s[78:79], s[4:5], 0x98
	s_load_dword s72, s[4:5], 0xa0
	v_cmp_gt_u32_e64 s[0:1], s73, v39
	v_writelane_b32 v61, s0, 14
	s_load_dwordx8 s[36:43], s[4:5], 0x48
	s_load_dwordx8 s[44:51], s[4:5], 0x20
	v_writelane_b32 v61, s1, 15
	s_and_b64 s[0:1], s[64:65], s[34:35]
	s_xor_b64 s[0:1], s[0:1], -1
	v_writelane_b32 v61, s0, 16
	v_mov_b32_e32 v13, 0
	s_mov_b32 s84, 0
	v_mov_b32_e32 v15, 0
	s_waitcnt lgkmcnt(0)
	v_subrev_u32_e32 v41, s55, v38
	v_cmp_eq_u32_e64 s[2:3], 15, v38
	v_lshlrev_b32_e32 v42, 3, v37
	v_cmp_gt_u32_e64 s[22:23], 32, v0
	v_cmp_gt_u32_e64 s[6:7], 16, v0
	;; [unrolled: 1-line block ×5, first 2 shown]
	v_cmp_eq_u32_e64 s[14:15], 0, v0
	v_subrev_u32_e32 v43, s68, v38
	v_subrev_u32_e32 v44, s72, v38
	v_cmp_eq_u32_e64 s[16:17], 0, v38
	v_writelane_b32 v61, s1, 17
	v_mov_b32_e32 v14, 0
	s_mov_b64 s[82:83], 0
	v_mov_b32_e32 v18, 0
	s_brev_b32 s85, 8
	v_mov_b32_e32 v45, 0x260
	s_movk_i32 s0, 0x1f8
	v_mov_b32_e32 v46, 0x100
	v_mov_b32_e32 v16, 0
	;; [unrolled: 1-line block ×3, first 2 shown]
	s_branch .LBB53_3
.LBB53_2:                               ;   in Loop: Header=BB53_3 Depth=1
	s_or_b64 exec, exec, s[4:5]
	s_and_b64 s[4:5], exec, s[18:19]
	s_or_b64 s[82:83], s[4:5], s[82:83]
	s_andn2_b64 exec, exec, s[82:83]
	s_cbranch_execz .LBB53_175
.LBB53_3:                               ; =>This Loop Header: Depth=1
                                        ;     Child Loop BB53_7 Depth 2
                                        ;       Child Loop BB53_12 Depth 3
                                        ;         Child Loop BB53_16 Depth 4
                                        ;         Child Loop BB53_51 Depth 4
	;; [unrolled: 1-line block ×5, first 2 shown]
                                        ;     Child Loop BB53_154 Depth 2
                                        ;       Child Loop BB53_157 Depth 3
                                        ;       Child Loop BB53_160 Depth 3
	s_mov_b32 s1, 0
	v_cndmask_b32_e64 v16, v16, 0, s[64:65]
	v_cndmask_b32_e64 v15, v15, 0, s[64:65]
	;; [unrolled: 1-line block ×4, first 2 shown]
	s_branch .LBB53_7
.LBB53_4:                               ;   in Loop: Header=BB53_7 Depth=2
	s_or_b64 exec, exec, s[88:89]
.LBB53_5:                               ;   in Loop: Header=BB53_7 Depth=2
	s_or_b64 exec, exec, s[86:87]
.LBB53_6:                               ;   in Loop: Header=BB53_7 Depth=2
	s_or_b64 exec, exec, s[4:5]
	s_add_i32 s1, s1, 1
	s_cmp_eq_u32 s1, 16
	s_cbranch_scc1 .LBB53_119
.LBB53_7:                               ;   Parent Loop BB53_3 Depth=1
                                        ; =>  This Loop Header: Depth=2
                                        ;       Child Loop BB53_12 Depth 3
                                        ;         Child Loop BB53_16 Depth 4
                                        ;         Child Loop BB53_51 Depth 4
	;; [unrolled: 1-line block ×5, first 2 shown]
	v_lshl_add_u32 v19, s1, 6, v39
	v_cmp_gt_i32_e32 vcc, s33, v19
	s_and_saveexec_b64 s[4:5], vcc
	s_cbranch_execz .LBB53_6
; %bb.8:                                ;   in Loop: Header=BB53_7 Depth=2
	v_ashrrev_i32_e32 v20, 31, v19
	v_lshlrev_b64 v[1:2], 2, v[19:20]
	v_mov_b32_e32 v4, s45
	v_add_co_u32_e32 v3, vcc, s44, v1
	v_addc_co_u32_e32 v4, vcc, v4, v2, vcc
	global_load_dword v5, v[3:4], off
	v_mov_b32_e32 v4, s47
	v_add_co_u32_e32 v3, vcc, s46, v1
	v_addc_co_u32_e32 v4, vcc, v4, v2, vcc
	global_load_dword v3, v[3:4], off
	s_waitcnt vmcnt(1)
	v_add_u32_e32 v20, v41, v5
	s_waitcnt vmcnt(0)
	v_subrev_u32_e32 v48, s55, v3
	v_cmp_lt_i32_e32 vcc, v20, v48
	s_and_saveexec_b64 s[86:87], vcc
	s_cbranch_execz .LBB53_5
; %bb.9:                                ;   in Loop: Header=BB53_7 Depth=2
	v_mov_b32_e32 v4, s39
	v_add_co_u32_e32 v3, vcc, s38, v1
	v_addc_co_u32_e32 v4, vcc, v4, v2, vcc
	v_mov_b32_e32 v5, s37
	v_add_co_u32_e32 v1, vcc, s36, v1
	v_addc_co_u32_e32 v2, vcc, v5, v2, vcc
	global_load_dword v1, v[1:2], off
	s_nop 0
	global_load_dword v2, v[3:4], off
	v_mov_b32_e32 v5, s41
	v_mov_b32_e32 v6, s43
	s_mov_b64 s[88:89], 0
	s_waitcnt vmcnt(1)
	v_subrev_u32_e32 v22, s68, v1
	v_ashrrev_i32_e32 v23, 31, v22
	s_waitcnt vmcnt(0)
	v_sub_u32_e32 v49, v2, v1
	v_lshlrev_b64 v[1:2], 2, v[22:23]
	v_lshlrev_b64 v[3:4], 4, v[22:23]
	v_add_co_u32_e32 v50, vcc, s40, v1
	v_addc_co_u32_e32 v51, vcc, v5, v2, vcc
	v_add_co_u32_e32 v52, vcc, s42, v3
	v_cmp_lt_i32_e64 s[18:19], 0, v49
	v_addc_co_u32_e32 v53, vcc, v6, v4, vcc
	s_branch .LBB53_12
.LBB53_10:                              ;   in Loop: Header=BB53_12 Depth=3
	s_or_b64 exec, exec, s[52:53]
.LBB53_11:                              ;   in Loop: Header=BB53_12 Depth=3
	s_or_b64 exec, exec, s[20:21]
	v_add_u32_e32 v20, 16, v20
	v_cmp_ge_i32_e32 vcc, v20, v48
	s_or_b64 s[88:89], vcc, s[88:89]
	s_andn2_b64 exec, exec, s[88:89]
	s_cbranch_execz .LBB53_4
.LBB53_12:                              ;   Parent Loop BB53_3 Depth=1
                                        ;     Parent Loop BB53_7 Depth=2
                                        ; =>    This Loop Header: Depth=3
                                        ;         Child Loop BB53_16 Depth 4
                                        ;         Child Loop BB53_51 Depth 4
	;; [unrolled: 1-line block ×5, first 2 shown]
	v_ashrrev_i32_e32 v21, 31, v20
	v_lshlrev_b64 v[1:2], 2, v[20:21]
	v_mov_b32_e32 v3, s49
	v_add_co_u32_e32 v1, vcc, s48, v1
	v_addc_co_u32_e32 v2, vcc, v3, v2, vcc
	global_load_dword v1, v[1:2], off
	v_mov_b32_e32 v4, s25
	v_mov_b32_e32 v5, s27
	;; [unrolled: 1-line block ×8, first 2 shown]
	s_waitcnt vmcnt(0)
	v_subrev_u32_e32 v23, s55, v1
	v_ashrrev_i32_e32 v24, 31, v23
	v_lshlrev_b64 v[1:2], 2, v[23:24]
	v_add_co_u32_e32 v3, vcc, s24, v1
	v_addc_co_u32_e32 v4, vcc, v4, v2, vcc
	v_add_co_u32_e32 v1, vcc, s26, v1
	v_addc_co_u32_e32 v2, vcc, v5, v2, vcc
	global_load_dword v3, v[3:4], off
	s_nop 0
	global_load_dword v1, v[1:2], off
	s_waitcnt vmcnt(1)
	v_subrev_u32_e32 v29, s72, v3
	s_waitcnt vmcnt(0)
	v_sub_u32_e32 v54, v1, v3
	s_and_saveexec_b64 s[20:21], s[18:19]
	s_cbranch_execz .LBB53_20
; %bb.13:                               ;   in Loop: Header=BB53_12 Depth=3
	v_ashrrev_i32_e32 v30, 31, v29
	v_lshlrev_b64 v[1:2], 2, v[29:30]
	v_mov_b32_e32 v3, s29
	v_add_co_u32_e32 v1, vcc, s28, v1
	v_addc_co_u32_e32 v2, vcc, v3, v2, vcc
	v_lshlrev_b64 v[3:4], 4, v[29:30]
	v_mov_b32_e32 v5, s31
	v_add_co_u32_e32 v3, vcc, s30, v3
	v_mov_b32_e32 v25, 0
	v_mov_b32_e32 v30, 0
	;; [unrolled: 1-line block ×3, first 2 shown]
	v_addc_co_u32_e32 v4, vcc, v5, v4, vcc
	v_mov_b32_e32 v26, 0
	s_mov_b64 s[70:71], 0
	v_mov_b32_e32 v28, 0
	v_mov_b32_e32 v17, v30
                                        ; implicit-def: $sgpr74_sgpr75
	s_branch .LBB53_16
.LBB53_14:                              ;   in Loop: Header=BB53_16 Depth=4
	s_or_b64 exec, exec, s[56:57]
	v_cmp_le_i32_e32 vcc, v5, v6
	v_addc_co_u32_e32 v17, vcc, 0, v17, vcc
	v_cmp_ge_i32_e32 vcc, v5, v6
	v_addc_co_u32_e32 v30, vcc, 0, v30, vcc
	v_cmp_ge_i32_e32 vcc, v17, v49
	s_andn2_b64 s[52:53], s[74:75], exec
	s_and_b64 s[56:57], vcc, exec
	s_or_b64 s[74:75], s[52:53], s[56:57]
.LBB53_15:                              ;   in Loop: Header=BB53_16 Depth=4
	s_or_b64 exec, exec, s[90:91]
	s_and_b64 s[52:53], exec, s[74:75]
	s_or_b64 s[70:71], s[52:53], s[70:71]
	s_andn2_b64 exec, exec, s[70:71]
	s_cbranch_execz .LBB53_19
.LBB53_16:                              ;   Parent Loop BB53_3 Depth=1
                                        ;     Parent Loop BB53_7 Depth=2
                                        ;       Parent Loop BB53_12 Depth=3
                                        ; =>      This Inner Loop Header: Depth=4
	v_cmp_lt_i32_e32 vcc, v30, v54
	s_or_b64 s[74:75], s[74:75], exec
	s_and_saveexec_b64 s[90:91], vcc
	s_cbranch_execz .LBB53_15
; %bb.17:                               ;   in Loop: Header=BB53_16 Depth=4
	v_lshlrev_b64 v[5:6], 2, v[17:18]
	v_mov_b32_e32 v31, v18
	v_add_co_u32_e32 v5, vcc, v50, v5
	v_addc_co_u32_e32 v6, vcc, v51, v6, vcc
	global_load_dword v7, v[5:6], off
	v_lshlrev_b64 v[5:6], 2, v[30:31]
	v_add_co_u32_e32 v5, vcc, v1, v5
	v_addc_co_u32_e32 v6, vcc, v2, v6, vcc
	global_load_dword v6, v[5:6], off
	s_waitcnt vmcnt(1)
	v_subrev_u32_e32 v5, s68, v7
	s_waitcnt vmcnt(0)
	v_subrev_u32_e32 v6, s72, v6
	v_cmp_eq_u32_e32 vcc, v5, v6
	s_and_saveexec_b64 s[56:57], vcc
	s_cbranch_execz .LBB53_14
; %bb.18:                               ;   in Loop: Header=BB53_16 Depth=4
	v_lshlrev_b64 v[7:8], 4, v[17:18]
	v_lshlrev_b64 v[11:12], 4, v[30:31]
	v_add_co_u32_e32 v7, vcc, v52, v7
	v_addc_co_u32_e32 v8, vcc, v53, v8, vcc
	v_add_co_u32_e32 v11, vcc, v3, v11
	v_addc_co_u32_e32 v12, vcc, v4, v12, vcc
	global_load_dwordx4 v[7:10], v[7:8], off
	s_nop 0
	global_load_dwordx4 v[31:34], v[11:12], off
	s_waitcnt vmcnt(0)
	v_fma_f64 v[11:12], v[7:8], v[31:32], v[25:26]
	v_fma_f64 v[27:28], v[9:10], v[31:32], v[27:28]
	v_fma_f64 v[25:26], -v[9:10], v[33:34], v[11:12]
	v_fma_f64 v[27:28], v[7:8], v[33:34], v[27:28]
	s_branch .LBB53_14
.LBB53_19:                              ;   in Loop: Header=BB53_12 Depth=3
	s_or_b64 exec, exec, s[70:71]
.LBB53_20:                              ;   in Loop: Header=BB53_12 Depth=3
	s_or_b64 exec, exec, s[20:21]
	v_lshlrev_b64 v[1:2], 4, v[20:21]
	v_mov_b32_e32 v3, s51
	v_add_co_u32_e32 v1, vcc, s50, v1
	v_addc_co_u32_e32 v2, vcc, v3, v2, vcc
	global_load_dwordx4 v[1:4], v[1:2], off
	v_cmp_le_i32_e64 s[20:21], v19, v23
	v_cmp_gt_i32_e32 vcc, v19, v23
	s_waitcnt vmcnt(0)
	v_add_f64 v[5:6], v[1:2], -v[25:26]
	v_add_f64 v[7:8], v[3:4], -v[27:28]
	s_and_saveexec_b64 s[70:71], vcc
	s_cbranch_execz .LBB53_30
; %bb.21:                               ;   in Loop: Header=BB53_12 Depth=3
	v_lshlrev_b64 v[9:10], 4, v[23:24]
	v_mov_b32_e32 v11, s61
	v_add_co_u32_e32 v9, vcc, s60, v9
	v_addc_co_u32_e32 v10, vcc, v11, v10, vcc
	global_load_dwordx4 v[9:12], v[9:10], off
                                        ; implicit-def: $vgpr35_vgpr36
	s_waitcnt vmcnt(0)
	v_cmp_gt_f64_e32 vcc, 0, v[9:10]
	v_xor_b32_e32 v21, 0x80000000, v10
	v_xor_b32_e32 v33, 0x80000000, v12
	v_mov_b32_e32 v31, v9
	v_cndmask_b32_e32 v32, v10, v21, vcc
	v_cmp_gt_f64_e32 vcc, 0, v[11:12]
	v_cndmask_b32_e32 v34, v12, v33, vcc
	v_mov_b32_e32 v33, v11
	v_cmp_ngt_f64_e32 vcc, v[31:32], v[33:34]
	s_and_saveexec_b64 s[52:53], vcc
	s_xor_b64 s[56:57], exec, s[52:53]
	s_cbranch_execz .LBB53_25
; %bb.22:                               ;   in Loop: Header=BB53_12 Depth=3
	v_cmp_neq_f64_e32 vcc, 0, v[11:12]
	v_mov_b32_e32 v35, 0
	v_mov_b32_e32 v36, 0
	s_and_saveexec_b64 s[58:59], vcc
	s_cbranch_execz .LBB53_24
; %bb.23:                               ;   in Loop: Header=BB53_12 Depth=3
	v_div_scale_f64 v[35:36], s[52:53], v[33:34], v[33:34], v[31:32]
	v_rcp_f64_e32 v[55:56], v[35:36]
	v_fma_f64 v[57:58], -v[35:36], v[55:56], 1.0
	v_fma_f64 v[55:56], v[55:56], v[57:58], v[55:56]
	v_div_scale_f64 v[57:58], vcc, v[31:32], v[33:34], v[31:32]
	v_fma_f64 v[59:60], -v[35:36], v[55:56], 1.0
	v_fma_f64 v[55:56], v[55:56], v[59:60], v[55:56]
	v_mul_f64 v[59:60], v[57:58], v[55:56]
	v_fma_f64 v[35:36], -v[35:36], v[59:60], v[57:58]
	v_div_fmas_f64 v[35:36], v[35:36], v[55:56], v[59:60]
	v_div_fixup_f64 v[31:32], v[35:36], v[33:34], v[31:32]
	v_fma_f64 v[31:32], v[31:32], v[31:32], 1.0
	v_cmp_gt_f64_e32 vcc, s[84:85], v[31:32]
	v_cndmask_b32_e32 v21, 0, v46, vcc
	v_ldexp_f64 v[31:32], v[31:32], v21
	v_cndmask_b32_e32 v21, 0, v47, vcc
	v_rsq_f64_e32 v[35:36], v[31:32]
	v_cmp_class_f64_e32 vcc, v[31:32], v45
	v_mul_f64 v[55:56], v[31:32], v[35:36]
	v_mul_f64 v[35:36], v[35:36], 0.5
	v_fma_f64 v[57:58], -v[35:36], v[55:56], 0.5
	v_fma_f64 v[55:56], v[55:56], v[57:58], v[55:56]
	v_fma_f64 v[35:36], v[35:36], v[57:58], v[35:36]
	v_fma_f64 v[57:58], -v[55:56], v[55:56], v[31:32]
	v_fma_f64 v[55:56], v[57:58], v[35:36], v[55:56]
	v_fma_f64 v[57:58], -v[55:56], v[55:56], v[31:32]
	v_fma_f64 v[35:36], v[57:58], v[35:36], v[55:56]
	v_ldexp_f64 v[35:36], v[35:36], v21
	v_cndmask_b32_e32 v32, v36, v32, vcc
	v_cndmask_b32_e32 v31, v35, v31, vcc
	v_mul_f64 v[35:36], v[33:34], v[31:32]
.LBB53_24:                              ;   in Loop: Header=BB53_12 Depth=3
	s_or_b64 exec, exec, s[58:59]
                                        ; implicit-def: $vgpr31_vgpr32
                                        ; implicit-def: $vgpr33_vgpr34
.LBB53_25:                              ;   in Loop: Header=BB53_12 Depth=3
	s_andn2_saveexec_b64 s[56:57], s[56:57]
	s_cbranch_execz .LBB53_27
; %bb.26:                               ;   in Loop: Header=BB53_12 Depth=3
	v_div_scale_f64 v[35:36], s[52:53], v[31:32], v[31:32], v[33:34]
	v_rcp_f64_e32 v[55:56], v[35:36]
	v_fma_f64 v[57:58], -v[35:36], v[55:56], 1.0
	v_fma_f64 v[55:56], v[55:56], v[57:58], v[55:56]
	v_div_scale_f64 v[57:58], vcc, v[33:34], v[31:32], v[33:34]
	v_fma_f64 v[59:60], -v[35:36], v[55:56], 1.0
	v_fma_f64 v[55:56], v[55:56], v[59:60], v[55:56]
	v_mul_f64 v[59:60], v[57:58], v[55:56]
	v_fma_f64 v[35:36], -v[35:36], v[59:60], v[57:58]
	v_div_fmas_f64 v[35:36], v[35:36], v[55:56], v[59:60]
	v_div_fixup_f64 v[33:34], v[35:36], v[31:32], v[33:34]
	v_fma_f64 v[33:34], v[33:34], v[33:34], 1.0
	v_cmp_gt_f64_e32 vcc, s[84:85], v[33:34]
	v_cndmask_b32_e32 v21, 0, v46, vcc
	v_ldexp_f64 v[33:34], v[33:34], v21
	v_cndmask_b32_e32 v21, 0, v47, vcc
	v_rsq_f64_e32 v[35:36], v[33:34]
	v_cmp_class_f64_e32 vcc, v[33:34], v45
	v_mul_f64 v[55:56], v[33:34], v[35:36]
	v_mul_f64 v[35:36], v[35:36], 0.5
	v_fma_f64 v[57:58], -v[35:36], v[55:56], 0.5
	v_fma_f64 v[55:56], v[55:56], v[57:58], v[55:56]
	v_fma_f64 v[35:36], v[35:36], v[57:58], v[35:36]
	v_fma_f64 v[57:58], -v[55:56], v[55:56], v[33:34]
	v_fma_f64 v[55:56], v[57:58], v[35:36], v[55:56]
	v_fma_f64 v[57:58], -v[55:56], v[55:56], v[33:34]
	v_fma_f64 v[35:36], v[57:58], v[35:36], v[55:56]
	v_ldexp_f64 v[35:36], v[35:36], v21
	v_cndmask_b32_e32 v34, v36, v34, vcc
	v_cndmask_b32_e32 v33, v35, v33, vcc
	v_mul_f64 v[35:36], v[31:32], v[33:34]
.LBB53_27:                              ;   in Loop: Header=BB53_12 Depth=3
	s_or_b64 exec, exec, s[56:57]
	v_cmp_lt_f64_e32 vcc, 0, v[35:36]
	v_mov_b32_e32 v31, 0
	v_mov_b32_e32 v33, 0
	;; [unrolled: 1-line block ×4, first 2 shown]
	s_and_saveexec_b64 s[56:57], vcc
	s_cbranch_execz .LBB53_29
; %bb.28:                               ;   in Loop: Header=BB53_12 Depth=3
	v_mul_f64 v[31:32], v[11:12], v[11:12]
	v_fma_f64 v[31:32], v[9:10], v[9:10], v[31:32]
	v_div_scale_f64 v[33:34], s[52:53], v[31:32], v[31:32], 1.0
	v_rcp_f64_e32 v[35:36], v[33:34]
	v_fma_f64 v[55:56], -v[33:34], v[35:36], 1.0
	v_fma_f64 v[35:36], v[35:36], v[55:56], v[35:36]
	v_div_scale_f64 v[55:56], vcc, 1.0, v[31:32], 1.0
	v_fma_f64 v[57:58], -v[33:34], v[35:36], 1.0
	v_fma_f64 v[35:36], v[35:36], v[57:58], v[35:36]
	v_mul_f64 v[57:58], v[55:56], v[35:36]
	v_fma_f64 v[33:34], -v[33:34], v[57:58], v[55:56]
	v_div_fmas_f64 v[33:34], v[33:34], v[35:36], v[57:58]
	v_mul_f64 v[35:36], v[7:8], v[11:12]
	v_mul_f64 v[11:12], v[11:12], -v[5:6]
	v_fma_f64 v[5:6], v[5:6], v[9:10], v[35:36]
	v_fma_f64 v[7:8], v[7:8], v[9:10], v[11:12]
	v_div_fixup_f64 v[31:32], v[33:34], v[31:32], 1.0
	v_mul_f64 v[33:34], v[5:6], v[31:32]
	v_mul_f64 v[31:32], v[7:8], v[31:32]
.LBB53_29:                              ;   in Loop: Header=BB53_12 Depth=3
	s_or_b64 exec, exec, s[56:57]
	v_mov_b32_e32 v7, v31
	v_mov_b32_e32 v5, v33
	v_mov_b32_e32 v8, v32
	v_mov_b32_e32 v6, v34
.LBB53_30:                              ;   in Loop: Header=BB53_12 Depth=3
	s_or_b64 exec, exec, s[70:71]
	v_cmp_gt_f64_e32 vcc, 0, v[5:6]
	v_xor_b32_e32 v9, 0x80000000, v6
	v_xor_b32_e32 v11, 0x80000000, v8
                                        ; implicit-def: $vgpr31_vgpr32
	v_cndmask_b32_e32 v10, v6, v9, vcc
	v_cmp_gt_f64_e32 vcc, 0, v[7:8]
	v_mov_b32_e32 v9, v5
	v_cndmask_b32_e32 v12, v8, v11, vcc
	v_mov_b32_e32 v11, v7
	v_cmp_ngt_f64_e32 vcc, v[9:10], v[11:12]
	s_and_saveexec_b64 s[52:53], vcc
	s_xor_b64 s[56:57], exec, s[52:53]
	s_cbranch_execnz .LBB53_34
; %bb.31:                               ;   in Loop: Header=BB53_12 Depth=3
	s_andn2_saveexec_b64 s[56:57], s[56:57]
	s_cbranch_execnz .LBB53_37
.LBB53_32:                              ;   in Loop: Header=BB53_12 Depth=3
	s_or_b64 exec, exec, s[56:57]
	v_cmp_class_f64_e64 s[90:91], v[31:32], s0
	s_and_saveexec_b64 s[92:93], s[90:91]
	s_cbranch_execnz .LBB53_38
.LBB53_33:                              ;   in Loop: Header=BB53_12 Depth=3
	s_or_b64 exec, exec, s[92:93]
	s_and_b64 s[52:53], s[34:35], s[90:91]
	s_and_saveexec_b64 s[20:21], s[52:53]
	s_cbranch_execz .LBB53_11
	s_branch .LBB53_79
.LBB53_34:                              ;   in Loop: Header=BB53_12 Depth=3
	v_cmp_neq_f64_e32 vcc, 0, v[7:8]
	v_mov_b32_e32 v31, 0
	v_mov_b32_e32 v32, 0
	s_and_saveexec_b64 s[58:59], vcc
	s_cbranch_execz .LBB53_36
; %bb.35:                               ;   in Loop: Header=BB53_12 Depth=3
	v_div_scale_f64 v[31:32], s[52:53], v[11:12], v[11:12], v[9:10]
	v_rcp_f64_e32 v[33:34], v[31:32]
	v_fma_f64 v[35:36], -v[31:32], v[33:34], 1.0
	v_fma_f64 v[33:34], v[33:34], v[35:36], v[33:34]
	v_div_scale_f64 v[35:36], vcc, v[9:10], v[11:12], v[9:10]
	v_fma_f64 v[55:56], -v[31:32], v[33:34], 1.0
	v_fma_f64 v[33:34], v[33:34], v[55:56], v[33:34]
	v_mul_f64 v[55:56], v[35:36], v[33:34]
	v_fma_f64 v[31:32], -v[31:32], v[55:56], v[35:36]
	v_div_fmas_f64 v[31:32], v[31:32], v[33:34], v[55:56]
	v_div_fixup_f64 v[9:10], v[31:32], v[11:12], v[9:10]
	v_fma_f64 v[9:10], v[9:10], v[9:10], 1.0
	v_cmp_gt_f64_e32 vcc, s[84:85], v[9:10]
	v_cndmask_b32_e32 v21, 0, v46, vcc
	v_ldexp_f64 v[9:10], v[9:10], v21
	v_cndmask_b32_e32 v21, 0, v47, vcc
	v_rsq_f64_e32 v[31:32], v[9:10]
	v_cmp_class_f64_e32 vcc, v[9:10], v45
	v_mul_f64 v[33:34], v[9:10], v[31:32]
	v_mul_f64 v[31:32], v[31:32], 0.5
	v_fma_f64 v[35:36], -v[31:32], v[33:34], 0.5
	v_fma_f64 v[33:34], v[33:34], v[35:36], v[33:34]
	v_fma_f64 v[31:32], v[31:32], v[35:36], v[31:32]
	v_fma_f64 v[35:36], -v[33:34], v[33:34], v[9:10]
	v_fma_f64 v[33:34], v[35:36], v[31:32], v[33:34]
	v_fma_f64 v[35:36], -v[33:34], v[33:34], v[9:10]
	v_fma_f64 v[31:32], v[35:36], v[31:32], v[33:34]
	v_ldexp_f64 v[31:32], v[31:32], v21
	v_cndmask_b32_e32 v10, v32, v10, vcc
	v_cndmask_b32_e32 v9, v31, v9, vcc
	v_mul_f64 v[31:32], v[11:12], v[9:10]
.LBB53_36:                              ;   in Loop: Header=BB53_12 Depth=3
	s_or_b64 exec, exec, s[58:59]
                                        ; implicit-def: $vgpr9_vgpr10
                                        ; implicit-def: $vgpr11_vgpr12
	s_andn2_saveexec_b64 s[56:57], s[56:57]
	s_cbranch_execz .LBB53_32
.LBB53_37:                              ;   in Loop: Header=BB53_12 Depth=3
	v_div_scale_f64 v[31:32], s[52:53], v[9:10], v[9:10], v[11:12]
	v_rcp_f64_e32 v[33:34], v[31:32]
	v_fma_f64 v[35:36], -v[31:32], v[33:34], 1.0
	v_fma_f64 v[33:34], v[33:34], v[35:36], v[33:34]
	v_div_scale_f64 v[35:36], vcc, v[11:12], v[9:10], v[11:12]
	v_fma_f64 v[55:56], -v[31:32], v[33:34], 1.0
	v_fma_f64 v[33:34], v[33:34], v[55:56], v[33:34]
	v_mul_f64 v[55:56], v[35:36], v[33:34]
	v_fma_f64 v[31:32], -v[31:32], v[55:56], v[35:36]
	v_div_fmas_f64 v[31:32], v[31:32], v[33:34], v[55:56]
	v_div_fixup_f64 v[11:12], v[31:32], v[9:10], v[11:12]
	v_fma_f64 v[11:12], v[11:12], v[11:12], 1.0
	v_cmp_gt_f64_e32 vcc, s[84:85], v[11:12]
	v_cndmask_b32_e32 v21, 0, v46, vcc
	v_ldexp_f64 v[11:12], v[11:12], v21
	v_cndmask_b32_e32 v21, 0, v47, vcc
	v_rsq_f64_e32 v[31:32], v[11:12]
	v_cmp_class_f64_e32 vcc, v[11:12], v45
	v_mul_f64 v[33:34], v[11:12], v[31:32]
	v_mul_f64 v[31:32], v[31:32], 0.5
	v_fma_f64 v[35:36], -v[31:32], v[33:34], 0.5
	v_fma_f64 v[33:34], v[33:34], v[35:36], v[33:34]
	v_fma_f64 v[31:32], v[31:32], v[35:36], v[31:32]
	v_fma_f64 v[35:36], -v[33:34], v[33:34], v[11:12]
	v_fma_f64 v[33:34], v[35:36], v[31:32], v[33:34]
	v_fma_f64 v[35:36], -v[33:34], v[33:34], v[11:12]
	v_fma_f64 v[31:32], v[35:36], v[31:32], v[33:34]
	v_ldexp_f64 v[31:32], v[31:32], v21
	v_cndmask_b32_e32 v12, v32, v12, vcc
	v_cndmask_b32_e32 v11, v31, v11, vcc
	v_mul_f64 v[31:32], v[9:10], v[11:12]
	s_or_b64 exec, exec, s[56:57]
	v_cmp_class_f64_e64 s[90:91], v[31:32], s0
	s_and_saveexec_b64 s[92:93], s[90:91]
	s_cbranch_execz .LBB53_33
.LBB53_38:                              ;   in Loop: Header=BB53_12 Depth=3
	s_and_saveexec_b64 s[52:53], s[20:21]
	s_xor_b64 s[20:21], exec, s[52:53]
	s_cbranch_execz .LBB53_63
; %bb.39:                               ;   in Loop: Header=BB53_12 Depth=3
	v_cmp_ge_i32_e32 vcc, v19, v23
	s_and_saveexec_b64 s[52:53], vcc
	s_xor_b64 s[70:71], exec, s[52:53]
	s_cbranch_execz .LBB53_47
; %bb.40:                               ;   in Loop: Header=BB53_12 Depth=3
	v_lshlrev_b64 v[9:10], 4, v[23:24]
	v_mov_b32_e32 v12, s63
	v_add_co_u32_e32 v11, vcc, s62, v9
	v_addc_co_u32_e32 v12, vcc, v12, v10, vcc
	s_andn2_b64 vcc, exec, s[64:65]
	global_store_dwordx4 v[11:12], v[5:8], off
	s_cbranch_vccnz .LBB53_46
; %bb.41:                               ;   in Loop: Header=BB53_12 Depth=3
	v_mov_b32_e32 v11, s61
	v_add_co_u32_e32 v9, vcc, s60, v9
	v_addc_co_u32_e32 v10, vcc, v11, v10, vcc
	global_load_dwordx4 v[9:12], v[9:10], off
	s_waitcnt vmcnt(0)
	v_add_f64 v[5:6], v[9:10], -v[5:6]
	v_add_f64 v[11:12], v[11:12], -v[7:8]
                                        ; implicit-def: $vgpr9_vgpr10
	v_cmp_gt_f64_e32 vcc, 0, v[5:6]
	v_xor_b32_e32 v7, 0x80000000, v6
	v_xor_b32_e32 v8, 0x80000000, v12
	v_cndmask_b32_e32 v6, v6, v7, vcc
	v_cmp_gt_f64_e32 vcc, 0, v[11:12]
	v_mov_b32_e32 v7, v11
	v_cndmask_b32_e32 v8, v12, v8, vcc
	v_cmp_ngt_f64_e32 vcc, v[5:6], v[7:8]
	s_and_saveexec_b64 s[52:53], vcc
	s_xor_b64 s[56:57], exec, s[52:53]
	s_cbranch_execnz .LBB53_107
; %bb.42:                               ;   in Loop: Header=BB53_12 Depth=3
	s_andn2_saveexec_b64 s[56:57], s[56:57]
	s_cbranch_execnz .LBB53_110
.LBB53_43:                              ;   in Loop: Header=BB53_12 Depth=3
	s_or_b64 exec, exec, s[56:57]
	v_cmp_class_f64_e64 s[56:57], v[9:10], s0
	s_and_saveexec_b64 s[52:53], s[56:57]
	s_cbranch_execz .LBB53_45
.LBB53_44:                              ;   in Loop: Header=BB53_12 Depth=3
	v_cmp_lt_f64_e32 vcc, v[15:16], v[9:10]
	v_cndmask_b32_e32 v16, v16, v10, vcc
	v_cndmask_b32_e32 v15, v15, v9, vcc
.LBB53_45:                              ;   in Loop: Header=BB53_12 Depth=3
	s_or_b64 exec, exec, s[52:53]
.LBB53_46:                              ;   in Loop: Header=BB53_12 Depth=3
                                        ; implicit-def: $vgpr5_vgpr6
.LBB53_47:                              ;   in Loop: Header=BB53_12 Depth=3
	s_andn2_saveexec_b64 s[94:95], s[70:71]
	s_cbranch_execz .LBB53_62
; %bb.48:                               ;   in Loop: Header=BB53_12 Depth=3
	v_cmp_lt_i32_e32 vcc, v30, v54
	s_and_saveexec_b64 s[70:71], vcc
	s_cbranch_execz .LBB53_61
; %bb.49:                               ;   in Loop: Header=BB53_12 Depth=3
	s_mov_b64 s[74:75], 0
	v_mov_b32_e32 v11, v30
                                        ; implicit-def: $sgpr80_sgpr81
                                        ; implicit-def: $sgpr58_sgpr59
                                        ; implicit-def: $sgpr56_sgpr57
	s_branch .LBB53_51
.LBB53_50:                              ;   in Loop: Header=BB53_51 Depth=4
	s_or_b64 exec, exec, s[52:53]
	s_and_b64 s[52:53], exec, s[58:59]
	s_or_b64 s[74:75], s[52:53], s[74:75]
	s_andn2_b64 s[52:53], s[80:81], exec
	s_and_b64 s[80:81], s[56:57], exec
	s_or_b64 s[80:81], s[52:53], s[80:81]
	s_andn2_b64 exec, exec, s[74:75]
	s_cbranch_execz .LBB53_53
.LBB53_51:                              ;   Parent Loop BB53_3 Depth=1
                                        ;     Parent Loop BB53_7 Depth=2
                                        ;       Parent Loop BB53_12 Depth=3
                                        ; =>      This Inner Loop Header: Depth=4
	v_add_u32_e32 v9, v29, v11
	v_ashrrev_i32_e32 v10, 31, v9
	v_lshlrev_b64 v[31:32], 2, v[9:10]
	v_mov_b32_e32 v12, s29
	v_add_co_u32_e32 v31, vcc, s28, v31
	v_addc_co_u32_e32 v32, vcc, v12, v32, vcc
	global_load_dword v12, v[31:32], off
	s_or_b64 s[56:57], s[56:57], exec
	s_or_b64 s[58:59], s[58:59], exec
	s_waitcnt vmcnt(0)
	v_subrev_u32_e32 v12, s72, v12
	v_cmp_ne_u32_e32 vcc, v12, v19
	s_and_saveexec_b64 s[52:53], vcc
	s_cbranch_execz .LBB53_50
; %bb.52:                               ;   in Loop: Header=BB53_51 Depth=4
	v_add_u32_e32 v11, 1, v11
	v_cmp_ge_i32_e32 vcc, v11, v54
	s_andn2_b64 s[58:59], s[58:59], exec
	s_and_b64 vcc, vcc, exec
	s_andn2_b64 s[56:57], s[56:57], exec
	s_or_b64 s[58:59], s[58:59], vcc
	s_branch .LBB53_50
.LBB53_53:                              ;   in Loop: Header=BB53_12 Depth=3
	s_or_b64 exec, exec, s[74:75]
	s_and_saveexec_b64 s[52:53], s[80:81]
	s_xor_b64 s[74:75], exec, s[52:53]
	s_cbranch_execz .LBB53_60
; %bb.54:                               ;   in Loop: Header=BB53_12 Depth=3
	v_lshlrev_b64 v[9:10], 4, v[9:10]
	v_mov_b32_e32 v12, s79
	v_add_co_u32_e32 v11, vcc, s78, v9
	v_addc_co_u32_e32 v12, vcc, v12, v10, vcc
	s_andn2_b64 vcc, exec, s[64:65]
	global_store_dwordx4 v[11:12], v[5:8], off
	s_cbranch_vccnz .LBB53_60
; %bb.55:                               ;   in Loop: Header=BB53_12 Depth=3
	v_mov_b32_e32 v11, s31
	v_add_co_u32_e32 v9, vcc, s30, v9
	v_addc_co_u32_e32 v10, vcc, v11, v10, vcc
	global_load_dwordx4 v[9:12], v[9:10], off
	s_waitcnt vmcnt(0)
	v_add_f64 v[5:6], v[9:10], -v[5:6]
	v_add_f64 v[11:12], v[11:12], -v[7:8]
                                        ; implicit-def: $vgpr9_vgpr10
	v_cmp_gt_f64_e32 vcc, 0, v[5:6]
	v_xor_b32_e32 v7, 0x80000000, v6
	v_xor_b32_e32 v8, 0x80000000, v12
	v_cndmask_b32_e32 v6, v6, v7, vcc
	v_cmp_gt_f64_e32 vcc, 0, v[11:12]
	v_mov_b32_e32 v7, v11
	v_cndmask_b32_e32 v8, v12, v8, vcc
	v_cmp_ngt_f64_e32 vcc, v[5:6], v[7:8]
	s_and_saveexec_b64 s[52:53], vcc
	s_xor_b64 s[56:57], exec, s[52:53]
	s_cbranch_execnz .LBB53_115
; %bb.56:                               ;   in Loop: Header=BB53_12 Depth=3
	s_andn2_saveexec_b64 s[56:57], s[56:57]
	s_cbranch_execnz .LBB53_118
.LBB53_57:                              ;   in Loop: Header=BB53_12 Depth=3
	s_or_b64 exec, exec, s[56:57]
	v_cmp_class_f64_e64 s[56:57], v[9:10], s0
	s_and_saveexec_b64 s[52:53], s[56:57]
	s_cbranch_execz .LBB53_59
.LBB53_58:                              ;   in Loop: Header=BB53_12 Depth=3
	v_cmp_lt_f64_e32 vcc, v[15:16], v[9:10]
	v_cndmask_b32_e32 v16, v16, v10, vcc
	v_cndmask_b32_e32 v15, v15, v9, vcc
.LBB53_59:                              ;   in Loop: Header=BB53_12 Depth=3
	s_or_b64 exec, exec, s[52:53]
.LBB53_60:                              ;   in Loop: Header=BB53_12 Depth=3
	s_or_b64 exec, exec, s[74:75]
.LBB53_61:                              ;   in Loop: Header=BB53_12 Depth=3
	s_or_b64 exec, exec, s[70:71]
.LBB53_62:                              ;   in Loop: Header=BB53_12 Depth=3
	s_or_b64 exec, exec, s[94:95]
                                        ; implicit-def: $vgpr5_vgpr6
.LBB53_63:                              ;   in Loop: Header=BB53_12 Depth=3
	s_andn2_saveexec_b64 s[20:21], s[20:21]
	s_cbranch_execz .LBB53_78
; %bb.64:                               ;   in Loop: Header=BB53_12 Depth=3
	v_cmp_lt_i32_e32 vcc, v17, v49
	s_and_saveexec_b64 s[94:95], vcc
	s_cbranch_execz .LBB53_77
; %bb.65:                               ;   in Loop: Header=BB53_12 Depth=3
	s_mov_b64 s[70:71], 0
	v_mov_b32_e32 v11, v17
                                        ; implicit-def: $sgpr74_sgpr75
                                        ; implicit-def: $sgpr58_sgpr59
                                        ; implicit-def: $sgpr56_sgpr57
	s_branch .LBB53_67
.LBB53_66:                              ;   in Loop: Header=BB53_67 Depth=4
	s_or_b64 exec, exec, s[80:81]
	s_and_b64 s[52:53], exec, s[58:59]
	s_or_b64 s[70:71], s[52:53], s[70:71]
	s_andn2_b64 s[52:53], s[74:75], exec
	s_and_b64 s[74:75], s[56:57], exec
	s_or_b64 s[74:75], s[52:53], s[74:75]
	s_andn2_b64 exec, exec, s[70:71]
	s_cbranch_execz .LBB53_69
.LBB53_67:                              ;   Parent Loop BB53_3 Depth=1
                                        ;     Parent Loop BB53_7 Depth=2
                                        ;       Parent Loop BB53_12 Depth=3
                                        ; =>      This Inner Loop Header: Depth=4
	v_add_u32_e32 v9, v22, v11
	v_ashrrev_i32_e32 v10, 31, v9
	v_lshlrev_b64 v[31:32], 2, v[9:10]
	v_mov_b32_e32 v12, s41
	v_add_co_u32_e32 v31, vcc, s40, v31
	v_addc_co_u32_e32 v32, vcc, v12, v32, vcc
	global_load_dword v12, v[31:32], off
	s_or_b64 s[56:57], s[56:57], exec
	s_or_b64 s[58:59], s[58:59], exec
	s_waitcnt vmcnt(0)
	v_subrev_u32_e32 v12, s68, v12
	v_cmp_ne_u32_e32 vcc, v12, v23
	s_and_saveexec_b64 s[80:81], vcc
	s_cbranch_execz .LBB53_66
; %bb.68:                               ;   in Loop: Header=BB53_67 Depth=4
	v_add_u32_e32 v11, 1, v11
	v_cmp_ge_i32_e32 vcc, v11, v49
	s_andn2_b64 s[52:53], s[58:59], exec
	s_and_b64 s[58:59], vcc, exec
	s_andn2_b64 s[56:57], s[56:57], exec
	s_or_b64 s[58:59], s[52:53], s[58:59]
	s_branch .LBB53_66
.LBB53_69:                              ;   in Loop: Header=BB53_12 Depth=3
	s_or_b64 exec, exec, s[70:71]
	s_and_saveexec_b64 s[52:53], s[74:75]
	s_xor_b64 s[70:71], exec, s[52:53]
	s_cbranch_execz .LBB53_76
; %bb.70:                               ;   in Loop: Header=BB53_12 Depth=3
	v_lshlrev_b64 v[9:10], 4, v[9:10]
	v_mov_b32_e32 v12, s77
	v_add_co_u32_e32 v11, vcc, s76, v9
	v_addc_co_u32_e32 v12, vcc, v12, v10, vcc
	s_andn2_b64 vcc, exec, s[64:65]
	global_store_dwordx4 v[11:12], v[5:8], off
	s_cbranch_vccnz .LBB53_76
; %bb.71:                               ;   in Loop: Header=BB53_12 Depth=3
	v_mov_b32_e32 v11, s43
	v_add_co_u32_e32 v9, vcc, s42, v9
	v_addc_co_u32_e32 v10, vcc, v11, v10, vcc
	global_load_dwordx4 v[9:12], v[9:10], off
	s_waitcnt vmcnt(0)
	v_add_f64 v[5:6], v[9:10], -v[5:6]
	v_add_f64 v[11:12], v[11:12], -v[7:8]
                                        ; implicit-def: $vgpr9_vgpr10
	v_cmp_gt_f64_e32 vcc, 0, v[5:6]
	v_xor_b32_e32 v7, 0x80000000, v6
	v_xor_b32_e32 v8, 0x80000000, v12
	v_cndmask_b32_e32 v6, v6, v7, vcc
	v_cmp_gt_f64_e32 vcc, 0, v[11:12]
	v_mov_b32_e32 v7, v11
	v_cndmask_b32_e32 v8, v12, v8, vcc
	v_cmp_ngt_f64_e32 vcc, v[5:6], v[7:8]
	s_and_saveexec_b64 s[52:53], vcc
	s_xor_b64 s[56:57], exec, s[52:53]
	s_cbranch_execnz .LBB53_111
; %bb.72:                               ;   in Loop: Header=BB53_12 Depth=3
	s_andn2_saveexec_b64 s[56:57], s[56:57]
	s_cbranch_execnz .LBB53_114
.LBB53_73:                              ;   in Loop: Header=BB53_12 Depth=3
	s_or_b64 exec, exec, s[56:57]
	v_cmp_class_f64_e64 s[56:57], v[9:10], s0
	s_and_saveexec_b64 s[52:53], s[56:57]
	s_cbranch_execz .LBB53_75
.LBB53_74:                              ;   in Loop: Header=BB53_12 Depth=3
	v_cmp_lt_f64_e32 vcc, v[15:16], v[9:10]
	v_cndmask_b32_e32 v16, v16, v10, vcc
	v_cndmask_b32_e32 v15, v15, v9, vcc
.LBB53_75:                              ;   in Loop: Header=BB53_12 Depth=3
	s_or_b64 exec, exec, s[52:53]
.LBB53_76:                              ;   in Loop: Header=BB53_12 Depth=3
	s_or_b64 exec, exec, s[70:71]
.LBB53_77:                              ;   in Loop: Header=BB53_12 Depth=3
	s_or_b64 exec, exec, s[94:95]
.LBB53_78:                              ;   in Loop: Header=BB53_12 Depth=3
	s_or_b64 exec, exec, s[20:21]
	s_or_b64 exec, exec, s[92:93]
	s_and_b64 s[52:53], s[34:35], s[90:91]
	s_and_saveexec_b64 s[20:21], s[52:53]
	s_cbranch_execz .LBB53_11
.LBB53_79:                              ;   in Loop: Header=BB53_12 Depth=3
	v_cmp_ge_i32_e32 vcc, v30, v54
	s_and_saveexec_b64 s[52:53], vcc
	s_xor_b64 s[70:71], exec, s[52:53]
	s_cbranch_execnz .LBB53_86
; %bb.80:                               ;   in Loop: Header=BB53_12 Depth=3
	s_andn2_saveexec_b64 s[70:71], s[70:71]
	s_cbranch_execnz .LBB53_100
.LBB53_81:                              ;   in Loop: Header=BB53_12 Depth=3
	s_or_b64 exec, exec, s[70:71]
	v_cmp_eq_u32_e32 vcc, v19, v23
	s_and_saveexec_b64 s[56:57], vcc
	s_cbranch_execz .LBB53_83
.LBB53_82:                              ;   in Loop: Header=BB53_12 Depth=3
	v_lshlrev_b64 v[5:6], 4, v[23:24]
	v_mov_b32_e32 v7, s61
	v_add_co_u32_e32 v5, vcc, s60, v5
	v_addc_co_u32_e32 v6, vcc, v7, v6, vcc
	global_load_dwordx4 v[5:8], v[5:6], off
	s_waitcnt vmcnt(0)
	v_add_f64 v[25:26], v[25:26], v[5:6]
	v_add_f64 v[27:28], v[27:28], v[7:8]
.LBB53_83:                              ;   in Loop: Header=BB53_12 Depth=3
	s_or_b64 exec, exec, s[56:57]
	v_add_f64 v[1:2], v[1:2], -v[25:26]
	v_add_f64 v[7:8], v[3:4], -v[27:28]
                                        ; implicit-def: $vgpr5_vgpr6
	v_cmp_gt_f64_e32 vcc, 0, v[1:2]
	v_xor_b32_e32 v3, 0x80000000, v2
	v_xor_b32_e32 v4, 0x80000000, v8
	v_cndmask_b32_e32 v2, v2, v3, vcc
	v_cmp_gt_f64_e32 vcc, 0, v[7:8]
	v_mov_b32_e32 v3, v7
	v_cndmask_b32_e32 v4, v8, v4, vcc
	v_cmp_ngt_f64_e32 vcc, v[1:2], v[3:4]
	s_and_saveexec_b64 s[52:53], vcc
	s_xor_b64 s[56:57], exec, s[52:53]
	s_cbranch_execnz .LBB53_91
; %bb.84:                               ;   in Loop: Header=BB53_12 Depth=3
	s_andn2_saveexec_b64 s[56:57], s[56:57]
	s_cbranch_execnz .LBB53_94
.LBB53_85:                              ;   in Loop: Header=BB53_12 Depth=3
	s_or_b64 exec, exec, s[56:57]
	v_cmp_class_f64_e64 s[56:57], v[5:6], s0
	s_and_saveexec_b64 s[52:53], s[56:57]
	s_cbranch_execz .LBB53_10
	s_branch .LBB53_95
.LBB53_86:                              ;   in Loop: Header=BB53_12 Depth=3
	v_cmp_lt_i32_e32 vcc, v17, v49
	s_and_saveexec_b64 s[74:75], vcc
	s_cbranch_execz .LBB53_99
; %bb.87:                               ;   in Loop: Header=BB53_12 Depth=3
	s_mov_b64 s[92:93], 0
                                        ; implicit-def: $sgpr90_sgpr91
                                        ; implicit-def: $sgpr58_sgpr59
                                        ; implicit-def: $sgpr56_sgpr57
	s_branch .LBB53_89
.LBB53_88:                              ;   in Loop: Header=BB53_89 Depth=4
	s_or_b64 exec, exec, s[52:53]
	s_and_b64 s[52:53], exec, s[58:59]
	s_or_b64 s[92:93], s[52:53], s[92:93]
	s_andn2_b64 s[52:53], s[90:91], exec
	s_and_b64 s[80:81], s[56:57], exec
	s_or_b64 s[90:91], s[52:53], s[80:81]
	s_andn2_b64 exec, exec, s[92:93]
	s_cbranch_execz .LBB53_96
.LBB53_89:                              ;   Parent Loop BB53_3 Depth=1
                                        ;     Parent Loop BB53_7 Depth=2
                                        ;       Parent Loop BB53_12 Depth=3
                                        ; =>      This Inner Loop Header: Depth=4
	v_add_u32_e32 v5, v22, v17
	v_ashrrev_i32_e32 v6, 31, v5
	v_lshlrev_b64 v[7:8], 2, v[5:6]
	v_mov_b32_e32 v9, s41
	v_add_co_u32_e32 v7, vcc, s40, v7
	v_addc_co_u32_e32 v8, vcc, v9, v8, vcc
	global_load_dword v7, v[7:8], off
	s_or_b64 s[56:57], s[56:57], exec
	s_or_b64 s[58:59], s[58:59], exec
	s_waitcnt vmcnt(0)
	v_subrev_u32_e32 v7, s68, v7
	v_cmp_ne_u32_e32 vcc, v7, v23
	s_and_saveexec_b64 s[52:53], vcc
	s_cbranch_execz .LBB53_88
; %bb.90:                               ;   in Loop: Header=BB53_89 Depth=4
	v_add_u32_e32 v17, 1, v17
	v_cmp_ge_i32_e32 vcc, v17, v49
	s_andn2_b64 s[58:59], s[58:59], exec
	s_and_b64 s[80:81], vcc, exec
	s_andn2_b64 s[56:57], s[56:57], exec
	s_or_b64 s[58:59], s[58:59], s[80:81]
	s_branch .LBB53_88
.LBB53_91:                              ;   in Loop: Header=BB53_12 Depth=3
	v_cmp_neq_f64_e32 vcc, 0, v[7:8]
	v_mov_b32_e32 v5, 0
	v_mov_b32_e32 v6, 0
	s_and_saveexec_b64 s[58:59], vcc
	s_cbranch_execz .LBB53_93
; %bb.92:                               ;   in Loop: Header=BB53_12 Depth=3
	v_div_scale_f64 v[5:6], s[52:53], v[3:4], v[3:4], v[1:2]
	v_rcp_f64_e32 v[7:8], v[5:6]
	v_fma_f64 v[9:10], -v[5:6], v[7:8], 1.0
	v_fma_f64 v[7:8], v[7:8], v[9:10], v[7:8]
	v_div_scale_f64 v[9:10], vcc, v[1:2], v[3:4], v[1:2]
	v_fma_f64 v[11:12], -v[5:6], v[7:8], 1.0
	v_fma_f64 v[7:8], v[7:8], v[11:12], v[7:8]
	v_mul_f64 v[11:12], v[9:10], v[7:8]
	v_fma_f64 v[5:6], -v[5:6], v[11:12], v[9:10]
	v_div_fmas_f64 v[5:6], v[5:6], v[7:8], v[11:12]
	v_div_fixup_f64 v[1:2], v[5:6], v[3:4], v[1:2]
	v_fma_f64 v[1:2], v[1:2], v[1:2], 1.0
	v_cmp_gt_f64_e32 vcc, s[84:85], v[1:2]
	v_cndmask_b32_e32 v5, 0, v46, vcc
	v_ldexp_f64 v[1:2], v[1:2], v5
	v_rsq_f64_e32 v[5:6], v[1:2]
	v_mul_f64 v[7:8], v[1:2], v[5:6]
	v_mul_f64 v[5:6], v[5:6], 0.5
	v_fma_f64 v[9:10], -v[5:6], v[7:8], 0.5
	v_fma_f64 v[7:8], v[7:8], v[9:10], v[7:8]
	v_fma_f64 v[5:6], v[5:6], v[9:10], v[5:6]
	v_fma_f64 v[9:10], -v[7:8], v[7:8], v[1:2]
	v_fma_f64 v[7:8], v[9:10], v[5:6], v[7:8]
	v_fma_f64 v[9:10], -v[7:8], v[7:8], v[1:2]
	v_fma_f64 v[5:6], v[9:10], v[5:6], v[7:8]
	v_cndmask_b32_e32 v7, 0, v47, vcc
	v_cmp_class_f64_e32 vcc, v[1:2], v45
	v_ldexp_f64 v[5:6], v[5:6], v7
	v_cndmask_b32_e32 v2, v6, v2, vcc
	v_cndmask_b32_e32 v1, v5, v1, vcc
	v_mul_f64 v[5:6], v[3:4], v[1:2]
.LBB53_93:                              ;   in Loop: Header=BB53_12 Depth=3
	s_or_b64 exec, exec, s[58:59]
                                        ; implicit-def: $vgpr1_vgpr2
                                        ; implicit-def: $vgpr3_vgpr4
	s_andn2_saveexec_b64 s[56:57], s[56:57]
	s_cbranch_execz .LBB53_85
.LBB53_94:                              ;   in Loop: Header=BB53_12 Depth=3
	v_div_scale_f64 v[5:6], s[52:53], v[1:2], v[1:2], v[3:4]
	v_rcp_f64_e32 v[7:8], v[5:6]
	v_fma_f64 v[9:10], -v[5:6], v[7:8], 1.0
	v_fma_f64 v[7:8], v[7:8], v[9:10], v[7:8]
	v_div_scale_f64 v[9:10], vcc, v[3:4], v[1:2], v[3:4]
	v_fma_f64 v[11:12], -v[5:6], v[7:8], 1.0
	v_fma_f64 v[7:8], v[7:8], v[11:12], v[7:8]
	v_mul_f64 v[11:12], v[9:10], v[7:8]
	v_fma_f64 v[5:6], -v[5:6], v[11:12], v[9:10]
	v_div_fmas_f64 v[5:6], v[5:6], v[7:8], v[11:12]
	v_div_fixup_f64 v[3:4], v[5:6], v[1:2], v[3:4]
	v_fma_f64 v[3:4], v[3:4], v[3:4], 1.0
	v_cmp_gt_f64_e32 vcc, s[84:85], v[3:4]
	v_cndmask_b32_e32 v5, 0, v46, vcc
	v_ldexp_f64 v[3:4], v[3:4], v5
	v_rsq_f64_e32 v[5:6], v[3:4]
	v_mul_f64 v[7:8], v[3:4], v[5:6]
	v_mul_f64 v[5:6], v[5:6], 0.5
	v_fma_f64 v[9:10], -v[5:6], v[7:8], 0.5
	v_fma_f64 v[7:8], v[7:8], v[9:10], v[7:8]
	v_fma_f64 v[5:6], v[5:6], v[9:10], v[5:6]
	v_fma_f64 v[9:10], -v[7:8], v[7:8], v[3:4]
	v_fma_f64 v[7:8], v[9:10], v[5:6], v[7:8]
	v_fma_f64 v[9:10], -v[7:8], v[7:8], v[3:4]
	v_fma_f64 v[5:6], v[9:10], v[5:6], v[7:8]
	v_cndmask_b32_e32 v7, 0, v47, vcc
	v_cmp_class_f64_e32 vcc, v[3:4], v45
	v_ldexp_f64 v[5:6], v[5:6], v7
	v_cndmask_b32_e32 v4, v6, v4, vcc
	v_cndmask_b32_e32 v3, v5, v3, vcc
	v_mul_f64 v[5:6], v[1:2], v[3:4]
	s_or_b64 exec, exec, s[56:57]
	v_cmp_class_f64_e64 s[56:57], v[5:6], s0
	s_and_saveexec_b64 s[52:53], s[56:57]
	s_cbranch_execz .LBB53_10
.LBB53_95:                              ;   in Loop: Header=BB53_12 Depth=3
	v_cmp_lt_f64_e32 vcc, v[13:14], v[5:6]
	v_cndmask_b32_e32 v14, v14, v6, vcc
	v_cndmask_b32_e32 v13, v13, v5, vcc
	s_branch .LBB53_10
.LBB53_96:                              ;   in Loop: Header=BB53_12 Depth=3
	s_or_b64 exec, exec, s[92:93]
	s_and_saveexec_b64 s[52:53], s[90:91]
	s_xor_b64 s[56:57], exec, s[52:53]
	s_cbranch_execz .LBB53_98
; %bb.97:                               ;   in Loop: Header=BB53_12 Depth=3
	v_lshlrev_b64 v[5:6], 4, v[5:6]
	v_mov_b32_e32 v7, s43
	v_add_co_u32_e32 v9, vcc, s42, v5
	v_addc_co_u32_e32 v10, vcc, v7, v6, vcc
	v_lshlrev_b64 v[5:6], 4, v[23:24]
	v_mov_b32_e32 v7, s61
	v_add_co_u32_e32 v5, vcc, s60, v5
	v_addc_co_u32_e32 v6, vcc, v7, v6, vcc
	global_load_dwordx4 v[5:8], v[5:6], off
	s_nop 0
	global_load_dwordx4 v[9:12], v[9:10], off
	s_waitcnt vmcnt(0)
	v_mul_f64 v[29:30], v[7:8], -v[11:12]
	v_mul_f64 v[7:8], v[7:8], v[9:10]
	v_fma_f64 v[9:10], v[9:10], v[5:6], v[29:30]
	v_fma_f64 v[5:6], v[11:12], v[5:6], v[7:8]
	v_add_f64 v[25:26], v[25:26], v[9:10]
	v_add_f64 v[27:28], v[27:28], v[5:6]
.LBB53_98:                              ;   in Loop: Header=BB53_12 Depth=3
	s_or_b64 exec, exec, s[56:57]
.LBB53_99:                              ;   in Loop: Header=BB53_12 Depth=3
	s_or_b64 exec, exec, s[74:75]
                                        ; implicit-def: $vgpr30
                                        ; implicit-def: $vgpr29
                                        ; implicit-def: $vgpr54
	s_andn2_saveexec_b64 s[70:71], s[70:71]
	s_cbranch_execz .LBB53_81
.LBB53_100:                             ;   in Loop: Header=BB53_12 Depth=3
	s_mov_b64 s[90:91], 0
                                        ; implicit-def: $sgpr74_sgpr75
                                        ; implicit-def: $sgpr58_sgpr59
                                        ; implicit-def: $sgpr56_sgpr57
	s_branch .LBB53_102
.LBB53_101:                             ;   in Loop: Header=BB53_102 Depth=4
	s_or_b64 exec, exec, s[52:53]
	s_and_b64 s[52:53], exec, s[58:59]
	s_or_b64 s[90:91], s[52:53], s[90:91]
	s_andn2_b64 s[52:53], s[74:75], exec
	s_and_b64 s[74:75], s[56:57], exec
	s_or_b64 s[74:75], s[52:53], s[74:75]
	s_andn2_b64 exec, exec, s[90:91]
	s_cbranch_execz .LBB53_104
.LBB53_102:                             ;   Parent Loop BB53_3 Depth=1
                                        ;     Parent Loop BB53_7 Depth=2
                                        ;       Parent Loop BB53_12 Depth=3
                                        ; =>      This Inner Loop Header: Depth=4
	v_add_u32_e32 v5, v29, v30
	v_ashrrev_i32_e32 v6, 31, v5
	v_lshlrev_b64 v[7:8], 2, v[5:6]
	v_mov_b32_e32 v9, s29
	v_add_co_u32_e32 v7, vcc, s28, v7
	v_addc_co_u32_e32 v8, vcc, v9, v8, vcc
	global_load_dword v7, v[7:8], off
	s_or_b64 s[56:57], s[56:57], exec
	s_or_b64 s[58:59], s[58:59], exec
	s_waitcnt vmcnt(0)
	v_subrev_u32_e32 v7, s72, v7
	v_cmp_ne_u32_e32 vcc, v7, v19
	s_and_saveexec_b64 s[52:53], vcc
	s_cbranch_execz .LBB53_101
; %bb.103:                              ;   in Loop: Header=BB53_102 Depth=4
	v_add_u32_e32 v30, 1, v30
	v_cmp_ge_i32_e32 vcc, v30, v54
	s_andn2_b64 s[58:59], s[58:59], exec
	s_and_b64 s[80:81], vcc, exec
	s_andn2_b64 s[56:57], s[56:57], exec
	s_or_b64 s[58:59], s[58:59], s[80:81]
	s_branch .LBB53_101
.LBB53_104:                             ;   in Loop: Header=BB53_12 Depth=3
	s_or_b64 exec, exec, s[90:91]
	s_and_saveexec_b64 s[52:53], s[74:75]
	s_xor_b64 s[56:57], exec, s[52:53]
	s_cbranch_execz .LBB53_106
; %bb.105:                              ;   in Loop: Header=BB53_12 Depth=3
	v_lshlrev_b64 v[5:6], 4, v[5:6]
	v_mov_b32_e32 v7, s31
	v_add_co_u32_e32 v5, vcc, s30, v5
	v_addc_co_u32_e32 v6, vcc, v7, v6, vcc
	global_load_dwordx4 v[5:8], v[5:6], off
	s_waitcnt vmcnt(0)
	v_add_f64 v[25:26], v[25:26], v[5:6]
	v_add_f64 v[27:28], v[27:28], v[7:8]
.LBB53_106:                             ;   in Loop: Header=BB53_12 Depth=3
	s_or_b64 exec, exec, s[56:57]
	s_or_b64 exec, exec, s[70:71]
	v_cmp_eq_u32_e32 vcc, v19, v23
	s_and_saveexec_b64 s[56:57], vcc
	s_cbranch_execnz .LBB53_82
	s_branch .LBB53_83
.LBB53_107:                             ;   in Loop: Header=BB53_12 Depth=3
	v_cmp_neq_f64_e32 vcc, 0, v[11:12]
	v_mov_b32_e32 v9, 0
	v_mov_b32_e32 v10, 0
	s_and_saveexec_b64 s[58:59], vcc
	s_cbranch_execz .LBB53_109
; %bb.108:                              ;   in Loop: Header=BB53_12 Depth=3
	v_div_scale_f64 v[9:10], s[52:53], v[7:8], v[7:8], v[5:6]
	v_rcp_f64_e32 v[11:12], v[9:10]
	v_fma_f64 v[31:32], -v[9:10], v[11:12], 1.0
	v_fma_f64 v[11:12], v[11:12], v[31:32], v[11:12]
	v_div_scale_f64 v[31:32], vcc, v[5:6], v[7:8], v[5:6]
	v_fma_f64 v[33:34], -v[9:10], v[11:12], 1.0
	v_fma_f64 v[11:12], v[11:12], v[33:34], v[11:12]
	v_mul_f64 v[33:34], v[31:32], v[11:12]
	v_fma_f64 v[9:10], -v[9:10], v[33:34], v[31:32]
	v_div_fmas_f64 v[9:10], v[9:10], v[11:12], v[33:34]
	v_div_fixup_f64 v[5:6], v[9:10], v[7:8], v[5:6]
	v_fma_f64 v[5:6], v[5:6], v[5:6], 1.0
	v_cmp_gt_f64_e32 vcc, s[84:85], v[5:6]
	v_cndmask_b32_e32 v9, 0, v46, vcc
	v_ldexp_f64 v[5:6], v[5:6], v9
	v_rsq_f64_e32 v[9:10], v[5:6]
	v_mul_f64 v[11:12], v[5:6], v[9:10]
	v_mul_f64 v[9:10], v[9:10], 0.5
	v_fma_f64 v[31:32], -v[9:10], v[11:12], 0.5
	v_fma_f64 v[11:12], v[11:12], v[31:32], v[11:12]
	v_fma_f64 v[9:10], v[9:10], v[31:32], v[9:10]
	v_fma_f64 v[31:32], -v[11:12], v[11:12], v[5:6]
	v_fma_f64 v[11:12], v[31:32], v[9:10], v[11:12]
	v_fma_f64 v[31:32], -v[11:12], v[11:12], v[5:6]
	v_fma_f64 v[9:10], v[31:32], v[9:10], v[11:12]
	v_cndmask_b32_e32 v11, 0, v47, vcc
	v_cmp_class_f64_e32 vcc, v[5:6], v45
	v_ldexp_f64 v[9:10], v[9:10], v11
	v_cndmask_b32_e32 v6, v10, v6, vcc
	v_cndmask_b32_e32 v5, v9, v5, vcc
	v_mul_f64 v[9:10], v[7:8], v[5:6]
.LBB53_109:                             ;   in Loop: Header=BB53_12 Depth=3
	s_or_b64 exec, exec, s[58:59]
                                        ; implicit-def: $vgpr5_vgpr6
                                        ; implicit-def: $vgpr7_vgpr8
	s_andn2_saveexec_b64 s[56:57], s[56:57]
	s_cbranch_execz .LBB53_43
.LBB53_110:                             ;   in Loop: Header=BB53_12 Depth=3
	v_div_scale_f64 v[9:10], s[52:53], v[5:6], v[5:6], v[7:8]
	v_rcp_f64_e32 v[11:12], v[9:10]
	v_fma_f64 v[31:32], -v[9:10], v[11:12], 1.0
	v_fma_f64 v[11:12], v[11:12], v[31:32], v[11:12]
	v_div_scale_f64 v[31:32], vcc, v[7:8], v[5:6], v[7:8]
	v_fma_f64 v[33:34], -v[9:10], v[11:12], 1.0
	v_fma_f64 v[11:12], v[11:12], v[33:34], v[11:12]
	v_mul_f64 v[33:34], v[31:32], v[11:12]
	v_fma_f64 v[9:10], -v[9:10], v[33:34], v[31:32]
	v_div_fmas_f64 v[9:10], v[9:10], v[11:12], v[33:34]
	v_div_fixup_f64 v[7:8], v[9:10], v[5:6], v[7:8]
	v_fma_f64 v[7:8], v[7:8], v[7:8], 1.0
	v_cmp_gt_f64_e32 vcc, s[84:85], v[7:8]
	v_cndmask_b32_e32 v9, 0, v46, vcc
	v_ldexp_f64 v[7:8], v[7:8], v9
	v_rsq_f64_e32 v[9:10], v[7:8]
	v_mul_f64 v[11:12], v[7:8], v[9:10]
	v_mul_f64 v[9:10], v[9:10], 0.5
	v_fma_f64 v[31:32], -v[9:10], v[11:12], 0.5
	v_fma_f64 v[11:12], v[11:12], v[31:32], v[11:12]
	v_fma_f64 v[9:10], v[9:10], v[31:32], v[9:10]
	v_fma_f64 v[31:32], -v[11:12], v[11:12], v[7:8]
	v_fma_f64 v[11:12], v[31:32], v[9:10], v[11:12]
	v_fma_f64 v[31:32], -v[11:12], v[11:12], v[7:8]
	v_fma_f64 v[9:10], v[31:32], v[9:10], v[11:12]
	v_cndmask_b32_e32 v11, 0, v47, vcc
	v_cmp_class_f64_e32 vcc, v[7:8], v45
	v_ldexp_f64 v[9:10], v[9:10], v11
	v_cndmask_b32_e32 v8, v10, v8, vcc
	v_cndmask_b32_e32 v7, v9, v7, vcc
	v_mul_f64 v[9:10], v[5:6], v[7:8]
	s_or_b64 exec, exec, s[56:57]
	v_cmp_class_f64_e64 s[56:57], v[9:10], s0
	s_and_saveexec_b64 s[52:53], s[56:57]
	s_cbranch_execnz .LBB53_44
	s_branch .LBB53_45
.LBB53_111:                             ;   in Loop: Header=BB53_12 Depth=3
	v_cmp_neq_f64_e32 vcc, 0, v[11:12]
	v_mov_b32_e32 v9, 0
	v_mov_b32_e32 v10, 0
	s_and_saveexec_b64 s[58:59], vcc
	s_cbranch_execz .LBB53_113
; %bb.112:                              ;   in Loop: Header=BB53_12 Depth=3
	v_div_scale_f64 v[9:10], s[52:53], v[7:8], v[7:8], v[5:6]
	v_rcp_f64_e32 v[11:12], v[9:10]
	v_fma_f64 v[31:32], -v[9:10], v[11:12], 1.0
	v_fma_f64 v[11:12], v[11:12], v[31:32], v[11:12]
	v_div_scale_f64 v[31:32], vcc, v[5:6], v[7:8], v[5:6]
	v_fma_f64 v[33:34], -v[9:10], v[11:12], 1.0
	v_fma_f64 v[11:12], v[11:12], v[33:34], v[11:12]
	v_mul_f64 v[33:34], v[31:32], v[11:12]
	v_fma_f64 v[9:10], -v[9:10], v[33:34], v[31:32]
	v_div_fmas_f64 v[9:10], v[9:10], v[11:12], v[33:34]
	v_div_fixup_f64 v[5:6], v[9:10], v[7:8], v[5:6]
	v_fma_f64 v[5:6], v[5:6], v[5:6], 1.0
	v_cmp_gt_f64_e32 vcc, s[84:85], v[5:6]
	v_cndmask_b32_e32 v9, 0, v46, vcc
	v_ldexp_f64 v[5:6], v[5:6], v9
	v_rsq_f64_e32 v[9:10], v[5:6]
	v_mul_f64 v[11:12], v[5:6], v[9:10]
	v_mul_f64 v[9:10], v[9:10], 0.5
	v_fma_f64 v[31:32], -v[9:10], v[11:12], 0.5
	v_fma_f64 v[11:12], v[11:12], v[31:32], v[11:12]
	v_fma_f64 v[9:10], v[9:10], v[31:32], v[9:10]
	v_fma_f64 v[31:32], -v[11:12], v[11:12], v[5:6]
	v_fma_f64 v[11:12], v[31:32], v[9:10], v[11:12]
	v_fma_f64 v[31:32], -v[11:12], v[11:12], v[5:6]
	v_fma_f64 v[9:10], v[31:32], v[9:10], v[11:12]
	v_cndmask_b32_e32 v11, 0, v47, vcc
	v_cmp_class_f64_e32 vcc, v[5:6], v45
	v_ldexp_f64 v[9:10], v[9:10], v11
	v_cndmask_b32_e32 v6, v10, v6, vcc
	v_cndmask_b32_e32 v5, v9, v5, vcc
	v_mul_f64 v[9:10], v[7:8], v[5:6]
.LBB53_113:                             ;   in Loop: Header=BB53_12 Depth=3
	s_or_b64 exec, exec, s[58:59]
                                        ; implicit-def: $vgpr5_vgpr6
                                        ; implicit-def: $vgpr7_vgpr8
	s_andn2_saveexec_b64 s[56:57], s[56:57]
	s_cbranch_execz .LBB53_73
.LBB53_114:                             ;   in Loop: Header=BB53_12 Depth=3
	v_div_scale_f64 v[9:10], s[52:53], v[5:6], v[5:6], v[7:8]
	v_rcp_f64_e32 v[11:12], v[9:10]
	v_fma_f64 v[31:32], -v[9:10], v[11:12], 1.0
	v_fma_f64 v[11:12], v[11:12], v[31:32], v[11:12]
	v_div_scale_f64 v[31:32], vcc, v[7:8], v[5:6], v[7:8]
	v_fma_f64 v[33:34], -v[9:10], v[11:12], 1.0
	v_fma_f64 v[11:12], v[11:12], v[33:34], v[11:12]
	v_mul_f64 v[33:34], v[31:32], v[11:12]
	v_fma_f64 v[9:10], -v[9:10], v[33:34], v[31:32]
	v_div_fmas_f64 v[9:10], v[9:10], v[11:12], v[33:34]
	v_div_fixup_f64 v[7:8], v[9:10], v[5:6], v[7:8]
	v_fma_f64 v[7:8], v[7:8], v[7:8], 1.0
	v_cmp_gt_f64_e32 vcc, s[84:85], v[7:8]
	v_cndmask_b32_e32 v9, 0, v46, vcc
	v_ldexp_f64 v[7:8], v[7:8], v9
	v_rsq_f64_e32 v[9:10], v[7:8]
	v_mul_f64 v[11:12], v[7:8], v[9:10]
	v_mul_f64 v[9:10], v[9:10], 0.5
	v_fma_f64 v[31:32], -v[9:10], v[11:12], 0.5
	v_fma_f64 v[11:12], v[11:12], v[31:32], v[11:12]
	v_fma_f64 v[9:10], v[9:10], v[31:32], v[9:10]
	v_fma_f64 v[31:32], -v[11:12], v[11:12], v[7:8]
	v_fma_f64 v[11:12], v[31:32], v[9:10], v[11:12]
	v_fma_f64 v[31:32], -v[11:12], v[11:12], v[7:8]
	v_fma_f64 v[9:10], v[31:32], v[9:10], v[11:12]
	v_cndmask_b32_e32 v11, 0, v47, vcc
	v_cmp_class_f64_e32 vcc, v[7:8], v45
	v_ldexp_f64 v[9:10], v[9:10], v11
	v_cndmask_b32_e32 v8, v10, v8, vcc
	v_cndmask_b32_e32 v7, v9, v7, vcc
	v_mul_f64 v[9:10], v[5:6], v[7:8]
	s_or_b64 exec, exec, s[56:57]
	v_cmp_class_f64_e64 s[56:57], v[9:10], s0
	s_and_saveexec_b64 s[52:53], s[56:57]
	s_cbranch_execnz .LBB53_74
	s_branch .LBB53_75
.LBB53_115:                             ;   in Loop: Header=BB53_12 Depth=3
	v_cmp_neq_f64_e32 vcc, 0, v[11:12]
	v_mov_b32_e32 v9, 0
	v_mov_b32_e32 v10, 0
	s_and_saveexec_b64 s[58:59], vcc
	s_cbranch_execz .LBB53_117
; %bb.116:                              ;   in Loop: Header=BB53_12 Depth=3
	v_div_scale_f64 v[9:10], s[52:53], v[7:8], v[7:8], v[5:6]
	v_rcp_f64_e32 v[11:12], v[9:10]
	v_fma_f64 v[31:32], -v[9:10], v[11:12], 1.0
	v_fma_f64 v[11:12], v[11:12], v[31:32], v[11:12]
	v_div_scale_f64 v[31:32], vcc, v[5:6], v[7:8], v[5:6]
	v_fma_f64 v[33:34], -v[9:10], v[11:12], 1.0
	v_fma_f64 v[11:12], v[11:12], v[33:34], v[11:12]
	v_mul_f64 v[33:34], v[31:32], v[11:12]
	v_fma_f64 v[9:10], -v[9:10], v[33:34], v[31:32]
	v_div_fmas_f64 v[9:10], v[9:10], v[11:12], v[33:34]
	v_div_fixup_f64 v[5:6], v[9:10], v[7:8], v[5:6]
	v_fma_f64 v[5:6], v[5:6], v[5:6], 1.0
	v_cmp_gt_f64_e32 vcc, s[84:85], v[5:6]
	v_cndmask_b32_e32 v9, 0, v46, vcc
	v_ldexp_f64 v[5:6], v[5:6], v9
	v_rsq_f64_e32 v[9:10], v[5:6]
	v_mul_f64 v[11:12], v[5:6], v[9:10]
	v_mul_f64 v[9:10], v[9:10], 0.5
	v_fma_f64 v[31:32], -v[9:10], v[11:12], 0.5
	v_fma_f64 v[11:12], v[11:12], v[31:32], v[11:12]
	v_fma_f64 v[9:10], v[9:10], v[31:32], v[9:10]
	v_fma_f64 v[31:32], -v[11:12], v[11:12], v[5:6]
	v_fma_f64 v[11:12], v[31:32], v[9:10], v[11:12]
	v_fma_f64 v[31:32], -v[11:12], v[11:12], v[5:6]
	v_fma_f64 v[9:10], v[31:32], v[9:10], v[11:12]
	v_cndmask_b32_e32 v11, 0, v47, vcc
	v_cmp_class_f64_e32 vcc, v[5:6], v45
	v_ldexp_f64 v[9:10], v[9:10], v11
	v_cndmask_b32_e32 v6, v10, v6, vcc
	v_cndmask_b32_e32 v5, v9, v5, vcc
	v_mul_f64 v[9:10], v[7:8], v[5:6]
.LBB53_117:                             ;   in Loop: Header=BB53_12 Depth=3
	s_or_b64 exec, exec, s[58:59]
                                        ; implicit-def: $vgpr5_vgpr6
                                        ; implicit-def: $vgpr7_vgpr8
	s_andn2_saveexec_b64 s[56:57], s[56:57]
	s_cbranch_execz .LBB53_57
.LBB53_118:                             ;   in Loop: Header=BB53_12 Depth=3
	v_div_scale_f64 v[9:10], s[52:53], v[5:6], v[5:6], v[7:8]
	v_rcp_f64_e32 v[11:12], v[9:10]
	v_fma_f64 v[31:32], -v[9:10], v[11:12], 1.0
	v_fma_f64 v[11:12], v[11:12], v[31:32], v[11:12]
	v_div_scale_f64 v[31:32], vcc, v[7:8], v[5:6], v[7:8]
	v_fma_f64 v[33:34], -v[9:10], v[11:12], 1.0
	v_fma_f64 v[11:12], v[11:12], v[33:34], v[11:12]
	v_mul_f64 v[33:34], v[31:32], v[11:12]
	v_fma_f64 v[9:10], -v[9:10], v[33:34], v[31:32]
	v_div_fmas_f64 v[9:10], v[9:10], v[11:12], v[33:34]
	v_div_fixup_f64 v[7:8], v[9:10], v[5:6], v[7:8]
	v_fma_f64 v[7:8], v[7:8], v[7:8], 1.0
	v_cmp_gt_f64_e32 vcc, s[84:85], v[7:8]
	v_cndmask_b32_e32 v9, 0, v46, vcc
	v_ldexp_f64 v[7:8], v[7:8], v9
	v_rsq_f64_e32 v[9:10], v[7:8]
	v_mul_f64 v[11:12], v[7:8], v[9:10]
	v_mul_f64 v[9:10], v[9:10], 0.5
	v_fma_f64 v[31:32], -v[9:10], v[11:12], 0.5
	v_fma_f64 v[11:12], v[11:12], v[31:32], v[11:12]
	v_fma_f64 v[9:10], v[9:10], v[31:32], v[9:10]
	v_fma_f64 v[31:32], -v[11:12], v[11:12], v[7:8]
	v_fma_f64 v[11:12], v[31:32], v[9:10], v[11:12]
	v_fma_f64 v[31:32], -v[11:12], v[11:12], v[7:8]
	v_fma_f64 v[9:10], v[31:32], v[9:10], v[11:12]
	v_cndmask_b32_e32 v11, 0, v47, vcc
	v_cmp_class_f64_e32 vcc, v[7:8], v45
	v_ldexp_f64 v[9:10], v[9:10], v11
	v_cndmask_b32_e32 v8, v10, v8, vcc
	v_cndmask_b32_e32 v7, v9, v7, vcc
	v_mul_f64 v[9:10], v[5:6], v[7:8]
	s_or_b64 exec, exec, s[56:57]
	v_cmp_class_f64_e64 s[56:57], v[9:10], s0
	s_and_saveexec_b64 s[52:53], s[56:57]
	s_cbranch_execnz .LBB53_58
	s_branch .LBB53_59
.LBB53_119:                             ;   in Loop: Header=BB53_3 Depth=1
	s_and_b64 vcc, exec, s[64:65]
	s_cbranch_vccz .LBB53_135
; %bb.120:                              ;   in Loop: Header=BB53_3 Depth=1
	v_mov_b32_dpp v1, v15 row_shr:1 row_mask:0xf bank_mask:0xf
	v_mov_b32_dpp v2, v16 row_shr:1 row_mask:0xf bank_mask:0xf
	v_cmp_lt_f64_e32 vcc, v[15:16], v[1:2]
	v_cndmask_b32_e32 v2, v16, v2, vcc
	v_cndmask_b32_e32 v1, v15, v1, vcc
	s_nop 0
	v_mov_b32_dpp v4, v2 row_shr:2 row_mask:0xf bank_mask:0xf
	v_mov_b32_dpp v3, v1 row_shr:2 row_mask:0xf bank_mask:0xf
	v_cmp_lt_f64_e32 vcc, v[1:2], v[3:4]
	v_cndmask_b32_e32 v2, v2, v4, vcc
	v_cndmask_b32_e32 v1, v1, v3, vcc
	s_nop 0
	;; [unrolled: 6-line block ×3, first 2 shown]
	v_mov_b32_dpp v5, v2 row_shr:8 row_mask:0xf bank_mask:0xc
	v_mov_b32_dpp v3, v1 row_shr:8 row_mask:0xf bank_mask:0xc
	s_and_saveexec_b64 s[4:5], s[2:3]
	s_cbranch_execz .LBB53_122
; %bb.121:                              ;   in Loop: Header=BB53_3 Depth=1
	v_mov_b32_e32 v4, v5
	v_cmp_lt_f64_e32 vcc, v[1:2], v[3:4]
	v_cndmask_b32_e32 v2, v2, v5, vcc
	v_cndmask_b32_e32 v1, v1, v3, vcc
	ds_write_b64 v42, v[1:2]
.LBB53_122:                             ;   in Loop: Header=BB53_3 Depth=1
	s_or_b64 exec, exec, s[4:5]
	s_waitcnt vmcnt(0) lgkmcnt(0)
	s_barrier
	s_and_saveexec_b64 s[4:5], s[22:23]
	s_cbranch_execz .LBB53_124
; %bb.123:                              ;   in Loop: Header=BB53_3 Depth=1
	ds_read2_b64 v[1:4], v40 offset1:32
	s_waitcnt lgkmcnt(0)
	v_cmp_lt_f64_e32 vcc, v[1:2], v[3:4]
	v_cndmask_b32_e32 v2, v2, v4, vcc
	v_cndmask_b32_e32 v1, v1, v3, vcc
	ds_write_b64 v40, v[1:2]
.LBB53_124:                             ;   in Loop: Header=BB53_3 Depth=1
	s_or_b64 exec, exec, s[4:5]
	s_waitcnt lgkmcnt(0)
	s_barrier
	s_and_saveexec_b64 s[4:5], s[6:7]
	s_cbranch_execz .LBB53_126
; %bb.125:                              ;   in Loop: Header=BB53_3 Depth=1
	ds_read2_b64 v[1:4], v40 offset1:16
	s_waitcnt lgkmcnt(0)
	v_cmp_lt_f64_e32 vcc, v[1:2], v[3:4]
	v_cndmask_b32_e32 v2, v2, v4, vcc
	v_cndmask_b32_e32 v1, v1, v3, vcc
	ds_write_b64 v40, v[1:2]
.LBB53_126:                             ;   in Loop: Header=BB53_3 Depth=1
	s_or_b64 exec, exec, s[4:5]
	s_waitcnt lgkmcnt(0)
	;; [unrolled: 13-line block ×5, first 2 shown]
	s_barrier
	s_and_saveexec_b64 s[4:5], s[14:15]
	s_cbranch_execz .LBB53_134
; %bb.133:                              ;   in Loop: Header=BB53_3 Depth=1
	ds_read_b128 v[1:4], v18
	s_waitcnt lgkmcnt(0)
	v_cmp_lt_f64_e32 vcc, v[1:2], v[3:4]
	v_cndmask_b32_e32 v2, v2, v4, vcc
	v_cndmask_b32_e32 v1, v1, v3, vcc
	ds_write_b64 v18, v[1:2]
.LBB53_134:                             ;   in Loop: Header=BB53_3 Depth=1
	s_or_b64 exec, exec, s[4:5]
	v_readlane_b32 s4, v61, 10
	v_readlane_b32 s5, v61, 11
	s_waitcnt lgkmcnt(0)
	s_barrier
	ds_read_b64 v[1:2], v18
	s_load_dwordx2 s[4:5], s[4:5], 0x0
	s_waitcnt lgkmcnt(0)
	v_div_scale_f64 v[3:4], s[18:19], s[4:5], s[4:5], v[1:2]
	v_div_scale_f64 v[9:10], vcc, v[1:2], s[4:5], v[1:2]
	v_rcp_f64_e32 v[5:6], v[3:4]
	v_fma_f64 v[7:8], -v[3:4], v[5:6], 1.0
	v_fma_f64 v[5:6], v[5:6], v[7:8], v[5:6]
	v_fma_f64 v[7:8], -v[3:4], v[5:6], 1.0
	v_fma_f64 v[5:6], v[5:6], v[7:8], v[5:6]
	v_mul_f64 v[7:8], v[9:10], v[5:6]
	v_fma_f64 v[3:4], -v[3:4], v[7:8], v[9:10]
	v_div_fmas_f64 v[3:4], v[3:4], v[5:6], v[7:8]
	v_div_fixup_f64 v[15:16], v[3:4], s[4:5], v[1:2]
.LBB53_135:                             ;   in Loop: Header=BB53_3 Depth=1
	s_andn2_b64 vcc, exec, s[34:35]
	s_cbranch_vccnz .LBB53_151
; %bb.136:                              ;   in Loop: Header=BB53_3 Depth=1
	v_mov_b32_dpp v1, v13 row_shr:1 row_mask:0xf bank_mask:0xf
	v_mov_b32_dpp v2, v14 row_shr:1 row_mask:0xf bank_mask:0xf
	v_cmp_lt_f64_e32 vcc, v[13:14], v[1:2]
	v_cndmask_b32_e32 v2, v14, v2, vcc
	v_cndmask_b32_e32 v1, v13, v1, vcc
	s_nop 0
	v_mov_b32_dpp v4, v2 row_shr:2 row_mask:0xf bank_mask:0xf
	v_mov_b32_dpp v3, v1 row_shr:2 row_mask:0xf bank_mask:0xf
	v_cmp_lt_f64_e32 vcc, v[1:2], v[3:4]
	v_cndmask_b32_e32 v2, v2, v4, vcc
	v_cndmask_b32_e32 v1, v1, v3, vcc
	s_nop 0
	;; [unrolled: 6-line block ×3, first 2 shown]
	v_mov_b32_dpp v5, v2 row_shr:8 row_mask:0xf bank_mask:0xc
	v_mov_b32_dpp v3, v1 row_shr:8 row_mask:0xf bank_mask:0xc
	s_and_saveexec_b64 s[4:5], s[2:3]
	s_cbranch_execz .LBB53_138
; %bb.137:                              ;   in Loop: Header=BB53_3 Depth=1
	v_mov_b32_e32 v4, v5
	v_cmp_lt_f64_e32 vcc, v[1:2], v[3:4]
	v_cndmask_b32_e32 v2, v2, v5, vcc
	v_cndmask_b32_e32 v1, v1, v3, vcc
	ds_write_b64 v42, v[1:2]
.LBB53_138:                             ;   in Loop: Header=BB53_3 Depth=1
	s_or_b64 exec, exec, s[4:5]
	s_waitcnt vmcnt(0) lgkmcnt(0)
	s_barrier
	s_and_saveexec_b64 s[4:5], s[22:23]
	s_cbranch_execz .LBB53_140
; %bb.139:                              ;   in Loop: Header=BB53_3 Depth=1
	ds_read2_b64 v[1:4], v40 offset1:32
	s_waitcnt lgkmcnt(0)
	v_cmp_lt_f64_e32 vcc, v[1:2], v[3:4]
	v_cndmask_b32_e32 v2, v2, v4, vcc
	v_cndmask_b32_e32 v1, v1, v3, vcc
	ds_write_b64 v40, v[1:2]
.LBB53_140:                             ;   in Loop: Header=BB53_3 Depth=1
	s_or_b64 exec, exec, s[4:5]
	s_waitcnt lgkmcnt(0)
	s_barrier
	s_and_saveexec_b64 s[4:5], s[6:7]
	s_cbranch_execz .LBB53_142
; %bb.141:                              ;   in Loop: Header=BB53_3 Depth=1
	ds_read2_b64 v[1:4], v40 offset1:16
	s_waitcnt lgkmcnt(0)
	v_cmp_lt_f64_e32 vcc, v[1:2], v[3:4]
	v_cndmask_b32_e32 v2, v2, v4, vcc
	v_cndmask_b32_e32 v1, v1, v3, vcc
	ds_write_b64 v40, v[1:2]
.LBB53_142:                             ;   in Loop: Header=BB53_3 Depth=1
	s_or_b64 exec, exec, s[4:5]
	s_waitcnt lgkmcnt(0)
	;; [unrolled: 13-line block ×5, first 2 shown]
	s_barrier
	s_and_saveexec_b64 s[4:5], s[14:15]
	s_cbranch_execz .LBB53_150
; %bb.149:                              ;   in Loop: Header=BB53_3 Depth=1
	ds_read_b128 v[1:4], v18
	s_waitcnt lgkmcnt(0)
	v_cmp_lt_f64_e32 vcc, v[1:2], v[3:4]
	v_cndmask_b32_e32 v2, v2, v4, vcc
	v_cndmask_b32_e32 v1, v1, v3, vcc
	ds_write_b64 v18, v[1:2]
.LBB53_150:                             ;   in Loop: Header=BB53_3 Depth=1
	s_or_b64 exec, exec, s[4:5]
	v_readlane_b32 s4, v61, 10
	v_readlane_b32 s5, v61, 11
	s_waitcnt lgkmcnt(0)
	s_barrier
	ds_read_b64 v[1:2], v18
	s_load_dwordx2 s[4:5], s[4:5], 0x0
	s_waitcnt lgkmcnt(0)
	v_div_scale_f64 v[3:4], s[18:19], s[4:5], s[4:5], v[1:2]
	v_div_scale_f64 v[9:10], vcc, v[1:2], s[4:5], v[1:2]
	v_rcp_f64_e32 v[5:6], v[3:4]
	v_fma_f64 v[7:8], -v[3:4], v[5:6], 1.0
	v_fma_f64 v[5:6], v[5:6], v[7:8], v[5:6]
	v_fma_f64 v[7:8], -v[3:4], v[5:6], 1.0
	v_fma_f64 v[5:6], v[5:6], v[7:8], v[5:6]
	v_mul_f64 v[7:8], v[9:10], v[5:6]
	v_fma_f64 v[3:4], -v[3:4], v[7:8], v[9:10]
	v_div_fmas_f64 v[3:4], v[3:4], v[5:6], v[7:8]
	v_div_fixup_f64 v[13:14], v[3:4], s[4:5], v[1:2]
.LBB53_151:                             ;   in Loop: Header=BB53_3 Depth=1
	s_mov_b64 s[4:5], exec
	v_readlane_b32 s18, v61, 14
	v_readlane_b32 s19, v61, 15
	s_and_b64 s[18:19], s[4:5], s[18:19]
	s_mov_b64 exec, s[18:19]
	s_cbranch_execz .LBB53_163
; %bb.152:                              ;   in Loop: Header=BB53_3 Depth=1
	s_mov_b64 s[18:19], 0
	v_mov_b32_e32 v1, v39
	s_branch .LBB53_154
.LBB53_153:                             ;   in Loop: Header=BB53_154 Depth=2
	s_or_b64 exec, exec, s[20:21]
	v_add_u32_e32 v1, 64, v1
	v_cmp_le_u32_e32 vcc, s73, v1
	s_or_b64 s[18:19], vcc, s[18:19]
	s_andn2_b64 exec, exec, s[18:19]
	s_cbranch_execz .LBB53_163
.LBB53_154:                             ;   Parent Loop BB53_3 Depth=1
                                        ; =>  This Loop Header: Depth=2
                                        ;       Child Loop BB53_157 Depth 3
                                        ;       Child Loop BB53_160 Depth 3
	v_cmp_gt_i32_e32 vcc, s33, v1
	s_and_saveexec_b64 s[20:21], vcc
	s_cbranch_execz .LBB53_153
; %bb.155:                              ;   in Loop: Header=BB53_154 Depth=2
	v_ashrrev_i32_e32 v2, 31, v1
	v_lshlrev_b64 v[3:4], 2, v[1:2]
	v_mov_b32_e32 v6, s37
	v_add_co_u32_e32 v5, vcc, s36, v3
	v_addc_co_u32_e32 v6, vcc, v6, v4, vcc
	global_load_dword v7, v[5:6], off
	v_mov_b32_e32 v6, s39
	v_add_co_u32_e32 v5, vcc, s38, v3
	v_addc_co_u32_e32 v6, vcc, v6, v4, vcc
	global_load_dword v6, v[5:6], off
	s_waitcnt vmcnt(1)
	v_add_u32_e32 v5, v43, v7
	s_waitcnt vmcnt(0)
	v_subrev_u32_e32 v10, s68, v6
	v_cmp_lt_i32_e32 vcc, v5, v10
	s_and_saveexec_b64 s[56:57], vcc
	s_cbranch_execz .LBB53_158
; %bb.156:                              ;   in Loop: Header=BB53_154 Depth=2
	v_ashrrev_i32_e32 v6, 31, v5
	v_lshlrev_b64 v[8:9], 4, v[5:6]
	v_mov_b32_e32 v7, s43
	v_add_co_u32_e32 v6, vcc, s42, v8
	v_addc_co_u32_e32 v7, vcc, v7, v9, vcc
	v_mov_b32_e32 v11, s77
	v_add_co_u32_e32 v8, vcc, s76, v8
	v_addc_co_u32_e32 v9, vcc, v11, v9, vcc
	s_mov_b64 s[58:59], 0
.LBB53_157:                             ;   Parent Loop BB53_3 Depth=1
                                        ;     Parent Loop BB53_154 Depth=2
                                        ; =>    This Inner Loop Header: Depth=3
	global_load_dwordx4 v[19:22], v[8:9], off
	v_add_u32_e32 v5, 16, v5
	v_cmp_ge_i32_e32 vcc, v5, v10
	s_or_b64 s[58:59], vcc, s[58:59]
	s_waitcnt vmcnt(0)
	global_store_dwordx4 v[6:7], v[19:22], off
	v_add_co_u32_e32 v6, vcc, 0x100, v6
	v_addc_co_u32_e32 v7, vcc, 0, v7, vcc
	v_add_co_u32_e32 v8, vcc, 0x100, v8
	v_addc_co_u32_e32 v9, vcc, 0, v9, vcc
	s_andn2_b64 exec, exec, s[58:59]
	s_cbranch_execnz .LBB53_157
.LBB53_158:                             ;   in Loop: Header=BB53_154 Depth=2
	s_or_b64 exec, exec, s[56:57]
	v_mov_b32_e32 v6, s25
	v_add_co_u32_e32 v5, vcc, s24, v3
	v_addc_co_u32_e32 v6, vcc, v6, v4, vcc
	global_load_dword v5, v[5:6], off
	v_mov_b32_e32 v6, s27
	v_add_co_u32_e32 v3, vcc, s26, v3
	v_addc_co_u32_e32 v4, vcc, v6, v4, vcc
	global_load_dword v4, v[3:4], off
	s_waitcnt vmcnt(1)
	v_add_u32_e32 v3, v44, v5
	s_waitcnt vmcnt(0)
	v_subrev_u32_e32 v8, s72, v4
	v_cmp_lt_i32_e32 vcc, v3, v8
	s_and_saveexec_b64 s[56:57], vcc
	s_cbranch_execz .LBB53_161
; %bb.159:                              ;   in Loop: Header=BB53_154 Depth=2
	v_ashrrev_i32_e32 v4, 31, v3
	v_lshlrev_b64 v[6:7], 4, v[3:4]
	v_mov_b32_e32 v5, s31
	v_add_co_u32_e32 v4, vcc, s30, v6
	v_addc_co_u32_e32 v5, vcc, v5, v7, vcc
	v_mov_b32_e32 v9, s79
	v_add_co_u32_e32 v6, vcc, s78, v6
	v_addc_co_u32_e32 v7, vcc, v9, v7, vcc
	s_mov_b64 s[58:59], 0
.LBB53_160:                             ;   Parent Loop BB53_3 Depth=1
                                        ;     Parent Loop BB53_154 Depth=2
                                        ; =>    This Inner Loop Header: Depth=3
	global_load_dwordx4 v[9:12], v[6:7], off
	v_add_u32_e32 v3, 16, v3
	v_cmp_ge_i32_e32 vcc, v3, v8
	s_or_b64 s[58:59], vcc, s[58:59]
	s_waitcnt vmcnt(0)
	global_store_dwordx4 v[4:5], v[9:12], off
	v_add_co_u32_e32 v4, vcc, 0x100, v4
	v_addc_co_u32_e32 v5, vcc, 0, v5, vcc
	v_add_co_u32_e32 v6, vcc, 0x100, v6
	v_addc_co_u32_e32 v7, vcc, 0, v7, vcc
	s_andn2_b64 exec, exec, s[58:59]
	s_cbranch_execnz .LBB53_160
.LBB53_161:                             ;   in Loop: Header=BB53_154 Depth=2
	s_or_b64 exec, exec, s[56:57]
	s_and_b64 exec, exec, s[16:17]
	s_cbranch_execz .LBB53_153
; %bb.162:                              ;   in Loop: Header=BB53_154 Depth=2
	v_lshlrev_b64 v[6:7], 4, v[1:2]
	v_mov_b32_e32 v3, s63
	v_add_co_u32_e32 v2, vcc, s62, v6
	v_addc_co_u32_e32 v3, vcc, v3, v7, vcc
	global_load_dwordx4 v[2:5], v[2:3], off
	v_mov_b32_e32 v8, s61
	v_add_co_u32_e32 v6, vcc, s60, v6
	v_addc_co_u32_e32 v7, vcc, v8, v7, vcc
	s_waitcnt vmcnt(0)
	global_store_dwordx4 v[6:7], v[2:5], off
	s_branch .LBB53_153
.LBB53_163:                             ;   in Loop: Header=BB53_3 Depth=1
	s_or_b64 exec, exec, s[4:5]
	s_mov_b64 s[18:19], -1
	s_and_b64 vcc, exec, s[66:67]
	s_mov_b64 s[20:21], -1
	s_cbranch_vccz .LBB53_173
; %bb.164:                              ;   in Loop: Header=BB53_3 Depth=1
	v_readlane_b32 s20, v61, 16
	v_readlane_b32 s21, v61, 17
	s_mov_b64 s[4:5], -1
	s_and_b64 vcc, exec, s[20:21]
                                        ; implicit-def: $sgpr20_sgpr21
	s_cbranch_vccz .LBB53_170
; %bb.165:                              ;   in Loop: Header=BB53_3 Depth=1
	v_readlane_b32 s20, v61, 12
	v_readlane_b32 s21, v61, 13
	s_and_b64 vcc, exec, s[20:21]
                                        ; implicit-def: $sgpr20_sgpr21
	s_cbranch_vccz .LBB53_167
; %bb.166:                              ;   in Loop: Header=BB53_3 Depth=1
	v_readlane_b32 s56, v61, 0
	v_readlane_b32 s58, v61, 2
	;; [unrolled: 1-line block ×4, first 2 shown]
	v_cmp_ge_f64_e64 s[20:21], s[58:59], v[13:14]
	s_mov_b64 s[4:5], 0
.LBB53_167:                             ;   in Loop: Header=BB53_3 Depth=1
	s_andn2_b64 vcc, exec, s[4:5]
	s_cbranch_vccnz .LBB53_169
; %bb.168:                              ;   in Loop: Header=BB53_3 Depth=1
	v_readlane_b32 s56, v61, 0
	v_readlane_b32 s58, v61, 2
	;; [unrolled: 1-line block ×3, first 2 shown]
	v_cmp_ge_f64_e32 vcc, s[58:59], v[15:16]
	s_andn2_b64 s[4:5], s[20:21], exec
	v_readlane_b32 s57, v61, 1
	s_and_b64 s[20:21], vcc, exec
	s_or_b64 s[20:21], s[4:5], s[20:21]
.LBB53_169:                             ;   in Loop: Header=BB53_3 Depth=1
	s_mov_b64 s[4:5], 0
.LBB53_170:                             ;   in Loop: Header=BB53_3 Depth=1
	s_andn2_b64 vcc, exec, s[4:5]
	s_cbranch_vccnz .LBB53_172
; %bb.171:                              ;   in Loop: Header=BB53_3 Depth=1
	v_readlane_b32 s56, v61, 0
	v_readlane_b32 s58, v61, 2
	;; [unrolled: 1-line block ×3, first 2 shown]
	v_cmp_ge_f64_e32 vcc, s[58:59], v[15:16]
	v_cmp_ge_f64_e64 s[4:5], s[58:59], v[13:14]
	s_andn2_b64 s[20:21], s[20:21], exec
	v_readlane_b32 s57, v61, 1
	s_and_b64 s[4:5], vcc, s[4:5]
	s_and_b64 s[4:5], s[4:5], exec
	s_or_b64 s[20:21], s[20:21], s[4:5]
.LBB53_172:                             ;   in Loop: Header=BB53_3 Depth=1
	s_xor_b64 s[20:21], s[20:21], -1
.LBB53_173:                             ;   in Loop: Header=BB53_3 Depth=1
	v_mov_b32_e32 v1, s54
	s_and_saveexec_b64 s[4:5], s[20:21]
	s_cbranch_execz .LBB53_2
; %bb.174:                              ;   in Loop: Header=BB53_3 Depth=1
	s_add_i32 s54, s54, 1
	s_cmp_eq_u32 s54, s69
	s_cselect_b64 s[18:19], -1, 0
	v_mov_b32_e32 v1, s69
	s_orn2_b64 s[18:19], s[18:19], exec
	s_branch .LBB53_2
.LBB53_175:
	s_or_b64 exec, exec, s[82:83]
	v_readlane_b32 s8, v61, 6
	v_readlane_b32 s9, v61, 7
	;; [unrolled: 1-line block ×4, first 2 shown]
.LBB53_176:
	v_readlane_b32 s0, v61, 4
	v_readlane_b32 s1, v61, 5
	s_or_b64 exec, exec, s[0:1]
	s_andn2_b64 vcc, exec, s[66:67]
	s_cbranch_vccnz .LBB53_195
; %bb.177:
	v_mov_b32_dpp v2, v1 row_shr:1 row_mask:0xf bank_mask:0xf
	v_max_i32_e32 v1, v1, v2
	v_cmp_eq_u32_e32 vcc, 15, v38
	s_nop 0
	v_mov_b32_dpp v2, v1 row_shr:2 row_mask:0xf bank_mask:0xf
	v_max_i32_e32 v1, v1, v2
	s_nop 1
	v_mov_b32_dpp v2, v1 row_shr:4 row_mask:0xf bank_mask:0xe
	v_max_i32_e32 v1, v1, v2
	s_nop 1
	v_mov_b32_dpp v2, v1 row_shr:8 row_mask:0xf bank_mask:0xc
	s_and_saveexec_b64 s[0:1], vcc
; %bb.178:
	v_lshlrev_b32_e32 v3, 2, v37
	v_max_i32_e32 v1, v1, v2
	ds_write_b32 v3, v1 offset:512
; %bb.179:
	s_or_b64 exec, exec, s[0:1]
	v_cmp_gt_u32_e32 vcc, 32, v0
	v_lshlrev_b32_e32 v1, 2, v0
	s_waitcnt vmcnt(0) lgkmcnt(0)
	s_barrier
	s_and_saveexec_b64 s[0:1], vcc
	s_cbranch_execz .LBB53_181
; %bb.180:
	ds_read2_b32 v[2:3], v1 offset0:128 offset1:160
	s_waitcnt lgkmcnt(0)
	v_max_i32_e32 v2, v2, v3
	ds_write_b32 v1, v2 offset:512
.LBB53_181:
	s_or_b64 exec, exec, s[0:1]
	v_cmp_gt_u32_e32 vcc, 16, v0
	s_waitcnt lgkmcnt(0)
	s_barrier
	s_and_saveexec_b64 s[0:1], vcc
	s_cbranch_execz .LBB53_183
; %bb.182:
	ds_read2_b32 v[2:3], v1 offset0:128 offset1:144
	s_waitcnt lgkmcnt(0)
	v_max_i32_e32 v2, v2, v3
	ds_write_b32 v1, v2 offset:512
.LBB53_183:
	s_or_b64 exec, exec, s[0:1]
	v_cmp_gt_u32_e32 vcc, 8, v0
	s_waitcnt lgkmcnt(0)
	;; [unrolled: 12-line block ×4, first 2 shown]
	s_barrier
	s_and_saveexec_b64 s[0:1], vcc
	s_cbranch_execz .LBB53_189
; %bb.188:
	ds_read2_b32 v[2:3], v1 offset0:128 offset1:130
	s_waitcnt lgkmcnt(0)
	v_max_i32_e32 v2, v2, v3
	ds_write_b32 v1, v2 offset:512
.LBB53_189:
	s_or_b64 exec, exec, s[0:1]
	v_cmp_eq_u32_e32 vcc, 0, v0
	s_waitcnt lgkmcnt(0)
	s_barrier
	s_and_saveexec_b64 s[0:1], vcc
	s_cbranch_execz .LBB53_191
; %bb.190:
	v_mov_b32_e32 v3, 0
	ds_read_b64 v[1:2], v3 offset:512
	s_waitcnt lgkmcnt(0)
	v_max_i32_e32 v1, v1, v2
	ds_write_b32 v3, v1 offset:512
.LBB53_191:
	s_or_b64 exec, exec, s[0:1]
	s_waitcnt lgkmcnt(0)
	s_barrier
	s_and_saveexec_b64 s[0:1], vcc
	s_cbranch_execz .LBB53_194
; %bb.192:
	v_mbcnt_lo_u32_b32 v1, exec_lo, 0
	v_mbcnt_hi_u32_b32 v1, exec_hi, v1
	v_cmp_eq_u32_e32 vcc, 0, v1
	s_and_b64 exec, exec, vcc
	s_cbranch_execz .LBB53_194
; %bb.193:
	v_mov_b32_e32 v1, 0
	ds_read_b32 v2, v1 offset:512
	v_readlane_b32 s4, v61, 0
	v_readlane_b32 s5, v61, 1
	;; [unrolled: 1-line block ×4, first 2 shown]
	s_waitcnt lgkmcnt(0)
	v_add_u32_e32 v2, 1, v2
	s_nop 0
	global_atomic_smax v1, v2, s[4:5]
.LBB53_194:
	s_or_b64 exec, exec, s[0:1]
.LBB53_195:
	v_cmp_eq_u32_e32 vcc, 0, v0
	s_and_b64 s[0:1], vcc, s[64:65]
	s_and_saveexec_b64 s[2:3], s[0:1]
	s_cbranch_execz .LBB53_202
; %bb.196:
	v_mov_b32_e32 v0, 0
	s_mov_b64 s[0:1], exec
	v_mov_b32_e32 v1, 0x7ff80000
.LBB53_197:                             ; =>This Inner Loop Header: Depth=1
	s_ff1_i32_b64 s6, s[0:1]
	v_readlane_b32 s5, v16, s6
	v_readlane_b32 s4, v15, s6
	v_max_f64 v[0:1], v[0:1], v[0:1]
	v_max_f64 v[2:3], s[4:5], s[4:5]
	s_lshl_b64 s[4:5], 1, s6
	s_andn2_b64 s[0:1], s[0:1], s[4:5]
	s_cmp_lg_u64 s[0:1], 0
	v_max_f64 v[0:1], v[0:1], v[2:3]
	s_cbranch_scc1 .LBB53_197
; %bb.198:
	v_mbcnt_lo_u32_b32 v2, exec_lo, 0
	v_mbcnt_hi_u32_b32 v2, exec_hi, v2
	v_cmp_eq_u32_e64 s[0:1], 0, v2
	s_and_saveexec_b64 s[4:5], s[0:1]
	s_xor_b64 s[4:5], exec, s[4:5]
	s_cbranch_execz .LBB53_202
; %bb.199:
	v_mov_b32_e32 v6, 0
	global_load_dwordx2 v[2:3], v6, s[8:9]
	v_max_f64 v[4:5], v[0:1], v[0:1]
	s_mov_b64 s[4:5], 0
.LBB53_200:                             ; =>This Inner Loop Header: Depth=1
	s_waitcnt vmcnt(0)
	v_max_f64 v[0:1], v[2:3], v[2:3]
	v_max_f64 v[0:1], v[0:1], v[4:5]
	global_atomic_cmpswap_x2 v[0:1], v6, v[0:3], s[8:9] glc
	s_waitcnt vmcnt(0)
	v_cmp_eq_u64_e64 s[0:1], v[0:1], v[2:3]
	v_mov_b32_e32 v3, v1
	s_or_b64 s[4:5], s[0:1], s[4:5]
	v_mov_b32_e32 v2, v0
	s_andn2_b64 exec, exec, s[4:5]
	s_cbranch_execnz .LBB53_200
; %bb.201:
	s_or_b64 exec, exec, s[4:5]
.LBB53_202:
	s_or_b64 exec, exec, s[2:3]
	s_and_b64 s[0:1], vcc, s[34:35]
	s_and_saveexec_b64 s[2:3], s[0:1]
	s_cbranch_execz .LBB53_208
; %bb.203:
	v_mov_b32_e32 v0, 0
	s_mov_b64 s[0:1], exec
	v_mov_b32_e32 v1, 0x7ff80000
.LBB53_204:                             ; =>This Inner Loop Header: Depth=1
	s_ff1_i32_b64 s4, s[0:1]
	v_readlane_b32 s3, v14, s4
	v_readlane_b32 s2, v13, s4
	v_max_f64 v[0:1], v[0:1], v[0:1]
	v_max_f64 v[2:3], s[2:3], s[2:3]
	s_lshl_b64 s[2:3], 1, s4
	s_andn2_b64 s[0:1], s[0:1], s[2:3]
	s_cmp_lg_u64 s[0:1], 0
	v_max_f64 v[0:1], v[0:1], v[2:3]
	s_cbranch_scc1 .LBB53_204
; %bb.205:
	v_mbcnt_lo_u32_b32 v2, exec_lo, 0
	v_mbcnt_hi_u32_b32 v2, exec_hi, v2
	v_cmp_eq_u32_e32 vcc, 0, v2
	s_and_saveexec_b64 s[0:1], vcc
	s_xor_b64 s[0:1], exec, s[0:1]
	s_cbranch_execz .LBB53_208
; %bb.206:
	v_mov_b32_e32 v6, 0
	global_load_dwordx2 v[2:3], v6, s[10:11]
	v_max_f64 v[4:5], v[0:1], v[0:1]
	s_mov_b64 s[0:1], 0
.LBB53_207:                             ; =>This Inner Loop Header: Depth=1
	s_waitcnt vmcnt(0)
	v_max_f64 v[0:1], v[2:3], v[2:3]
	v_max_f64 v[0:1], v[0:1], v[4:5]
	global_atomic_cmpswap_x2 v[0:1], v6, v[0:3], s[10:11] glc
	s_waitcnt vmcnt(0)
	v_cmp_eq_u64_e32 vcc, v[0:1], v[2:3]
	v_mov_b32_e32 v3, v1
	s_or_b64 s[0:1], vcc, s[0:1]
	v_mov_b32_e32 v2, v0
	s_andn2_b64 exec, exec, s[0:1]
	s_cbranch_execnz .LBB53_207
.LBB53_208:
	s_endpgm
	.section	.rodata,"a",@progbits
	.p2align	6, 0x0
	.amdhsa_kernel _ZN9rocsparseL6kernelILi1024ELi16E21rocsparse_complex_numIdEiiEEvbbbT3_PS3_NS_15floating_traitsIT1_E6data_tES3_T2_PKS9_SB_PKS3_PKS6_21rocsparse_index_base_SB_SB_SD_PS6_SH_SG_SB_SB_SD_SH_SH_SG_SH_SH_PS8_SI_PKS8_
		.amdhsa_group_segment_fixed_size 768
		.amdhsa_private_segment_fixed_size 0
		.amdhsa_kernarg_size 208
		.amdhsa_user_sgpr_count 6
		.amdhsa_user_sgpr_private_segment_buffer 1
		.amdhsa_user_sgpr_dispatch_ptr 0
		.amdhsa_user_sgpr_queue_ptr 0
		.amdhsa_user_sgpr_kernarg_segment_ptr 1
		.amdhsa_user_sgpr_dispatch_id 0
		.amdhsa_user_sgpr_flat_scratch_init 0
		.amdhsa_user_sgpr_private_segment_size 0
		.amdhsa_uses_dynamic_stack 0
		.amdhsa_system_sgpr_private_segment_wavefront_offset 0
		.amdhsa_system_sgpr_workgroup_id_x 1
		.amdhsa_system_sgpr_workgroup_id_y 0
		.amdhsa_system_sgpr_workgroup_id_z 0
		.amdhsa_system_sgpr_workgroup_info 0
		.amdhsa_system_vgpr_workitem_id 0
		.amdhsa_next_free_vgpr 62
		.amdhsa_next_free_sgpr 96
		.amdhsa_reserve_vcc 1
		.amdhsa_reserve_flat_scratch 0
		.amdhsa_float_round_mode_32 0
		.amdhsa_float_round_mode_16_64 0
		.amdhsa_float_denorm_mode_32 3
		.amdhsa_float_denorm_mode_16_64 3
		.amdhsa_dx10_clamp 1
		.amdhsa_ieee_mode 1
		.amdhsa_fp16_overflow 0
		.amdhsa_exception_fp_ieee_invalid_op 0
		.amdhsa_exception_fp_denorm_src 0
		.amdhsa_exception_fp_ieee_div_zero 0
		.amdhsa_exception_fp_ieee_overflow 0
		.amdhsa_exception_fp_ieee_underflow 0
		.amdhsa_exception_fp_ieee_inexact 0
		.amdhsa_exception_int_div_zero 0
	.end_amdhsa_kernel
	.section	.text._ZN9rocsparseL6kernelILi1024ELi16E21rocsparse_complex_numIdEiiEEvbbbT3_PS3_NS_15floating_traitsIT1_E6data_tES3_T2_PKS9_SB_PKS3_PKS6_21rocsparse_index_base_SB_SB_SD_PS6_SH_SG_SB_SB_SD_SH_SH_SG_SH_SH_PS8_SI_PKS8_,"axG",@progbits,_ZN9rocsparseL6kernelILi1024ELi16E21rocsparse_complex_numIdEiiEEvbbbT3_PS3_NS_15floating_traitsIT1_E6data_tES3_T2_PKS9_SB_PKS3_PKS6_21rocsparse_index_base_SB_SB_SD_PS6_SH_SG_SB_SB_SD_SH_SH_SG_SH_SH_PS8_SI_PKS8_,comdat
.Lfunc_end53:
	.size	_ZN9rocsparseL6kernelILi1024ELi16E21rocsparse_complex_numIdEiiEEvbbbT3_PS3_NS_15floating_traitsIT1_E6data_tES3_T2_PKS9_SB_PKS3_PKS6_21rocsparse_index_base_SB_SB_SD_PS6_SH_SG_SB_SB_SD_SH_SH_SG_SH_SH_PS8_SI_PKS8_, .Lfunc_end53-_ZN9rocsparseL6kernelILi1024ELi16E21rocsparse_complex_numIdEiiEEvbbbT3_PS3_NS_15floating_traitsIT1_E6data_tES3_T2_PKS9_SB_PKS3_PKS6_21rocsparse_index_base_SB_SB_SD_PS6_SH_SG_SB_SB_SD_SH_SH_SG_SH_SH_PS8_SI_PKS8_
                                        ; -- End function
	.set _ZN9rocsparseL6kernelILi1024ELi16E21rocsparse_complex_numIdEiiEEvbbbT3_PS3_NS_15floating_traitsIT1_E6data_tES3_T2_PKS9_SB_PKS3_PKS6_21rocsparse_index_base_SB_SB_SD_PS6_SH_SG_SB_SB_SD_SH_SH_SG_SH_SH_PS8_SI_PKS8_.num_vgpr, 62
	.set _ZN9rocsparseL6kernelILi1024ELi16E21rocsparse_complex_numIdEiiEEvbbbT3_PS3_NS_15floating_traitsIT1_E6data_tES3_T2_PKS9_SB_PKS3_PKS6_21rocsparse_index_base_SB_SB_SD_PS6_SH_SG_SB_SB_SD_SH_SH_SG_SH_SH_PS8_SI_PKS8_.num_agpr, 0
	.set _ZN9rocsparseL6kernelILi1024ELi16E21rocsparse_complex_numIdEiiEEvbbbT3_PS3_NS_15floating_traitsIT1_E6data_tES3_T2_PKS9_SB_PKS3_PKS6_21rocsparse_index_base_SB_SB_SD_PS6_SH_SG_SB_SB_SD_SH_SH_SG_SH_SH_PS8_SI_PKS8_.numbered_sgpr, 96
	.set _ZN9rocsparseL6kernelILi1024ELi16E21rocsparse_complex_numIdEiiEEvbbbT3_PS3_NS_15floating_traitsIT1_E6data_tES3_T2_PKS9_SB_PKS3_PKS6_21rocsparse_index_base_SB_SB_SD_PS6_SH_SG_SB_SB_SD_SH_SH_SG_SH_SH_PS8_SI_PKS8_.num_named_barrier, 0
	.set _ZN9rocsparseL6kernelILi1024ELi16E21rocsparse_complex_numIdEiiEEvbbbT3_PS3_NS_15floating_traitsIT1_E6data_tES3_T2_PKS9_SB_PKS3_PKS6_21rocsparse_index_base_SB_SB_SD_PS6_SH_SG_SB_SB_SD_SH_SH_SG_SH_SH_PS8_SI_PKS8_.private_seg_size, 0
	.set _ZN9rocsparseL6kernelILi1024ELi16E21rocsparse_complex_numIdEiiEEvbbbT3_PS3_NS_15floating_traitsIT1_E6data_tES3_T2_PKS9_SB_PKS3_PKS6_21rocsparse_index_base_SB_SB_SD_PS6_SH_SG_SB_SB_SD_SH_SH_SG_SH_SH_PS8_SI_PKS8_.uses_vcc, 1
	.set _ZN9rocsparseL6kernelILi1024ELi16E21rocsparse_complex_numIdEiiEEvbbbT3_PS3_NS_15floating_traitsIT1_E6data_tES3_T2_PKS9_SB_PKS3_PKS6_21rocsparse_index_base_SB_SB_SD_PS6_SH_SG_SB_SB_SD_SH_SH_SG_SH_SH_PS8_SI_PKS8_.uses_flat_scratch, 0
	.set _ZN9rocsparseL6kernelILi1024ELi16E21rocsparse_complex_numIdEiiEEvbbbT3_PS3_NS_15floating_traitsIT1_E6data_tES3_T2_PKS9_SB_PKS3_PKS6_21rocsparse_index_base_SB_SB_SD_PS6_SH_SG_SB_SB_SD_SH_SH_SG_SH_SH_PS8_SI_PKS8_.has_dyn_sized_stack, 0
	.set _ZN9rocsparseL6kernelILi1024ELi16E21rocsparse_complex_numIdEiiEEvbbbT3_PS3_NS_15floating_traitsIT1_E6data_tES3_T2_PKS9_SB_PKS3_PKS6_21rocsparse_index_base_SB_SB_SD_PS6_SH_SG_SB_SB_SD_SH_SH_SG_SH_SH_PS8_SI_PKS8_.has_recursion, 0
	.set _ZN9rocsparseL6kernelILi1024ELi16E21rocsparse_complex_numIdEiiEEvbbbT3_PS3_NS_15floating_traitsIT1_E6data_tES3_T2_PKS9_SB_PKS3_PKS6_21rocsparse_index_base_SB_SB_SD_PS6_SH_SG_SB_SB_SD_SH_SH_SG_SH_SH_PS8_SI_PKS8_.has_indirect_call, 0
	.section	.AMDGPU.csdata,"",@progbits
; Kernel info:
; codeLenInByte = 9336
; TotalNumSgprs: 100
; NumVgprs: 62
; ScratchSize: 0
; MemoryBound: 1
; FloatMode: 240
; IeeeMode: 1
; LDSByteSize: 768 bytes/workgroup (compile time only)
; SGPRBlocks: 12
; VGPRBlocks: 15
; NumSGPRsForWavesPerEU: 100
; NumVGPRsForWavesPerEU: 62
; Occupancy: 4
; WaveLimiterHint : 1
; COMPUTE_PGM_RSRC2:SCRATCH_EN: 0
; COMPUTE_PGM_RSRC2:USER_SGPR: 6
; COMPUTE_PGM_RSRC2:TRAP_HANDLER: 0
; COMPUTE_PGM_RSRC2:TGID_X_EN: 1
; COMPUTE_PGM_RSRC2:TGID_Y_EN: 0
; COMPUTE_PGM_RSRC2:TGID_Z_EN: 0
; COMPUTE_PGM_RSRC2:TIDIG_COMP_CNT: 0
	.section	.text._ZN9rocsparseL6kernelILi1024ELi32E21rocsparse_complex_numIdEiiEEvbbbT3_PS3_NS_15floating_traitsIT1_E6data_tES3_T2_PKS9_SB_PKS3_PKS6_21rocsparse_index_base_SB_SB_SD_PS6_SH_SG_SB_SB_SD_SH_SH_SG_SH_SH_PS8_SI_PKS8_,"axG",@progbits,_ZN9rocsparseL6kernelILi1024ELi32E21rocsparse_complex_numIdEiiEEvbbbT3_PS3_NS_15floating_traitsIT1_E6data_tES3_T2_PKS9_SB_PKS3_PKS6_21rocsparse_index_base_SB_SB_SD_PS6_SH_SG_SB_SB_SD_SH_SH_SG_SH_SH_PS8_SI_PKS8_,comdat
	.globl	_ZN9rocsparseL6kernelILi1024ELi32E21rocsparse_complex_numIdEiiEEvbbbT3_PS3_NS_15floating_traitsIT1_E6data_tES3_T2_PKS9_SB_PKS3_PKS6_21rocsparse_index_base_SB_SB_SD_PS6_SH_SG_SB_SB_SD_SH_SH_SG_SH_SH_PS8_SI_PKS8_ ; -- Begin function _ZN9rocsparseL6kernelILi1024ELi32E21rocsparse_complex_numIdEiiEEvbbbT3_PS3_NS_15floating_traitsIT1_E6data_tES3_T2_PKS9_SB_PKS3_PKS6_21rocsparse_index_base_SB_SB_SD_PS6_SH_SG_SB_SB_SD_SH_SH_SG_SH_SH_PS8_SI_PKS8_
	.p2align	8
	.type	_ZN9rocsparseL6kernelILi1024ELi32E21rocsparse_complex_numIdEiiEEvbbbT3_PS3_NS_15floating_traitsIT1_E6data_tES3_T2_PKS9_SB_PKS3_PKS6_21rocsparse_index_base_SB_SB_SD_PS6_SH_SG_SB_SB_SD_SH_SH_SG_SH_SH_PS8_SI_PKS8_,@function
_ZN9rocsparseL6kernelILi1024ELi32E21rocsparse_complex_numIdEiiEEvbbbT3_PS3_NS_15floating_traitsIT1_E6data_tES3_T2_PKS9_SB_PKS3_PKS6_21rocsparse_index_base_SB_SB_SD_PS6_SH_SG_SB_SB_SD_SH_SH_SG_SH_SH_PS8_SI_PKS8_: ; @_ZN9rocsparseL6kernelILi1024ELi32E21rocsparse_complex_numIdEiiEEvbbbT3_PS3_NS_15floating_traitsIT1_E6data_tES3_T2_PKS9_SB_PKS3_PKS6_21rocsparse_index_base_SB_SB_SD_PS6_SH_SG_SB_SB_SD_SH_SH_SG_SH_SH_PS8_SI_PKS8_
; %bb.0:
	s_load_dword s0, s[4:5], 0x0
	s_load_dwordx2 s[66:67], s[4:5], 0x0
	s_load_dwordx4 s[8:11], s[4:5], 0xb8
	s_load_dwordx4 s[12:15], s[4:5], 0x8
	s_load_dword s33, s[4:5], 0x18
	s_waitcnt lgkmcnt(0)
	s_bitcmp1_b32 s0, 0
	s_cselect_b64 s[64:65], -1, 0
	s_bitcmp1_b32 s0, 8
                                        ; implicit-def: $vgpr61 : SGPR spill to VGPR lane
	s_cselect_b64 s[34:35], -1, 0
	s_bitcmp1_b32 s66, 16
	v_writelane_b32 v61, s12, 0
	s_cselect_b64 s[22:23], -1, 0
	v_lshrrev_b32_e32 v37, 5, v0
	s_lshl_b32 s55, s6, 10
	v_writelane_b32 v61, s13, 1
	v_or_b32_e32 v39, s55, v37
	v_mov_b32_e32 v1, 0
	s_cmp_gt_i32 s67, 0
	v_mov_b32_e32 v15, 0
	v_mov_b32_e32 v13, 0
	v_writelane_b32 v61, s14, 2
	v_and_b32_e32 v38, 31, v0
	v_lshlrev_b32_e32 v40, 3, v0
	s_mov_b32 s66, 0
	v_mov_b32_e32 v2, v1
	v_cmp_gt_i32_e32 vcc, s33, v39
	s_cselect_b64 s[0:1], -1, 0
	v_mov_b32_e32 v16, 0
	v_mov_b32_e32 v14, 0
	v_writelane_b32 v61, s15, 3
	ds_write_b64 v40, v[1:2]
	s_waitcnt lgkmcnt(0)
	s_barrier
	s_and_b64 s[0:1], s[0:1], vcc
	s_mov_b64 s[2:3], exec
	v_writelane_b32 v61, s2, 4
	s_and_b64 s[0:1], s[2:3], s[0:1]
	v_writelane_b32 v61, s3, 5
	s_mov_b64 exec, s[0:1]
	s_cbranch_execz .LBB54_172
; %bb.1:
	s_load_dwordx2 s[0:1], s[4:5], 0xc8
	v_writelane_b32 v61, s8, 6
	v_writelane_b32 v61, s9, 7
	;; [unrolled: 1-line block ×4, first 2 shown]
	s_load_dwordx4 s[60:63], s[4:5], 0xa8
	s_load_dwordx8 s[24:31], s[4:5], 0x78
	s_load_dwordx8 s[36:43], s[4:5], 0x48
	s_load_dword s52, s[4:5], 0x40
	s_load_dwordx2 s[74:75], s[4:5], 0x68
	s_load_dword s53, s[4:5], 0x70
	s_load_dwordx2 s[76:77], s[4:5], 0x98
	s_load_dword s54, s[4:5], 0xa0
	s_waitcnt lgkmcnt(0)
	v_writelane_b32 v61, s0, 10
	s_load_dwordx8 s[44:51], s[4:5], 0x20
	v_writelane_b32 v61, s1, 11
	s_xor_b64 s[0:1], s[34:35], -1
	v_writelane_b32 v61, s0, 12
	s_and_b64 s[16:17], s[34:35], s[22:23]
	v_writelane_b32 v61, s1, 13
	s_addk_i32 s55, 0x400
	s_xor_b64 s[16:17], s[16:17], -1
	v_mov_b32_e32 v13, 0
	s_mov_b32 s82, 0
	v_mov_b32_e32 v15, 0
	v_subrev_u32_e32 v41, s52, v38
	v_cmp_gt_u32_e64 s[0:1], s55, v39
	v_cmp_eq_u32_e64 s[2:3], 31, v38
	v_lshlrev_b32_e32 v42, 3, v37
	v_cmp_gt_u32_e64 s[20:21], 16, v0
	v_cmp_gt_u32_e64 s[6:7], 8, v0
	;; [unrolled: 1-line block ×4, first 2 shown]
	v_cmp_eq_u32_e64 s[12:13], 0, v0
	v_subrev_u32_e32 v43, s53, v38
	v_subrev_u32_e32 v44, s54, v38
	v_cmp_eq_u32_e64 s[14:15], 0, v38
	v_writelane_b32 v61, s16, 14
	v_mov_b32_e32 v14, 0
	s_mov_b64 s[80:81], 0
	v_mov_b32_e32 v18, 0
	s_brev_b32 s83, 8
	v_mov_b32_e32 v45, 0x260
	v_mov_b32_e32 v46, 0x100
	;; [unrolled: 1-line block ×4, first 2 shown]
	s_movk_i32 s70, 0x1f8
	v_writelane_b32 v61, s17, 15
	s_branch .LBB54_3
.LBB54_2:                               ;   in Loop: Header=BB54_3 Depth=1
	s_or_b64 exec, exec, s[4:5]
	s_and_b64 s[4:5], exec, s[16:17]
	s_or_b64 s[80:81], s[4:5], s[80:81]
	s_andn2_b64 exec, exec, s[80:81]
	s_cbranch_execz .LBB54_171
.LBB54_3:                               ; =>This Loop Header: Depth=1
                                        ;     Child Loop BB54_7 Depth 2
                                        ;       Child Loop BB54_12 Depth 3
                                        ;         Child Loop BB54_16 Depth 4
                                        ;         Child Loop BB54_51 Depth 4
	;; [unrolled: 1-line block ×5, first 2 shown]
                                        ;     Child Loop BB54_150 Depth 2
                                        ;       Child Loop BB54_153 Depth 3
                                        ;       Child Loop BB54_156 Depth 3
	s_mov_b32 s71, 0
	v_cndmask_b32_e64 v16, v16, 0, s[34:35]
	v_cndmask_b32_e64 v15, v15, 0, s[34:35]
	;; [unrolled: 1-line block ×4, first 2 shown]
	s_branch .LBB54_7
.LBB54_4:                               ;   in Loop: Header=BB54_7 Depth=2
	s_or_b64 exec, exec, s[86:87]
.LBB54_5:                               ;   in Loop: Header=BB54_7 Depth=2
	s_or_b64 exec, exec, s[84:85]
.LBB54_6:                               ;   in Loop: Header=BB54_7 Depth=2
	s_or_b64 exec, exec, s[4:5]
	s_add_i32 s71, s71, 1
	s_cmp_eq_u32 s71, 32
	s_cbranch_scc1 .LBB54_119
.LBB54_7:                               ;   Parent Loop BB54_3 Depth=1
                                        ; =>  This Loop Header: Depth=2
                                        ;       Child Loop BB54_12 Depth 3
                                        ;         Child Loop BB54_16 Depth 4
                                        ;         Child Loop BB54_51 Depth 4
	;; [unrolled: 1-line block ×5, first 2 shown]
	v_lshl_add_u32 v19, s71, 5, v39
	v_cmp_gt_i32_e32 vcc, s33, v19
	s_and_saveexec_b64 s[4:5], vcc
	s_cbranch_execz .LBB54_6
; %bb.8:                                ;   in Loop: Header=BB54_7 Depth=2
	v_ashrrev_i32_e32 v20, 31, v19
	v_lshlrev_b64 v[1:2], 2, v[19:20]
	s_waitcnt lgkmcnt(0)
	v_mov_b32_e32 v4, s45
	v_add_co_u32_e32 v3, vcc, s44, v1
	v_addc_co_u32_e32 v4, vcc, v4, v2, vcc
	global_load_dword v5, v[3:4], off
	v_mov_b32_e32 v4, s47
	v_add_co_u32_e32 v3, vcc, s46, v1
	v_addc_co_u32_e32 v4, vcc, v4, v2, vcc
	global_load_dword v3, v[3:4], off
	s_waitcnt vmcnt(1)
	v_add_u32_e32 v20, v41, v5
	s_waitcnt vmcnt(0)
	v_subrev_u32_e32 v48, s52, v3
	v_cmp_lt_i32_e32 vcc, v20, v48
	s_and_saveexec_b64 s[84:85], vcc
	s_cbranch_execz .LBB54_5
; %bb.9:                                ;   in Loop: Header=BB54_7 Depth=2
	v_mov_b32_e32 v4, s39
	v_add_co_u32_e32 v3, vcc, s38, v1
	v_addc_co_u32_e32 v4, vcc, v4, v2, vcc
	v_mov_b32_e32 v5, s37
	v_add_co_u32_e32 v1, vcc, s36, v1
	v_addc_co_u32_e32 v2, vcc, v5, v2, vcc
	global_load_dword v1, v[1:2], off
	s_nop 0
	global_load_dword v2, v[3:4], off
	v_mov_b32_e32 v5, s41
	v_mov_b32_e32 v6, s43
	s_mov_b64 s[86:87], 0
	s_waitcnt vmcnt(1)
	v_subrev_u32_e32 v22, s53, v1
	v_ashrrev_i32_e32 v23, 31, v22
	s_waitcnt vmcnt(0)
	v_sub_u32_e32 v49, v2, v1
	v_lshlrev_b64 v[1:2], 2, v[22:23]
	v_lshlrev_b64 v[3:4], 4, v[22:23]
	v_add_co_u32_e32 v50, vcc, s40, v1
	v_addc_co_u32_e32 v51, vcc, v5, v2, vcc
	v_add_co_u32_e32 v52, vcc, s42, v3
	v_cmp_lt_i32_e64 s[16:17], 0, v49
	v_addc_co_u32_e32 v53, vcc, v6, v4, vcc
	s_branch .LBB54_12
.LBB54_10:                              ;   in Loop: Header=BB54_12 Depth=3
	s_or_b64 exec, exec, s[56:57]
.LBB54_11:                              ;   in Loop: Header=BB54_12 Depth=3
	s_or_b64 exec, exec, s[18:19]
	v_add_u32_e32 v20, 32, v20
	v_cmp_ge_i32_e32 vcc, v20, v48
	s_or_b64 s[86:87], vcc, s[86:87]
	s_andn2_b64 exec, exec, s[86:87]
	s_cbranch_execz .LBB54_4
.LBB54_12:                              ;   Parent Loop BB54_3 Depth=1
                                        ;     Parent Loop BB54_7 Depth=2
                                        ; =>    This Loop Header: Depth=3
                                        ;         Child Loop BB54_16 Depth 4
                                        ;         Child Loop BB54_51 Depth 4
	;; [unrolled: 1-line block ×5, first 2 shown]
	v_ashrrev_i32_e32 v21, 31, v20
	v_lshlrev_b64 v[1:2], 2, v[20:21]
	v_mov_b32_e32 v3, s49
	v_add_co_u32_e32 v1, vcc, s48, v1
	v_addc_co_u32_e32 v2, vcc, v3, v2, vcc
	global_load_dword v1, v[1:2], off
	v_mov_b32_e32 v4, s25
	v_mov_b32_e32 v5, s27
	;; [unrolled: 1-line block ×8, first 2 shown]
	s_waitcnt vmcnt(0)
	v_subrev_u32_e32 v23, s52, v1
	v_ashrrev_i32_e32 v24, 31, v23
	v_lshlrev_b64 v[1:2], 2, v[23:24]
	v_add_co_u32_e32 v3, vcc, s24, v1
	v_addc_co_u32_e32 v4, vcc, v4, v2, vcc
	v_add_co_u32_e32 v1, vcc, s26, v1
	v_addc_co_u32_e32 v2, vcc, v5, v2, vcc
	global_load_dword v3, v[3:4], off
	s_nop 0
	global_load_dword v1, v[1:2], off
	s_waitcnt vmcnt(1)
	v_subrev_u32_e32 v29, s54, v3
	s_waitcnt vmcnt(0)
	v_sub_u32_e32 v54, v1, v3
	s_and_saveexec_b64 s[18:19], s[16:17]
	s_cbranch_execz .LBB54_20
; %bb.13:                               ;   in Loop: Header=BB54_12 Depth=3
	v_ashrrev_i32_e32 v30, 31, v29
	v_lshlrev_b64 v[1:2], 2, v[29:30]
	v_mov_b32_e32 v3, s29
	v_add_co_u32_e32 v1, vcc, s28, v1
	v_addc_co_u32_e32 v2, vcc, v3, v2, vcc
	v_lshlrev_b64 v[3:4], 4, v[29:30]
	v_mov_b32_e32 v5, s31
	v_add_co_u32_e32 v3, vcc, s30, v3
	v_mov_b32_e32 v25, 0
	v_mov_b32_e32 v30, 0
	;; [unrolled: 1-line block ×3, first 2 shown]
	v_addc_co_u32_e32 v4, vcc, v5, v4, vcc
	v_mov_b32_e32 v26, 0
	s_mov_b64 s[68:69], 0
	v_mov_b32_e32 v28, 0
	v_mov_b32_e32 v17, v30
                                        ; implicit-def: $sgpr88_sgpr89
	s_branch .LBB54_16
.LBB54_14:                              ;   in Loop: Header=BB54_16 Depth=4
	s_or_b64 exec, exec, s[56:57]
	v_cmp_le_i32_e32 vcc, v5, v6
	v_addc_co_u32_e32 v17, vcc, 0, v17, vcc
	v_cmp_ge_i32_e32 vcc, v5, v6
	v_addc_co_u32_e32 v30, vcc, 0, v30, vcc
	v_cmp_ge_i32_e32 vcc, v17, v49
	s_andn2_b64 s[56:57], s[88:89], exec
	s_and_b64 s[58:59], vcc, exec
	s_or_b64 s[88:89], s[56:57], s[58:59]
.LBB54_15:                              ;   in Loop: Header=BB54_16 Depth=4
	s_or_b64 exec, exec, s[90:91]
	s_and_b64 s[56:57], exec, s[88:89]
	s_or_b64 s[68:69], s[56:57], s[68:69]
	s_andn2_b64 exec, exec, s[68:69]
	s_cbranch_execz .LBB54_19
.LBB54_16:                              ;   Parent Loop BB54_3 Depth=1
                                        ;     Parent Loop BB54_7 Depth=2
                                        ;       Parent Loop BB54_12 Depth=3
                                        ; =>      This Inner Loop Header: Depth=4
	v_cmp_lt_i32_e32 vcc, v30, v54
	s_or_b64 s[88:89], s[88:89], exec
	s_and_saveexec_b64 s[90:91], vcc
	s_cbranch_execz .LBB54_15
; %bb.17:                               ;   in Loop: Header=BB54_16 Depth=4
	v_lshlrev_b64 v[5:6], 2, v[17:18]
	v_mov_b32_e32 v31, v18
	v_add_co_u32_e32 v5, vcc, v50, v5
	v_addc_co_u32_e32 v6, vcc, v51, v6, vcc
	global_load_dword v7, v[5:6], off
	v_lshlrev_b64 v[5:6], 2, v[30:31]
	v_add_co_u32_e32 v5, vcc, v1, v5
	v_addc_co_u32_e32 v6, vcc, v2, v6, vcc
	global_load_dword v6, v[5:6], off
	s_waitcnt vmcnt(1)
	v_subrev_u32_e32 v5, s53, v7
	s_waitcnt vmcnt(0)
	v_subrev_u32_e32 v6, s54, v6
	v_cmp_eq_u32_e32 vcc, v5, v6
	s_and_saveexec_b64 s[56:57], vcc
	s_cbranch_execz .LBB54_14
; %bb.18:                               ;   in Loop: Header=BB54_16 Depth=4
	v_lshlrev_b64 v[7:8], 4, v[17:18]
	v_lshlrev_b64 v[11:12], 4, v[30:31]
	v_add_co_u32_e32 v7, vcc, v52, v7
	v_addc_co_u32_e32 v8, vcc, v53, v8, vcc
	v_add_co_u32_e32 v11, vcc, v3, v11
	v_addc_co_u32_e32 v12, vcc, v4, v12, vcc
	global_load_dwordx4 v[7:10], v[7:8], off
	s_nop 0
	global_load_dwordx4 v[31:34], v[11:12], off
	s_waitcnt vmcnt(0)
	v_fma_f64 v[11:12], v[7:8], v[31:32], v[25:26]
	v_fma_f64 v[27:28], v[9:10], v[31:32], v[27:28]
	v_fma_f64 v[25:26], -v[9:10], v[33:34], v[11:12]
	v_fma_f64 v[27:28], v[7:8], v[33:34], v[27:28]
	s_branch .LBB54_14
.LBB54_19:                              ;   in Loop: Header=BB54_12 Depth=3
	s_or_b64 exec, exec, s[68:69]
.LBB54_20:                              ;   in Loop: Header=BB54_12 Depth=3
	s_or_b64 exec, exec, s[18:19]
	v_lshlrev_b64 v[1:2], 4, v[20:21]
	v_mov_b32_e32 v3, s51
	v_add_co_u32_e32 v1, vcc, s50, v1
	v_addc_co_u32_e32 v2, vcc, v3, v2, vcc
	global_load_dwordx4 v[1:4], v[1:2], off
	v_cmp_le_i32_e64 s[18:19], v19, v23
	v_cmp_gt_i32_e32 vcc, v19, v23
	s_waitcnt vmcnt(0)
	v_add_f64 v[5:6], v[1:2], -v[25:26]
	v_add_f64 v[7:8], v[3:4], -v[27:28]
	s_and_saveexec_b64 s[68:69], vcc
	s_cbranch_execz .LBB54_30
; %bb.21:                               ;   in Loop: Header=BB54_12 Depth=3
	v_lshlrev_b64 v[9:10], 4, v[23:24]
	v_mov_b32_e32 v11, s61
	v_add_co_u32_e32 v9, vcc, s60, v9
	v_addc_co_u32_e32 v10, vcc, v11, v10, vcc
	global_load_dwordx4 v[9:12], v[9:10], off
                                        ; implicit-def: $vgpr35_vgpr36
	s_waitcnt vmcnt(0)
	v_cmp_gt_f64_e32 vcc, 0, v[9:10]
	v_xor_b32_e32 v21, 0x80000000, v10
	v_xor_b32_e32 v33, 0x80000000, v12
	v_mov_b32_e32 v31, v9
	v_cndmask_b32_e32 v32, v10, v21, vcc
	v_cmp_gt_f64_e32 vcc, 0, v[11:12]
	v_cndmask_b32_e32 v34, v12, v33, vcc
	v_mov_b32_e32 v33, v11
	v_cmp_ngt_f64_e32 vcc, v[31:32], v[33:34]
	s_and_saveexec_b64 s[56:57], vcc
	s_xor_b64 s[56:57], exec, s[56:57]
	s_cbranch_execz .LBB54_25
; %bb.22:                               ;   in Loop: Header=BB54_12 Depth=3
	v_cmp_neq_f64_e32 vcc, 0, v[11:12]
	v_mov_b32_e32 v35, 0
	v_mov_b32_e32 v36, 0
	s_and_saveexec_b64 s[58:59], vcc
	s_cbranch_execz .LBB54_24
; %bb.23:                               ;   in Loop: Header=BB54_12 Depth=3
	v_div_scale_f64 v[35:36], s[72:73], v[33:34], v[33:34], v[31:32]
	v_rcp_f64_e32 v[55:56], v[35:36]
	v_fma_f64 v[57:58], -v[35:36], v[55:56], 1.0
	v_fma_f64 v[55:56], v[55:56], v[57:58], v[55:56]
	v_div_scale_f64 v[57:58], vcc, v[31:32], v[33:34], v[31:32]
	v_fma_f64 v[59:60], -v[35:36], v[55:56], 1.0
	v_fma_f64 v[55:56], v[55:56], v[59:60], v[55:56]
	v_mul_f64 v[59:60], v[57:58], v[55:56]
	v_fma_f64 v[35:36], -v[35:36], v[59:60], v[57:58]
	v_div_fmas_f64 v[35:36], v[35:36], v[55:56], v[59:60]
	v_div_fixup_f64 v[31:32], v[35:36], v[33:34], v[31:32]
	v_fma_f64 v[31:32], v[31:32], v[31:32], 1.0
	v_cmp_gt_f64_e32 vcc, s[82:83], v[31:32]
	v_cndmask_b32_e32 v21, 0, v46, vcc
	v_ldexp_f64 v[31:32], v[31:32], v21
	v_cndmask_b32_e32 v21, 0, v47, vcc
	v_rsq_f64_e32 v[35:36], v[31:32]
	v_cmp_class_f64_e32 vcc, v[31:32], v45
	v_mul_f64 v[55:56], v[31:32], v[35:36]
	v_mul_f64 v[35:36], v[35:36], 0.5
	v_fma_f64 v[57:58], -v[35:36], v[55:56], 0.5
	v_fma_f64 v[55:56], v[55:56], v[57:58], v[55:56]
	v_fma_f64 v[35:36], v[35:36], v[57:58], v[35:36]
	v_fma_f64 v[57:58], -v[55:56], v[55:56], v[31:32]
	v_fma_f64 v[55:56], v[57:58], v[35:36], v[55:56]
	v_fma_f64 v[57:58], -v[55:56], v[55:56], v[31:32]
	v_fma_f64 v[35:36], v[57:58], v[35:36], v[55:56]
	v_ldexp_f64 v[35:36], v[35:36], v21
	v_cndmask_b32_e32 v32, v36, v32, vcc
	v_cndmask_b32_e32 v31, v35, v31, vcc
	v_mul_f64 v[35:36], v[33:34], v[31:32]
.LBB54_24:                              ;   in Loop: Header=BB54_12 Depth=3
	s_or_b64 exec, exec, s[58:59]
                                        ; implicit-def: $vgpr31_vgpr32
                                        ; implicit-def: $vgpr33_vgpr34
.LBB54_25:                              ;   in Loop: Header=BB54_12 Depth=3
	s_andn2_saveexec_b64 s[56:57], s[56:57]
	s_cbranch_execz .LBB54_27
; %bb.26:                               ;   in Loop: Header=BB54_12 Depth=3
	v_div_scale_f64 v[35:36], s[58:59], v[31:32], v[31:32], v[33:34]
	v_rcp_f64_e32 v[55:56], v[35:36]
	v_fma_f64 v[57:58], -v[35:36], v[55:56], 1.0
	v_fma_f64 v[55:56], v[55:56], v[57:58], v[55:56]
	v_div_scale_f64 v[57:58], vcc, v[33:34], v[31:32], v[33:34]
	v_fma_f64 v[59:60], -v[35:36], v[55:56], 1.0
	v_fma_f64 v[55:56], v[55:56], v[59:60], v[55:56]
	v_mul_f64 v[59:60], v[57:58], v[55:56]
	v_fma_f64 v[35:36], -v[35:36], v[59:60], v[57:58]
	v_div_fmas_f64 v[35:36], v[35:36], v[55:56], v[59:60]
	v_div_fixup_f64 v[33:34], v[35:36], v[31:32], v[33:34]
	v_fma_f64 v[33:34], v[33:34], v[33:34], 1.0
	v_cmp_gt_f64_e32 vcc, s[82:83], v[33:34]
	v_cndmask_b32_e32 v21, 0, v46, vcc
	v_ldexp_f64 v[33:34], v[33:34], v21
	v_cndmask_b32_e32 v21, 0, v47, vcc
	v_rsq_f64_e32 v[35:36], v[33:34]
	v_cmp_class_f64_e32 vcc, v[33:34], v45
	v_mul_f64 v[55:56], v[33:34], v[35:36]
	v_mul_f64 v[35:36], v[35:36], 0.5
	v_fma_f64 v[57:58], -v[35:36], v[55:56], 0.5
	v_fma_f64 v[55:56], v[55:56], v[57:58], v[55:56]
	v_fma_f64 v[35:36], v[35:36], v[57:58], v[35:36]
	v_fma_f64 v[57:58], -v[55:56], v[55:56], v[33:34]
	v_fma_f64 v[55:56], v[57:58], v[35:36], v[55:56]
	v_fma_f64 v[57:58], -v[55:56], v[55:56], v[33:34]
	v_fma_f64 v[35:36], v[57:58], v[35:36], v[55:56]
	v_ldexp_f64 v[35:36], v[35:36], v21
	v_cndmask_b32_e32 v34, v36, v34, vcc
	v_cndmask_b32_e32 v33, v35, v33, vcc
	v_mul_f64 v[35:36], v[31:32], v[33:34]
.LBB54_27:                              ;   in Loop: Header=BB54_12 Depth=3
	s_or_b64 exec, exec, s[56:57]
	v_cmp_lt_f64_e32 vcc, 0, v[35:36]
	v_mov_b32_e32 v31, 0
	v_mov_b32_e32 v33, 0
	;; [unrolled: 1-line block ×4, first 2 shown]
	s_and_saveexec_b64 s[56:57], vcc
	s_cbranch_execz .LBB54_29
; %bb.28:                               ;   in Loop: Header=BB54_12 Depth=3
	v_mul_f64 v[31:32], v[11:12], v[11:12]
	v_fma_f64 v[31:32], v[9:10], v[9:10], v[31:32]
	v_div_scale_f64 v[33:34], s[58:59], v[31:32], v[31:32], 1.0
	v_rcp_f64_e32 v[35:36], v[33:34]
	v_fma_f64 v[55:56], -v[33:34], v[35:36], 1.0
	v_fma_f64 v[35:36], v[35:36], v[55:56], v[35:36]
	v_div_scale_f64 v[55:56], vcc, 1.0, v[31:32], 1.0
	v_fma_f64 v[57:58], -v[33:34], v[35:36], 1.0
	v_fma_f64 v[35:36], v[35:36], v[57:58], v[35:36]
	v_mul_f64 v[57:58], v[55:56], v[35:36]
	v_fma_f64 v[33:34], -v[33:34], v[57:58], v[55:56]
	v_div_fmas_f64 v[33:34], v[33:34], v[35:36], v[57:58]
	v_mul_f64 v[35:36], v[7:8], v[11:12]
	v_mul_f64 v[11:12], v[11:12], -v[5:6]
	v_fma_f64 v[5:6], v[5:6], v[9:10], v[35:36]
	v_fma_f64 v[7:8], v[7:8], v[9:10], v[11:12]
	v_div_fixup_f64 v[31:32], v[33:34], v[31:32], 1.0
	v_mul_f64 v[33:34], v[5:6], v[31:32]
	v_mul_f64 v[31:32], v[7:8], v[31:32]
.LBB54_29:                              ;   in Loop: Header=BB54_12 Depth=3
	s_or_b64 exec, exec, s[56:57]
	v_mov_b32_e32 v7, v31
	v_mov_b32_e32 v5, v33
	;; [unrolled: 1-line block ×4, first 2 shown]
.LBB54_30:                              ;   in Loop: Header=BB54_12 Depth=3
	s_or_b64 exec, exec, s[68:69]
	v_cmp_gt_f64_e32 vcc, 0, v[5:6]
	v_xor_b32_e32 v9, 0x80000000, v6
	v_xor_b32_e32 v11, 0x80000000, v8
                                        ; implicit-def: $vgpr31_vgpr32
	v_cndmask_b32_e32 v10, v6, v9, vcc
	v_cmp_gt_f64_e32 vcc, 0, v[7:8]
	v_mov_b32_e32 v9, v5
	v_cndmask_b32_e32 v12, v8, v11, vcc
	v_mov_b32_e32 v11, v7
	v_cmp_ngt_f64_e32 vcc, v[9:10], v[11:12]
	s_and_saveexec_b64 s[56:57], vcc
	s_xor_b64 s[56:57], exec, s[56:57]
	s_cbranch_execnz .LBB54_34
; %bb.31:                               ;   in Loop: Header=BB54_12 Depth=3
	s_andn2_saveexec_b64 s[56:57], s[56:57]
	s_cbranch_execnz .LBB54_37
.LBB54_32:                              ;   in Loop: Header=BB54_12 Depth=3
	s_or_b64 exec, exec, s[56:57]
	v_cmp_class_f64_e64 s[88:89], v[31:32], s70
	s_and_saveexec_b64 s[90:91], s[88:89]
	s_cbranch_execnz .LBB54_38
.LBB54_33:                              ;   in Loop: Header=BB54_12 Depth=3
	s_or_b64 exec, exec, s[90:91]
	s_and_b64 s[56:57], s[22:23], s[88:89]
	s_and_saveexec_b64 s[18:19], s[56:57]
	s_cbranch_execz .LBB54_11
	s_branch .LBB54_79
.LBB54_34:                              ;   in Loop: Header=BB54_12 Depth=3
	v_cmp_neq_f64_e32 vcc, 0, v[7:8]
	v_mov_b32_e32 v31, 0
	v_mov_b32_e32 v32, 0
	s_and_saveexec_b64 s[58:59], vcc
	s_cbranch_execz .LBB54_36
; %bb.35:                               ;   in Loop: Header=BB54_12 Depth=3
	v_div_scale_f64 v[31:32], s[68:69], v[11:12], v[11:12], v[9:10]
	v_rcp_f64_e32 v[33:34], v[31:32]
	v_fma_f64 v[35:36], -v[31:32], v[33:34], 1.0
	v_fma_f64 v[33:34], v[33:34], v[35:36], v[33:34]
	v_div_scale_f64 v[35:36], vcc, v[9:10], v[11:12], v[9:10]
	v_fma_f64 v[55:56], -v[31:32], v[33:34], 1.0
	v_fma_f64 v[33:34], v[33:34], v[55:56], v[33:34]
	v_mul_f64 v[55:56], v[35:36], v[33:34]
	v_fma_f64 v[31:32], -v[31:32], v[55:56], v[35:36]
	v_div_fmas_f64 v[31:32], v[31:32], v[33:34], v[55:56]
	v_div_fixup_f64 v[9:10], v[31:32], v[11:12], v[9:10]
	v_fma_f64 v[9:10], v[9:10], v[9:10], 1.0
	v_cmp_gt_f64_e32 vcc, s[82:83], v[9:10]
	v_cndmask_b32_e32 v21, 0, v46, vcc
	v_ldexp_f64 v[9:10], v[9:10], v21
	v_cndmask_b32_e32 v21, 0, v47, vcc
	v_rsq_f64_e32 v[31:32], v[9:10]
	v_cmp_class_f64_e32 vcc, v[9:10], v45
	v_mul_f64 v[33:34], v[9:10], v[31:32]
	v_mul_f64 v[31:32], v[31:32], 0.5
	v_fma_f64 v[35:36], -v[31:32], v[33:34], 0.5
	v_fma_f64 v[33:34], v[33:34], v[35:36], v[33:34]
	v_fma_f64 v[31:32], v[31:32], v[35:36], v[31:32]
	v_fma_f64 v[35:36], -v[33:34], v[33:34], v[9:10]
	v_fma_f64 v[33:34], v[35:36], v[31:32], v[33:34]
	v_fma_f64 v[35:36], -v[33:34], v[33:34], v[9:10]
	v_fma_f64 v[31:32], v[35:36], v[31:32], v[33:34]
	v_ldexp_f64 v[31:32], v[31:32], v21
	v_cndmask_b32_e32 v10, v32, v10, vcc
	v_cndmask_b32_e32 v9, v31, v9, vcc
	v_mul_f64 v[31:32], v[11:12], v[9:10]
.LBB54_36:                              ;   in Loop: Header=BB54_12 Depth=3
	s_or_b64 exec, exec, s[58:59]
                                        ; implicit-def: $vgpr9_vgpr10
                                        ; implicit-def: $vgpr11_vgpr12
	s_andn2_saveexec_b64 s[56:57], s[56:57]
	s_cbranch_execz .LBB54_32
.LBB54_37:                              ;   in Loop: Header=BB54_12 Depth=3
	v_div_scale_f64 v[31:32], s[58:59], v[9:10], v[9:10], v[11:12]
	v_rcp_f64_e32 v[33:34], v[31:32]
	v_fma_f64 v[35:36], -v[31:32], v[33:34], 1.0
	v_fma_f64 v[33:34], v[33:34], v[35:36], v[33:34]
	v_div_scale_f64 v[35:36], vcc, v[11:12], v[9:10], v[11:12]
	v_fma_f64 v[55:56], -v[31:32], v[33:34], 1.0
	v_fma_f64 v[33:34], v[33:34], v[55:56], v[33:34]
	v_mul_f64 v[55:56], v[35:36], v[33:34]
	v_fma_f64 v[31:32], -v[31:32], v[55:56], v[35:36]
	v_div_fmas_f64 v[31:32], v[31:32], v[33:34], v[55:56]
	v_div_fixup_f64 v[11:12], v[31:32], v[9:10], v[11:12]
	v_fma_f64 v[11:12], v[11:12], v[11:12], 1.0
	v_cmp_gt_f64_e32 vcc, s[82:83], v[11:12]
	v_cndmask_b32_e32 v21, 0, v46, vcc
	v_ldexp_f64 v[11:12], v[11:12], v21
	v_cndmask_b32_e32 v21, 0, v47, vcc
	v_rsq_f64_e32 v[31:32], v[11:12]
	v_cmp_class_f64_e32 vcc, v[11:12], v45
	v_mul_f64 v[33:34], v[11:12], v[31:32]
	v_mul_f64 v[31:32], v[31:32], 0.5
	v_fma_f64 v[35:36], -v[31:32], v[33:34], 0.5
	v_fma_f64 v[33:34], v[33:34], v[35:36], v[33:34]
	v_fma_f64 v[31:32], v[31:32], v[35:36], v[31:32]
	v_fma_f64 v[35:36], -v[33:34], v[33:34], v[11:12]
	v_fma_f64 v[33:34], v[35:36], v[31:32], v[33:34]
	v_fma_f64 v[35:36], -v[33:34], v[33:34], v[11:12]
	v_fma_f64 v[31:32], v[35:36], v[31:32], v[33:34]
	v_ldexp_f64 v[31:32], v[31:32], v21
	v_cndmask_b32_e32 v12, v32, v12, vcc
	v_cndmask_b32_e32 v11, v31, v11, vcc
	v_mul_f64 v[31:32], v[9:10], v[11:12]
	s_or_b64 exec, exec, s[56:57]
	v_cmp_class_f64_e64 s[88:89], v[31:32], s70
	s_and_saveexec_b64 s[90:91], s[88:89]
	s_cbranch_execz .LBB54_33
.LBB54_38:                              ;   in Loop: Header=BB54_12 Depth=3
	s_and_saveexec_b64 s[56:57], s[18:19]
	s_xor_b64 s[18:19], exec, s[56:57]
	s_cbranch_execz .LBB54_63
; %bb.39:                               ;   in Loop: Header=BB54_12 Depth=3
	v_cmp_ge_i32_e32 vcc, v19, v23
	s_and_saveexec_b64 s[56:57], vcc
	s_xor_b64 s[92:93], exec, s[56:57]
	s_cbranch_execz .LBB54_47
; %bb.40:                               ;   in Loop: Header=BB54_12 Depth=3
	v_lshlrev_b64 v[9:10], 4, v[23:24]
	v_mov_b32_e32 v12, s63
	v_add_co_u32_e32 v11, vcc, s62, v9
	v_addc_co_u32_e32 v12, vcc, v12, v10, vcc
	s_andn2_b64 vcc, exec, s[34:35]
	global_store_dwordx4 v[11:12], v[5:8], off
	s_cbranch_vccnz .LBB54_46
; %bb.41:                               ;   in Loop: Header=BB54_12 Depth=3
	v_mov_b32_e32 v11, s61
	v_add_co_u32_e32 v9, vcc, s60, v9
	v_addc_co_u32_e32 v10, vcc, v11, v10, vcc
	global_load_dwordx4 v[9:12], v[9:10], off
	s_waitcnt vmcnt(0)
	v_add_f64 v[5:6], v[9:10], -v[5:6]
	v_add_f64 v[11:12], v[11:12], -v[7:8]
                                        ; implicit-def: $vgpr9_vgpr10
	v_cmp_gt_f64_e32 vcc, 0, v[5:6]
	v_xor_b32_e32 v7, 0x80000000, v6
	v_xor_b32_e32 v8, 0x80000000, v12
	v_cndmask_b32_e32 v6, v6, v7, vcc
	v_cmp_gt_f64_e32 vcc, 0, v[11:12]
	v_mov_b32_e32 v7, v11
	v_cndmask_b32_e32 v8, v12, v8, vcc
	v_cmp_ngt_f64_e32 vcc, v[5:6], v[7:8]
	s_and_saveexec_b64 s[56:57], vcc
	s_xor_b64 s[56:57], exec, s[56:57]
	s_cbranch_execnz .LBB54_107
; %bb.42:                               ;   in Loop: Header=BB54_12 Depth=3
	s_andn2_saveexec_b64 s[56:57], s[56:57]
	s_cbranch_execnz .LBB54_110
.LBB54_43:                              ;   in Loop: Header=BB54_12 Depth=3
	s_or_b64 exec, exec, s[56:57]
	v_cmp_class_f64_e64 s[58:59], v[9:10], s70
	s_and_saveexec_b64 s[56:57], s[58:59]
	s_cbranch_execz .LBB54_45
.LBB54_44:                              ;   in Loop: Header=BB54_12 Depth=3
	v_cmp_lt_f64_e32 vcc, v[15:16], v[9:10]
	v_cndmask_b32_e32 v16, v16, v10, vcc
	v_cndmask_b32_e32 v15, v15, v9, vcc
.LBB54_45:                              ;   in Loop: Header=BB54_12 Depth=3
	s_or_b64 exec, exec, s[56:57]
.LBB54_46:                              ;   in Loop: Header=BB54_12 Depth=3
                                        ; implicit-def: $vgpr5_vgpr6
.LBB54_47:                              ;   in Loop: Header=BB54_12 Depth=3
	s_andn2_saveexec_b64 s[92:93], s[92:93]
	s_cbranch_execz .LBB54_62
; %bb.48:                               ;   in Loop: Header=BB54_12 Depth=3
	v_cmp_lt_i32_e32 vcc, v30, v54
	s_and_saveexec_b64 s[94:95], vcc
	s_cbranch_execz .LBB54_61
; %bb.49:                               ;   in Loop: Header=BB54_12 Depth=3
	s_mov_b64 s[68:69], 0
	v_mov_b32_e32 v11, v30
                                        ; implicit-def: $sgpr72_sgpr73
                                        ; implicit-def: $sgpr56_sgpr57
                                        ; implicit-def: $sgpr78_sgpr79
	s_branch .LBB54_51
.LBB54_50:                              ;   in Loop: Header=BB54_51 Depth=4
	s_or_b64 exec, exec, s[58:59]
	s_and_b64 s[58:59], exec, s[56:57]
	s_or_b64 s[68:69], s[58:59], s[68:69]
	s_andn2_b64 s[58:59], s[72:73], exec
	s_and_b64 s[72:73], s[78:79], exec
	s_or_b64 s[72:73], s[58:59], s[72:73]
	s_andn2_b64 exec, exec, s[68:69]
	s_cbranch_execz .LBB54_53
.LBB54_51:                              ;   Parent Loop BB54_3 Depth=1
                                        ;     Parent Loop BB54_7 Depth=2
                                        ;       Parent Loop BB54_12 Depth=3
                                        ; =>      This Inner Loop Header: Depth=4
	v_add_u32_e32 v9, v29, v11
	v_ashrrev_i32_e32 v10, 31, v9
	v_lshlrev_b64 v[31:32], 2, v[9:10]
	v_mov_b32_e32 v12, s29
	v_add_co_u32_e32 v31, vcc, s28, v31
	v_addc_co_u32_e32 v32, vcc, v12, v32, vcc
	global_load_dword v12, v[31:32], off
	s_or_b64 s[78:79], s[78:79], exec
	s_or_b64 s[56:57], s[56:57], exec
	s_waitcnt vmcnt(0)
	v_subrev_u32_e32 v12, s54, v12
	v_cmp_ne_u32_e32 vcc, v12, v19
	s_and_saveexec_b64 s[58:59], vcc
	s_cbranch_execz .LBB54_50
; %bb.52:                               ;   in Loop: Header=BB54_51 Depth=4
	v_add_u32_e32 v11, 1, v11
	v_cmp_ge_i32_e32 vcc, v11, v54
	s_andn2_b64 s[56:57], s[56:57], exec
	s_and_b64 vcc, vcc, exec
	s_andn2_b64 s[78:79], s[78:79], exec
	s_or_b64 s[56:57], s[56:57], vcc
	s_branch .LBB54_50
.LBB54_53:                              ;   in Loop: Header=BB54_12 Depth=3
	s_or_b64 exec, exec, s[68:69]
	s_and_saveexec_b64 s[56:57], s[72:73]
	s_xor_b64 s[68:69], exec, s[56:57]
	s_cbranch_execz .LBB54_60
; %bb.54:                               ;   in Loop: Header=BB54_12 Depth=3
	v_lshlrev_b64 v[9:10], 4, v[9:10]
	v_mov_b32_e32 v12, s77
	v_add_co_u32_e32 v11, vcc, s76, v9
	v_addc_co_u32_e32 v12, vcc, v12, v10, vcc
	s_andn2_b64 vcc, exec, s[34:35]
	global_store_dwordx4 v[11:12], v[5:8], off
	s_cbranch_vccnz .LBB54_60
; %bb.55:                               ;   in Loop: Header=BB54_12 Depth=3
	v_mov_b32_e32 v11, s31
	v_add_co_u32_e32 v9, vcc, s30, v9
	v_addc_co_u32_e32 v10, vcc, v11, v10, vcc
	global_load_dwordx4 v[9:12], v[9:10], off
	s_waitcnt vmcnt(0)
	v_add_f64 v[5:6], v[9:10], -v[5:6]
	v_add_f64 v[11:12], v[11:12], -v[7:8]
                                        ; implicit-def: $vgpr9_vgpr10
	v_cmp_gt_f64_e32 vcc, 0, v[5:6]
	v_xor_b32_e32 v7, 0x80000000, v6
	v_xor_b32_e32 v8, 0x80000000, v12
	v_cndmask_b32_e32 v6, v6, v7, vcc
	v_cmp_gt_f64_e32 vcc, 0, v[11:12]
	v_mov_b32_e32 v7, v11
	v_cndmask_b32_e32 v8, v12, v8, vcc
	v_cmp_ngt_f64_e32 vcc, v[5:6], v[7:8]
	s_and_saveexec_b64 s[56:57], vcc
	s_xor_b64 s[56:57], exec, s[56:57]
	s_cbranch_execnz .LBB54_115
; %bb.56:                               ;   in Loop: Header=BB54_12 Depth=3
	s_andn2_saveexec_b64 s[56:57], s[56:57]
	s_cbranch_execnz .LBB54_118
.LBB54_57:                              ;   in Loop: Header=BB54_12 Depth=3
	s_or_b64 exec, exec, s[56:57]
	v_cmp_class_f64_e64 s[58:59], v[9:10], s70
	s_and_saveexec_b64 s[56:57], s[58:59]
	s_cbranch_execz .LBB54_59
.LBB54_58:                              ;   in Loop: Header=BB54_12 Depth=3
	v_cmp_lt_f64_e32 vcc, v[15:16], v[9:10]
	v_cndmask_b32_e32 v16, v16, v10, vcc
	v_cndmask_b32_e32 v15, v15, v9, vcc
.LBB54_59:                              ;   in Loop: Header=BB54_12 Depth=3
	s_or_b64 exec, exec, s[56:57]
.LBB54_60:                              ;   in Loop: Header=BB54_12 Depth=3
	s_or_b64 exec, exec, s[68:69]
.LBB54_61:                              ;   in Loop: Header=BB54_12 Depth=3
	s_or_b64 exec, exec, s[94:95]
.LBB54_62:                              ;   in Loop: Header=BB54_12 Depth=3
	s_or_b64 exec, exec, s[92:93]
                                        ; implicit-def: $vgpr5_vgpr6
.LBB54_63:                              ;   in Loop: Header=BB54_12 Depth=3
	s_andn2_saveexec_b64 s[18:19], s[18:19]
	s_cbranch_execz .LBB54_78
; %bb.64:                               ;   in Loop: Header=BB54_12 Depth=3
	v_cmp_lt_i32_e32 vcc, v17, v49
	s_and_saveexec_b64 s[92:93], vcc
	s_cbranch_execz .LBB54_77
; %bb.65:                               ;   in Loop: Header=BB54_12 Depth=3
	s_mov_b64 s[68:69], 0
	v_mov_b32_e32 v11, v17
                                        ; implicit-def: $sgpr72_sgpr73
                                        ; implicit-def: $sgpr56_sgpr57
                                        ; implicit-def: $sgpr78_sgpr79
	s_branch .LBB54_67
.LBB54_66:                              ;   in Loop: Header=BB54_67 Depth=4
	s_or_b64 exec, exec, s[58:59]
	s_and_b64 s[58:59], exec, s[56:57]
	s_or_b64 s[68:69], s[58:59], s[68:69]
	s_andn2_b64 s[58:59], s[72:73], exec
	s_and_b64 s[72:73], s[78:79], exec
	s_or_b64 s[72:73], s[58:59], s[72:73]
	s_andn2_b64 exec, exec, s[68:69]
	s_cbranch_execz .LBB54_69
.LBB54_67:                              ;   Parent Loop BB54_3 Depth=1
                                        ;     Parent Loop BB54_7 Depth=2
                                        ;       Parent Loop BB54_12 Depth=3
                                        ; =>      This Inner Loop Header: Depth=4
	v_add_u32_e32 v9, v22, v11
	v_ashrrev_i32_e32 v10, 31, v9
	v_lshlrev_b64 v[31:32], 2, v[9:10]
	v_mov_b32_e32 v12, s41
	v_add_co_u32_e32 v31, vcc, s40, v31
	v_addc_co_u32_e32 v32, vcc, v12, v32, vcc
	global_load_dword v12, v[31:32], off
	s_or_b64 s[78:79], s[78:79], exec
	s_or_b64 s[56:57], s[56:57], exec
	s_waitcnt vmcnt(0)
	v_subrev_u32_e32 v12, s53, v12
	v_cmp_ne_u32_e32 vcc, v12, v23
	s_and_saveexec_b64 s[58:59], vcc
	s_cbranch_execz .LBB54_66
; %bb.68:                               ;   in Loop: Header=BB54_67 Depth=4
	v_add_u32_e32 v11, 1, v11
	v_cmp_ge_i32_e32 vcc, v11, v49
	s_andn2_b64 s[56:57], s[56:57], exec
	s_and_b64 s[94:95], vcc, exec
	s_andn2_b64 s[78:79], s[78:79], exec
	s_or_b64 s[56:57], s[56:57], s[94:95]
	s_branch .LBB54_66
.LBB54_69:                              ;   in Loop: Header=BB54_12 Depth=3
	s_or_b64 exec, exec, s[68:69]
	s_and_saveexec_b64 s[56:57], s[72:73]
	s_xor_b64 s[68:69], exec, s[56:57]
	s_cbranch_execz .LBB54_76
; %bb.70:                               ;   in Loop: Header=BB54_12 Depth=3
	v_lshlrev_b64 v[9:10], 4, v[9:10]
	v_mov_b32_e32 v12, s75
	v_add_co_u32_e32 v11, vcc, s74, v9
	v_addc_co_u32_e32 v12, vcc, v12, v10, vcc
	s_andn2_b64 vcc, exec, s[34:35]
	global_store_dwordx4 v[11:12], v[5:8], off
	s_cbranch_vccnz .LBB54_76
; %bb.71:                               ;   in Loop: Header=BB54_12 Depth=3
	v_mov_b32_e32 v11, s43
	v_add_co_u32_e32 v9, vcc, s42, v9
	v_addc_co_u32_e32 v10, vcc, v11, v10, vcc
	global_load_dwordx4 v[9:12], v[9:10], off
	s_waitcnt vmcnt(0)
	v_add_f64 v[5:6], v[9:10], -v[5:6]
	v_add_f64 v[11:12], v[11:12], -v[7:8]
                                        ; implicit-def: $vgpr9_vgpr10
	v_cmp_gt_f64_e32 vcc, 0, v[5:6]
	v_xor_b32_e32 v7, 0x80000000, v6
	v_xor_b32_e32 v8, 0x80000000, v12
	v_cndmask_b32_e32 v6, v6, v7, vcc
	v_cmp_gt_f64_e32 vcc, 0, v[11:12]
	v_mov_b32_e32 v7, v11
	v_cndmask_b32_e32 v8, v12, v8, vcc
	v_cmp_ngt_f64_e32 vcc, v[5:6], v[7:8]
	s_and_saveexec_b64 s[56:57], vcc
	s_xor_b64 s[56:57], exec, s[56:57]
	s_cbranch_execnz .LBB54_111
; %bb.72:                               ;   in Loop: Header=BB54_12 Depth=3
	s_andn2_saveexec_b64 s[56:57], s[56:57]
	s_cbranch_execnz .LBB54_114
.LBB54_73:                              ;   in Loop: Header=BB54_12 Depth=3
	s_or_b64 exec, exec, s[56:57]
	v_cmp_class_f64_e64 s[58:59], v[9:10], s70
	s_and_saveexec_b64 s[56:57], s[58:59]
	s_cbranch_execz .LBB54_75
.LBB54_74:                              ;   in Loop: Header=BB54_12 Depth=3
	v_cmp_lt_f64_e32 vcc, v[15:16], v[9:10]
	v_cndmask_b32_e32 v16, v16, v10, vcc
	v_cndmask_b32_e32 v15, v15, v9, vcc
.LBB54_75:                              ;   in Loop: Header=BB54_12 Depth=3
	s_or_b64 exec, exec, s[56:57]
.LBB54_76:                              ;   in Loop: Header=BB54_12 Depth=3
	s_or_b64 exec, exec, s[68:69]
.LBB54_77:                              ;   in Loop: Header=BB54_12 Depth=3
	s_or_b64 exec, exec, s[92:93]
.LBB54_78:                              ;   in Loop: Header=BB54_12 Depth=3
	s_or_b64 exec, exec, s[18:19]
	s_or_b64 exec, exec, s[90:91]
	s_and_b64 s[56:57], s[22:23], s[88:89]
	s_and_saveexec_b64 s[18:19], s[56:57]
	s_cbranch_execz .LBB54_11
.LBB54_79:                              ;   in Loop: Header=BB54_12 Depth=3
	v_cmp_ge_i32_e32 vcc, v30, v54
	s_and_saveexec_b64 s[56:57], vcc
	s_xor_b64 s[68:69], exec, s[56:57]
	s_cbranch_execnz .LBB54_86
; %bb.80:                               ;   in Loop: Header=BB54_12 Depth=3
	s_andn2_saveexec_b64 s[68:69], s[68:69]
	s_cbranch_execnz .LBB54_100
.LBB54_81:                              ;   in Loop: Header=BB54_12 Depth=3
	s_or_b64 exec, exec, s[68:69]
	v_cmp_eq_u32_e32 vcc, v19, v23
	s_and_saveexec_b64 s[56:57], vcc
	s_cbranch_execz .LBB54_83
.LBB54_82:                              ;   in Loop: Header=BB54_12 Depth=3
	v_lshlrev_b64 v[5:6], 4, v[23:24]
	v_mov_b32_e32 v7, s61
	v_add_co_u32_e32 v5, vcc, s60, v5
	v_addc_co_u32_e32 v6, vcc, v7, v6, vcc
	global_load_dwordx4 v[5:8], v[5:6], off
	s_waitcnt vmcnt(0)
	v_add_f64 v[25:26], v[25:26], v[5:6]
	v_add_f64 v[27:28], v[27:28], v[7:8]
.LBB54_83:                              ;   in Loop: Header=BB54_12 Depth=3
	s_or_b64 exec, exec, s[56:57]
	v_add_f64 v[1:2], v[1:2], -v[25:26]
	v_add_f64 v[7:8], v[3:4], -v[27:28]
                                        ; implicit-def: $vgpr5_vgpr6
	v_cmp_gt_f64_e32 vcc, 0, v[1:2]
	v_xor_b32_e32 v3, 0x80000000, v2
	v_xor_b32_e32 v4, 0x80000000, v8
	v_cndmask_b32_e32 v2, v2, v3, vcc
	v_cmp_gt_f64_e32 vcc, 0, v[7:8]
	v_mov_b32_e32 v3, v7
	v_cndmask_b32_e32 v4, v8, v4, vcc
	v_cmp_ngt_f64_e32 vcc, v[1:2], v[3:4]
	s_and_saveexec_b64 s[56:57], vcc
	s_xor_b64 s[56:57], exec, s[56:57]
	s_cbranch_execnz .LBB54_91
; %bb.84:                               ;   in Loop: Header=BB54_12 Depth=3
	s_andn2_saveexec_b64 s[56:57], s[56:57]
	s_cbranch_execnz .LBB54_94
.LBB54_85:                              ;   in Loop: Header=BB54_12 Depth=3
	s_or_b64 exec, exec, s[56:57]
	v_cmp_class_f64_e64 s[58:59], v[5:6], s70
	s_and_saveexec_b64 s[56:57], s[58:59]
	s_cbranch_execz .LBB54_10
	s_branch .LBB54_95
.LBB54_86:                              ;   in Loop: Header=BB54_12 Depth=3
	v_cmp_lt_i32_e32 vcc, v17, v49
	s_and_saveexec_b64 s[88:89], vcc
	s_cbranch_execz .LBB54_99
; %bb.87:                               ;   in Loop: Header=BB54_12 Depth=3
	s_mov_b64 s[92:93], 0
                                        ; implicit-def: $sgpr90_sgpr91
                                        ; implicit-def: $sgpr56_sgpr57
                                        ; implicit-def: $sgpr72_sgpr73
	s_branch .LBB54_89
.LBB54_88:                              ;   in Loop: Header=BB54_89 Depth=4
	s_or_b64 exec, exec, s[58:59]
	s_and_b64 s[58:59], exec, s[56:57]
	s_or_b64 s[92:93], s[58:59], s[92:93]
	s_andn2_b64 s[58:59], s[90:91], exec
	s_and_b64 s[78:79], s[72:73], exec
	s_or_b64 s[90:91], s[58:59], s[78:79]
	s_andn2_b64 exec, exec, s[92:93]
	s_cbranch_execz .LBB54_96
.LBB54_89:                              ;   Parent Loop BB54_3 Depth=1
                                        ;     Parent Loop BB54_7 Depth=2
                                        ;       Parent Loop BB54_12 Depth=3
                                        ; =>      This Inner Loop Header: Depth=4
	v_add_u32_e32 v5, v22, v17
	v_ashrrev_i32_e32 v6, 31, v5
	v_lshlrev_b64 v[7:8], 2, v[5:6]
	v_mov_b32_e32 v9, s41
	v_add_co_u32_e32 v7, vcc, s40, v7
	v_addc_co_u32_e32 v8, vcc, v9, v8, vcc
	global_load_dword v7, v[7:8], off
	s_or_b64 s[72:73], s[72:73], exec
	s_or_b64 s[56:57], s[56:57], exec
	s_waitcnt vmcnt(0)
	v_subrev_u32_e32 v7, s53, v7
	v_cmp_ne_u32_e32 vcc, v7, v23
	s_and_saveexec_b64 s[58:59], vcc
	s_cbranch_execz .LBB54_88
; %bb.90:                               ;   in Loop: Header=BB54_89 Depth=4
	v_add_u32_e32 v17, 1, v17
	v_cmp_ge_i32_e32 vcc, v17, v49
	s_andn2_b64 s[56:57], s[56:57], exec
	s_and_b64 s[78:79], vcc, exec
	s_andn2_b64 s[72:73], s[72:73], exec
	s_or_b64 s[56:57], s[56:57], s[78:79]
	s_branch .LBB54_88
.LBB54_91:                              ;   in Loop: Header=BB54_12 Depth=3
	v_cmp_neq_f64_e32 vcc, 0, v[7:8]
	v_mov_b32_e32 v5, 0
	v_mov_b32_e32 v6, 0
	s_and_saveexec_b64 s[58:59], vcc
	s_cbranch_execz .LBB54_93
; %bb.92:                               ;   in Loop: Header=BB54_12 Depth=3
	v_div_scale_f64 v[5:6], s[68:69], v[3:4], v[3:4], v[1:2]
	v_rcp_f64_e32 v[7:8], v[5:6]
	v_fma_f64 v[9:10], -v[5:6], v[7:8], 1.0
	v_fma_f64 v[7:8], v[7:8], v[9:10], v[7:8]
	v_div_scale_f64 v[9:10], vcc, v[1:2], v[3:4], v[1:2]
	v_fma_f64 v[11:12], -v[5:6], v[7:8], 1.0
	v_fma_f64 v[7:8], v[7:8], v[11:12], v[7:8]
	v_mul_f64 v[11:12], v[9:10], v[7:8]
	v_fma_f64 v[5:6], -v[5:6], v[11:12], v[9:10]
	v_div_fmas_f64 v[5:6], v[5:6], v[7:8], v[11:12]
	v_div_fixup_f64 v[1:2], v[5:6], v[3:4], v[1:2]
	v_fma_f64 v[1:2], v[1:2], v[1:2], 1.0
	v_cmp_gt_f64_e32 vcc, s[82:83], v[1:2]
	v_cndmask_b32_e32 v5, 0, v46, vcc
	v_ldexp_f64 v[1:2], v[1:2], v5
	v_rsq_f64_e32 v[5:6], v[1:2]
	v_mul_f64 v[7:8], v[1:2], v[5:6]
	v_mul_f64 v[5:6], v[5:6], 0.5
	v_fma_f64 v[9:10], -v[5:6], v[7:8], 0.5
	v_fma_f64 v[7:8], v[7:8], v[9:10], v[7:8]
	v_fma_f64 v[5:6], v[5:6], v[9:10], v[5:6]
	v_fma_f64 v[9:10], -v[7:8], v[7:8], v[1:2]
	v_fma_f64 v[7:8], v[9:10], v[5:6], v[7:8]
	v_fma_f64 v[9:10], -v[7:8], v[7:8], v[1:2]
	v_fma_f64 v[5:6], v[9:10], v[5:6], v[7:8]
	v_cndmask_b32_e32 v7, 0, v47, vcc
	v_cmp_class_f64_e32 vcc, v[1:2], v45
	v_ldexp_f64 v[5:6], v[5:6], v7
	v_cndmask_b32_e32 v2, v6, v2, vcc
	v_cndmask_b32_e32 v1, v5, v1, vcc
	v_mul_f64 v[5:6], v[3:4], v[1:2]
.LBB54_93:                              ;   in Loop: Header=BB54_12 Depth=3
	s_or_b64 exec, exec, s[58:59]
                                        ; implicit-def: $vgpr1_vgpr2
                                        ; implicit-def: $vgpr3_vgpr4
	s_andn2_saveexec_b64 s[56:57], s[56:57]
	s_cbranch_execz .LBB54_85
.LBB54_94:                              ;   in Loop: Header=BB54_12 Depth=3
	v_div_scale_f64 v[5:6], s[58:59], v[1:2], v[1:2], v[3:4]
	v_rcp_f64_e32 v[7:8], v[5:6]
	v_fma_f64 v[9:10], -v[5:6], v[7:8], 1.0
	v_fma_f64 v[7:8], v[7:8], v[9:10], v[7:8]
	v_div_scale_f64 v[9:10], vcc, v[3:4], v[1:2], v[3:4]
	v_fma_f64 v[11:12], -v[5:6], v[7:8], 1.0
	v_fma_f64 v[7:8], v[7:8], v[11:12], v[7:8]
	v_mul_f64 v[11:12], v[9:10], v[7:8]
	v_fma_f64 v[5:6], -v[5:6], v[11:12], v[9:10]
	v_div_fmas_f64 v[5:6], v[5:6], v[7:8], v[11:12]
	v_div_fixup_f64 v[3:4], v[5:6], v[1:2], v[3:4]
	v_fma_f64 v[3:4], v[3:4], v[3:4], 1.0
	v_cmp_gt_f64_e32 vcc, s[82:83], v[3:4]
	v_cndmask_b32_e32 v5, 0, v46, vcc
	v_ldexp_f64 v[3:4], v[3:4], v5
	v_rsq_f64_e32 v[5:6], v[3:4]
	v_mul_f64 v[7:8], v[3:4], v[5:6]
	v_mul_f64 v[5:6], v[5:6], 0.5
	v_fma_f64 v[9:10], -v[5:6], v[7:8], 0.5
	v_fma_f64 v[7:8], v[7:8], v[9:10], v[7:8]
	v_fma_f64 v[5:6], v[5:6], v[9:10], v[5:6]
	v_fma_f64 v[9:10], -v[7:8], v[7:8], v[3:4]
	v_fma_f64 v[7:8], v[9:10], v[5:6], v[7:8]
	v_fma_f64 v[9:10], -v[7:8], v[7:8], v[3:4]
	v_fma_f64 v[5:6], v[9:10], v[5:6], v[7:8]
	v_cndmask_b32_e32 v7, 0, v47, vcc
	v_cmp_class_f64_e32 vcc, v[3:4], v45
	v_ldexp_f64 v[5:6], v[5:6], v7
	v_cndmask_b32_e32 v4, v6, v4, vcc
	v_cndmask_b32_e32 v3, v5, v3, vcc
	v_mul_f64 v[5:6], v[1:2], v[3:4]
	s_or_b64 exec, exec, s[56:57]
	v_cmp_class_f64_e64 s[58:59], v[5:6], s70
	s_and_saveexec_b64 s[56:57], s[58:59]
	s_cbranch_execz .LBB54_10
.LBB54_95:                              ;   in Loop: Header=BB54_12 Depth=3
	v_cmp_lt_f64_e32 vcc, v[13:14], v[5:6]
	v_cndmask_b32_e32 v14, v14, v6, vcc
	v_cndmask_b32_e32 v13, v13, v5, vcc
	s_branch .LBB54_10
.LBB54_96:                              ;   in Loop: Header=BB54_12 Depth=3
	s_or_b64 exec, exec, s[92:93]
	s_and_saveexec_b64 s[56:57], s[90:91]
	s_xor_b64 s[56:57], exec, s[56:57]
	s_cbranch_execz .LBB54_98
; %bb.97:                               ;   in Loop: Header=BB54_12 Depth=3
	v_lshlrev_b64 v[5:6], 4, v[5:6]
	v_mov_b32_e32 v7, s43
	v_add_co_u32_e32 v9, vcc, s42, v5
	v_addc_co_u32_e32 v10, vcc, v7, v6, vcc
	v_lshlrev_b64 v[5:6], 4, v[23:24]
	v_mov_b32_e32 v7, s61
	v_add_co_u32_e32 v5, vcc, s60, v5
	v_addc_co_u32_e32 v6, vcc, v7, v6, vcc
	global_load_dwordx4 v[5:8], v[5:6], off
	s_nop 0
	global_load_dwordx4 v[9:12], v[9:10], off
	s_waitcnt vmcnt(0)
	v_mul_f64 v[29:30], v[7:8], -v[11:12]
	v_mul_f64 v[7:8], v[7:8], v[9:10]
	v_fma_f64 v[9:10], v[9:10], v[5:6], v[29:30]
	v_fma_f64 v[5:6], v[11:12], v[5:6], v[7:8]
	v_add_f64 v[25:26], v[25:26], v[9:10]
	v_add_f64 v[27:28], v[27:28], v[5:6]
.LBB54_98:                              ;   in Loop: Header=BB54_12 Depth=3
	s_or_b64 exec, exec, s[56:57]
.LBB54_99:                              ;   in Loop: Header=BB54_12 Depth=3
	s_or_b64 exec, exec, s[88:89]
                                        ; implicit-def: $vgpr30
                                        ; implicit-def: $vgpr29
                                        ; implicit-def: $vgpr54
	s_andn2_saveexec_b64 s[68:69], s[68:69]
	s_cbranch_execz .LBB54_81
.LBB54_100:                             ;   in Loop: Header=BB54_12 Depth=3
	s_mov_b64 s[90:91], 0
                                        ; implicit-def: $sgpr88_sgpr89
                                        ; implicit-def: $sgpr56_sgpr57
                                        ; implicit-def: $sgpr72_sgpr73
	s_branch .LBB54_102
.LBB54_101:                             ;   in Loop: Header=BB54_102 Depth=4
	s_or_b64 exec, exec, s[58:59]
	s_and_b64 s[58:59], exec, s[56:57]
	s_or_b64 s[90:91], s[58:59], s[90:91]
	s_andn2_b64 s[58:59], s[88:89], exec
	s_and_b64 s[78:79], s[72:73], exec
	s_or_b64 s[88:89], s[58:59], s[78:79]
	s_andn2_b64 exec, exec, s[90:91]
	s_cbranch_execz .LBB54_104
.LBB54_102:                             ;   Parent Loop BB54_3 Depth=1
                                        ;     Parent Loop BB54_7 Depth=2
                                        ;       Parent Loop BB54_12 Depth=3
                                        ; =>      This Inner Loop Header: Depth=4
	v_add_u32_e32 v5, v29, v30
	v_ashrrev_i32_e32 v6, 31, v5
	v_lshlrev_b64 v[7:8], 2, v[5:6]
	v_mov_b32_e32 v9, s29
	v_add_co_u32_e32 v7, vcc, s28, v7
	v_addc_co_u32_e32 v8, vcc, v9, v8, vcc
	global_load_dword v7, v[7:8], off
	s_or_b64 s[72:73], s[72:73], exec
	s_or_b64 s[56:57], s[56:57], exec
	s_waitcnt vmcnt(0)
	v_subrev_u32_e32 v7, s54, v7
	v_cmp_ne_u32_e32 vcc, v7, v19
	s_and_saveexec_b64 s[58:59], vcc
	s_cbranch_execz .LBB54_101
; %bb.103:                              ;   in Loop: Header=BB54_102 Depth=4
	v_add_u32_e32 v30, 1, v30
	v_cmp_ge_i32_e32 vcc, v30, v54
	s_andn2_b64 s[56:57], s[56:57], exec
	s_and_b64 s[78:79], vcc, exec
	s_andn2_b64 s[72:73], s[72:73], exec
	s_or_b64 s[56:57], s[56:57], s[78:79]
	s_branch .LBB54_101
.LBB54_104:                             ;   in Loop: Header=BB54_12 Depth=3
	s_or_b64 exec, exec, s[90:91]
	s_and_saveexec_b64 s[56:57], s[88:89]
	s_xor_b64 s[56:57], exec, s[56:57]
	s_cbranch_execz .LBB54_106
; %bb.105:                              ;   in Loop: Header=BB54_12 Depth=3
	v_lshlrev_b64 v[5:6], 4, v[5:6]
	v_mov_b32_e32 v7, s31
	v_add_co_u32_e32 v5, vcc, s30, v5
	v_addc_co_u32_e32 v6, vcc, v7, v6, vcc
	global_load_dwordx4 v[5:8], v[5:6], off
	s_waitcnt vmcnt(0)
	v_add_f64 v[25:26], v[25:26], v[5:6]
	v_add_f64 v[27:28], v[27:28], v[7:8]
.LBB54_106:                             ;   in Loop: Header=BB54_12 Depth=3
	s_or_b64 exec, exec, s[56:57]
	s_or_b64 exec, exec, s[68:69]
	v_cmp_eq_u32_e32 vcc, v19, v23
	s_and_saveexec_b64 s[56:57], vcc
	s_cbranch_execnz .LBB54_82
	s_branch .LBB54_83
.LBB54_107:                             ;   in Loop: Header=BB54_12 Depth=3
	v_cmp_neq_f64_e32 vcc, 0, v[11:12]
	v_mov_b32_e32 v9, 0
	v_mov_b32_e32 v10, 0
	s_and_saveexec_b64 s[58:59], vcc
	s_cbranch_execz .LBB54_109
; %bb.108:                              ;   in Loop: Header=BB54_12 Depth=3
	v_div_scale_f64 v[9:10], s[68:69], v[7:8], v[7:8], v[5:6]
	v_rcp_f64_e32 v[11:12], v[9:10]
	v_fma_f64 v[31:32], -v[9:10], v[11:12], 1.0
	v_fma_f64 v[11:12], v[11:12], v[31:32], v[11:12]
	v_div_scale_f64 v[31:32], vcc, v[5:6], v[7:8], v[5:6]
	v_fma_f64 v[33:34], -v[9:10], v[11:12], 1.0
	v_fma_f64 v[11:12], v[11:12], v[33:34], v[11:12]
	v_mul_f64 v[33:34], v[31:32], v[11:12]
	v_fma_f64 v[9:10], -v[9:10], v[33:34], v[31:32]
	v_div_fmas_f64 v[9:10], v[9:10], v[11:12], v[33:34]
	v_div_fixup_f64 v[5:6], v[9:10], v[7:8], v[5:6]
	v_fma_f64 v[5:6], v[5:6], v[5:6], 1.0
	v_cmp_gt_f64_e32 vcc, s[82:83], v[5:6]
	v_cndmask_b32_e32 v9, 0, v46, vcc
	v_ldexp_f64 v[5:6], v[5:6], v9
	v_rsq_f64_e32 v[9:10], v[5:6]
	v_mul_f64 v[11:12], v[5:6], v[9:10]
	v_mul_f64 v[9:10], v[9:10], 0.5
	v_fma_f64 v[31:32], -v[9:10], v[11:12], 0.5
	v_fma_f64 v[11:12], v[11:12], v[31:32], v[11:12]
	v_fma_f64 v[9:10], v[9:10], v[31:32], v[9:10]
	v_fma_f64 v[31:32], -v[11:12], v[11:12], v[5:6]
	v_fma_f64 v[11:12], v[31:32], v[9:10], v[11:12]
	v_fma_f64 v[31:32], -v[11:12], v[11:12], v[5:6]
	v_fma_f64 v[9:10], v[31:32], v[9:10], v[11:12]
	v_cndmask_b32_e32 v11, 0, v47, vcc
	v_cmp_class_f64_e32 vcc, v[5:6], v45
	v_ldexp_f64 v[9:10], v[9:10], v11
	v_cndmask_b32_e32 v6, v10, v6, vcc
	v_cndmask_b32_e32 v5, v9, v5, vcc
	v_mul_f64 v[9:10], v[7:8], v[5:6]
.LBB54_109:                             ;   in Loop: Header=BB54_12 Depth=3
	s_or_b64 exec, exec, s[58:59]
                                        ; implicit-def: $vgpr5_vgpr6
                                        ; implicit-def: $vgpr7_vgpr8
	s_andn2_saveexec_b64 s[56:57], s[56:57]
	s_cbranch_execz .LBB54_43
.LBB54_110:                             ;   in Loop: Header=BB54_12 Depth=3
	v_div_scale_f64 v[9:10], s[58:59], v[5:6], v[5:6], v[7:8]
	v_rcp_f64_e32 v[11:12], v[9:10]
	v_fma_f64 v[31:32], -v[9:10], v[11:12], 1.0
	v_fma_f64 v[11:12], v[11:12], v[31:32], v[11:12]
	v_div_scale_f64 v[31:32], vcc, v[7:8], v[5:6], v[7:8]
	v_fma_f64 v[33:34], -v[9:10], v[11:12], 1.0
	v_fma_f64 v[11:12], v[11:12], v[33:34], v[11:12]
	v_mul_f64 v[33:34], v[31:32], v[11:12]
	v_fma_f64 v[9:10], -v[9:10], v[33:34], v[31:32]
	v_div_fmas_f64 v[9:10], v[9:10], v[11:12], v[33:34]
	v_div_fixup_f64 v[7:8], v[9:10], v[5:6], v[7:8]
	v_fma_f64 v[7:8], v[7:8], v[7:8], 1.0
	v_cmp_gt_f64_e32 vcc, s[82:83], v[7:8]
	v_cndmask_b32_e32 v9, 0, v46, vcc
	v_ldexp_f64 v[7:8], v[7:8], v9
	v_rsq_f64_e32 v[9:10], v[7:8]
	v_mul_f64 v[11:12], v[7:8], v[9:10]
	v_mul_f64 v[9:10], v[9:10], 0.5
	v_fma_f64 v[31:32], -v[9:10], v[11:12], 0.5
	v_fma_f64 v[11:12], v[11:12], v[31:32], v[11:12]
	v_fma_f64 v[9:10], v[9:10], v[31:32], v[9:10]
	v_fma_f64 v[31:32], -v[11:12], v[11:12], v[7:8]
	v_fma_f64 v[11:12], v[31:32], v[9:10], v[11:12]
	v_fma_f64 v[31:32], -v[11:12], v[11:12], v[7:8]
	v_fma_f64 v[9:10], v[31:32], v[9:10], v[11:12]
	v_cndmask_b32_e32 v11, 0, v47, vcc
	v_cmp_class_f64_e32 vcc, v[7:8], v45
	v_ldexp_f64 v[9:10], v[9:10], v11
	v_cndmask_b32_e32 v8, v10, v8, vcc
	v_cndmask_b32_e32 v7, v9, v7, vcc
	v_mul_f64 v[9:10], v[5:6], v[7:8]
	s_or_b64 exec, exec, s[56:57]
	v_cmp_class_f64_e64 s[58:59], v[9:10], s70
	s_and_saveexec_b64 s[56:57], s[58:59]
	s_cbranch_execnz .LBB54_44
	s_branch .LBB54_45
.LBB54_111:                             ;   in Loop: Header=BB54_12 Depth=3
	v_cmp_neq_f64_e32 vcc, 0, v[11:12]
	v_mov_b32_e32 v9, 0
	v_mov_b32_e32 v10, 0
	s_and_saveexec_b64 s[58:59], vcc
	s_cbranch_execz .LBB54_113
; %bb.112:                              ;   in Loop: Header=BB54_12 Depth=3
	v_div_scale_f64 v[9:10], s[72:73], v[7:8], v[7:8], v[5:6]
	v_rcp_f64_e32 v[11:12], v[9:10]
	v_fma_f64 v[31:32], -v[9:10], v[11:12], 1.0
	v_fma_f64 v[11:12], v[11:12], v[31:32], v[11:12]
	v_div_scale_f64 v[31:32], vcc, v[5:6], v[7:8], v[5:6]
	v_fma_f64 v[33:34], -v[9:10], v[11:12], 1.0
	v_fma_f64 v[11:12], v[11:12], v[33:34], v[11:12]
	v_mul_f64 v[33:34], v[31:32], v[11:12]
	v_fma_f64 v[9:10], -v[9:10], v[33:34], v[31:32]
	v_div_fmas_f64 v[9:10], v[9:10], v[11:12], v[33:34]
	v_div_fixup_f64 v[5:6], v[9:10], v[7:8], v[5:6]
	v_fma_f64 v[5:6], v[5:6], v[5:6], 1.0
	v_cmp_gt_f64_e32 vcc, s[82:83], v[5:6]
	v_cndmask_b32_e32 v9, 0, v46, vcc
	v_ldexp_f64 v[5:6], v[5:6], v9
	v_rsq_f64_e32 v[9:10], v[5:6]
	v_mul_f64 v[11:12], v[5:6], v[9:10]
	v_mul_f64 v[9:10], v[9:10], 0.5
	v_fma_f64 v[31:32], -v[9:10], v[11:12], 0.5
	v_fma_f64 v[11:12], v[11:12], v[31:32], v[11:12]
	v_fma_f64 v[9:10], v[9:10], v[31:32], v[9:10]
	v_fma_f64 v[31:32], -v[11:12], v[11:12], v[5:6]
	v_fma_f64 v[11:12], v[31:32], v[9:10], v[11:12]
	v_fma_f64 v[31:32], -v[11:12], v[11:12], v[5:6]
	v_fma_f64 v[9:10], v[31:32], v[9:10], v[11:12]
	v_cndmask_b32_e32 v11, 0, v47, vcc
	v_cmp_class_f64_e32 vcc, v[5:6], v45
	v_ldexp_f64 v[9:10], v[9:10], v11
	v_cndmask_b32_e32 v6, v10, v6, vcc
	v_cndmask_b32_e32 v5, v9, v5, vcc
	v_mul_f64 v[9:10], v[7:8], v[5:6]
.LBB54_113:                             ;   in Loop: Header=BB54_12 Depth=3
	s_or_b64 exec, exec, s[58:59]
                                        ; implicit-def: $vgpr5_vgpr6
                                        ; implicit-def: $vgpr7_vgpr8
	s_andn2_saveexec_b64 s[56:57], s[56:57]
	s_cbranch_execz .LBB54_73
.LBB54_114:                             ;   in Loop: Header=BB54_12 Depth=3
	v_div_scale_f64 v[9:10], s[58:59], v[5:6], v[5:6], v[7:8]
	v_rcp_f64_e32 v[11:12], v[9:10]
	v_fma_f64 v[31:32], -v[9:10], v[11:12], 1.0
	v_fma_f64 v[11:12], v[11:12], v[31:32], v[11:12]
	v_div_scale_f64 v[31:32], vcc, v[7:8], v[5:6], v[7:8]
	v_fma_f64 v[33:34], -v[9:10], v[11:12], 1.0
	v_fma_f64 v[11:12], v[11:12], v[33:34], v[11:12]
	v_mul_f64 v[33:34], v[31:32], v[11:12]
	v_fma_f64 v[9:10], -v[9:10], v[33:34], v[31:32]
	v_div_fmas_f64 v[9:10], v[9:10], v[11:12], v[33:34]
	v_div_fixup_f64 v[7:8], v[9:10], v[5:6], v[7:8]
	v_fma_f64 v[7:8], v[7:8], v[7:8], 1.0
	v_cmp_gt_f64_e32 vcc, s[82:83], v[7:8]
	v_cndmask_b32_e32 v9, 0, v46, vcc
	v_ldexp_f64 v[7:8], v[7:8], v9
	v_rsq_f64_e32 v[9:10], v[7:8]
	v_mul_f64 v[11:12], v[7:8], v[9:10]
	v_mul_f64 v[9:10], v[9:10], 0.5
	v_fma_f64 v[31:32], -v[9:10], v[11:12], 0.5
	v_fma_f64 v[11:12], v[11:12], v[31:32], v[11:12]
	v_fma_f64 v[9:10], v[9:10], v[31:32], v[9:10]
	v_fma_f64 v[31:32], -v[11:12], v[11:12], v[7:8]
	v_fma_f64 v[11:12], v[31:32], v[9:10], v[11:12]
	v_fma_f64 v[31:32], -v[11:12], v[11:12], v[7:8]
	v_fma_f64 v[9:10], v[31:32], v[9:10], v[11:12]
	v_cndmask_b32_e32 v11, 0, v47, vcc
	v_cmp_class_f64_e32 vcc, v[7:8], v45
	v_ldexp_f64 v[9:10], v[9:10], v11
	v_cndmask_b32_e32 v8, v10, v8, vcc
	v_cndmask_b32_e32 v7, v9, v7, vcc
	v_mul_f64 v[9:10], v[5:6], v[7:8]
	s_or_b64 exec, exec, s[56:57]
	v_cmp_class_f64_e64 s[58:59], v[9:10], s70
	s_and_saveexec_b64 s[56:57], s[58:59]
	s_cbranch_execnz .LBB54_74
	s_branch .LBB54_75
.LBB54_115:                             ;   in Loop: Header=BB54_12 Depth=3
	v_cmp_neq_f64_e32 vcc, 0, v[11:12]
	v_mov_b32_e32 v9, 0
	v_mov_b32_e32 v10, 0
	s_and_saveexec_b64 s[58:59], vcc
	s_cbranch_execz .LBB54_117
; %bb.116:                              ;   in Loop: Header=BB54_12 Depth=3
	v_div_scale_f64 v[9:10], s[72:73], v[7:8], v[7:8], v[5:6]
	v_rcp_f64_e32 v[11:12], v[9:10]
	v_fma_f64 v[31:32], -v[9:10], v[11:12], 1.0
	v_fma_f64 v[11:12], v[11:12], v[31:32], v[11:12]
	v_div_scale_f64 v[31:32], vcc, v[5:6], v[7:8], v[5:6]
	v_fma_f64 v[33:34], -v[9:10], v[11:12], 1.0
	v_fma_f64 v[11:12], v[11:12], v[33:34], v[11:12]
	v_mul_f64 v[33:34], v[31:32], v[11:12]
	v_fma_f64 v[9:10], -v[9:10], v[33:34], v[31:32]
	v_div_fmas_f64 v[9:10], v[9:10], v[11:12], v[33:34]
	v_div_fixup_f64 v[5:6], v[9:10], v[7:8], v[5:6]
	v_fma_f64 v[5:6], v[5:6], v[5:6], 1.0
	v_cmp_gt_f64_e32 vcc, s[82:83], v[5:6]
	v_cndmask_b32_e32 v9, 0, v46, vcc
	v_ldexp_f64 v[5:6], v[5:6], v9
	v_rsq_f64_e32 v[9:10], v[5:6]
	v_mul_f64 v[11:12], v[5:6], v[9:10]
	v_mul_f64 v[9:10], v[9:10], 0.5
	v_fma_f64 v[31:32], -v[9:10], v[11:12], 0.5
	v_fma_f64 v[11:12], v[11:12], v[31:32], v[11:12]
	v_fma_f64 v[9:10], v[9:10], v[31:32], v[9:10]
	v_fma_f64 v[31:32], -v[11:12], v[11:12], v[5:6]
	v_fma_f64 v[11:12], v[31:32], v[9:10], v[11:12]
	v_fma_f64 v[31:32], -v[11:12], v[11:12], v[5:6]
	v_fma_f64 v[9:10], v[31:32], v[9:10], v[11:12]
	v_cndmask_b32_e32 v11, 0, v47, vcc
	v_cmp_class_f64_e32 vcc, v[5:6], v45
	v_ldexp_f64 v[9:10], v[9:10], v11
	v_cndmask_b32_e32 v6, v10, v6, vcc
	v_cndmask_b32_e32 v5, v9, v5, vcc
	v_mul_f64 v[9:10], v[7:8], v[5:6]
.LBB54_117:                             ;   in Loop: Header=BB54_12 Depth=3
	s_or_b64 exec, exec, s[58:59]
                                        ; implicit-def: $vgpr5_vgpr6
                                        ; implicit-def: $vgpr7_vgpr8
	s_andn2_saveexec_b64 s[56:57], s[56:57]
	s_cbranch_execz .LBB54_57
.LBB54_118:                             ;   in Loop: Header=BB54_12 Depth=3
	v_div_scale_f64 v[9:10], s[58:59], v[5:6], v[5:6], v[7:8]
	v_rcp_f64_e32 v[11:12], v[9:10]
	v_fma_f64 v[31:32], -v[9:10], v[11:12], 1.0
	v_fma_f64 v[11:12], v[11:12], v[31:32], v[11:12]
	v_div_scale_f64 v[31:32], vcc, v[7:8], v[5:6], v[7:8]
	v_fma_f64 v[33:34], -v[9:10], v[11:12], 1.0
	v_fma_f64 v[11:12], v[11:12], v[33:34], v[11:12]
	v_mul_f64 v[33:34], v[31:32], v[11:12]
	v_fma_f64 v[9:10], -v[9:10], v[33:34], v[31:32]
	v_div_fmas_f64 v[9:10], v[9:10], v[11:12], v[33:34]
	v_div_fixup_f64 v[7:8], v[9:10], v[5:6], v[7:8]
	v_fma_f64 v[7:8], v[7:8], v[7:8], 1.0
	v_cmp_gt_f64_e32 vcc, s[82:83], v[7:8]
	v_cndmask_b32_e32 v9, 0, v46, vcc
	v_ldexp_f64 v[7:8], v[7:8], v9
	v_rsq_f64_e32 v[9:10], v[7:8]
	v_mul_f64 v[11:12], v[7:8], v[9:10]
	v_mul_f64 v[9:10], v[9:10], 0.5
	v_fma_f64 v[31:32], -v[9:10], v[11:12], 0.5
	v_fma_f64 v[11:12], v[11:12], v[31:32], v[11:12]
	v_fma_f64 v[9:10], v[9:10], v[31:32], v[9:10]
	v_fma_f64 v[31:32], -v[11:12], v[11:12], v[7:8]
	v_fma_f64 v[11:12], v[31:32], v[9:10], v[11:12]
	v_fma_f64 v[31:32], -v[11:12], v[11:12], v[7:8]
	v_fma_f64 v[9:10], v[31:32], v[9:10], v[11:12]
	v_cndmask_b32_e32 v11, 0, v47, vcc
	v_cmp_class_f64_e32 vcc, v[7:8], v45
	v_ldexp_f64 v[9:10], v[9:10], v11
	v_cndmask_b32_e32 v8, v10, v8, vcc
	v_cndmask_b32_e32 v7, v9, v7, vcc
	v_mul_f64 v[9:10], v[5:6], v[7:8]
	s_or_b64 exec, exec, s[56:57]
	v_cmp_class_f64_e64 s[58:59], v[9:10], s70
	s_and_saveexec_b64 s[56:57], s[58:59]
	s_cbranch_execnz .LBB54_58
	s_branch .LBB54_59
.LBB54_119:                             ;   in Loop: Header=BB54_3 Depth=1
	s_and_b64 vcc, exec, s[34:35]
	s_cbranch_vccnz .LBB54_122
; %bb.120:                              ;   in Loop: Header=BB54_3 Depth=1
	s_andn2_b64 vcc, exec, s[22:23]
	s_cbranch_vccz .LBB54_135
.LBB54_121:                             ;   in Loop: Header=BB54_3 Depth=1
	s_and_saveexec_b64 s[4:5], s[0:1]
	s_cbranch_execnz .LBB54_148
	s_branch .LBB54_159
.LBB54_122:                             ;   in Loop: Header=BB54_3 Depth=1
	v_mov_b32_dpp v1, v15 row_shr:1 row_mask:0xf bank_mask:0xf
	v_mov_b32_dpp v2, v16 row_shr:1 row_mask:0xf bank_mask:0xf
	v_cmp_lt_f64_e32 vcc, v[15:16], v[1:2]
	v_cndmask_b32_e32 v2, v16, v2, vcc
	v_cndmask_b32_e32 v1, v15, v1, vcc
	s_nop 0
	v_mov_b32_dpp v4, v2 row_shr:2 row_mask:0xf bank_mask:0xf
	v_mov_b32_dpp v3, v1 row_shr:2 row_mask:0xf bank_mask:0xf
	v_cmp_lt_f64_e32 vcc, v[1:2], v[3:4]
	v_cndmask_b32_e32 v2, v2, v4, vcc
	v_cndmask_b32_e32 v1, v1, v3, vcc
	s_nop 0
	;; [unrolled: 6-line block ×4, first 2 shown]
	v_mov_b32_dpp v5, v2 row_bcast:15 row_mask:0xa bank_mask:0xf
	v_mov_b32_dpp v3, v1 row_bcast:15 row_mask:0xa bank_mask:0xf
	s_and_saveexec_b64 s[4:5], s[2:3]
	s_cbranch_execz .LBB54_124
; %bb.123:                              ;   in Loop: Header=BB54_3 Depth=1
	v_mov_b32_e32 v4, v5
	v_cmp_lt_f64_e32 vcc, v[1:2], v[3:4]
	v_cndmask_b32_e32 v2, v2, v5, vcc
	v_cndmask_b32_e32 v1, v1, v3, vcc
	ds_write_b64 v42, v[1:2]
.LBB54_124:                             ;   in Loop: Header=BB54_3 Depth=1
	s_or_b64 exec, exec, s[4:5]
	s_waitcnt vmcnt(0) lgkmcnt(0)
	s_barrier
	s_and_saveexec_b64 s[4:5], s[20:21]
	s_cbranch_execz .LBB54_126
; %bb.125:                              ;   in Loop: Header=BB54_3 Depth=1
	ds_read2_b64 v[1:4], v40 offset1:16
	s_waitcnt lgkmcnt(0)
	v_cmp_lt_f64_e32 vcc, v[1:2], v[3:4]
	v_cndmask_b32_e32 v2, v2, v4, vcc
	v_cndmask_b32_e32 v1, v1, v3, vcc
	ds_write_b64 v40, v[1:2]
.LBB54_126:                             ;   in Loop: Header=BB54_3 Depth=1
	s_or_b64 exec, exec, s[4:5]
	s_waitcnt lgkmcnt(0)
	s_barrier
	s_and_saveexec_b64 s[4:5], s[6:7]
	s_cbranch_execz .LBB54_128
; %bb.127:                              ;   in Loop: Header=BB54_3 Depth=1
	ds_read2_b64 v[1:4], v40 offset1:8
	s_waitcnt lgkmcnt(0)
	v_cmp_lt_f64_e32 vcc, v[1:2], v[3:4]
	v_cndmask_b32_e32 v2, v2, v4, vcc
	v_cndmask_b32_e32 v1, v1, v3, vcc
	ds_write_b64 v40, v[1:2]
.LBB54_128:                             ;   in Loop: Header=BB54_3 Depth=1
	s_or_b64 exec, exec, s[4:5]
	s_waitcnt lgkmcnt(0)
	;; [unrolled: 13-line block ×4, first 2 shown]
	s_barrier
	s_and_saveexec_b64 s[4:5], s[12:13]
	s_cbranch_execz .LBB54_134
; %bb.133:                              ;   in Loop: Header=BB54_3 Depth=1
	ds_read_b128 v[1:4], v18
	s_waitcnt lgkmcnt(0)
	v_cmp_lt_f64_e32 vcc, v[1:2], v[3:4]
	v_cndmask_b32_e32 v2, v2, v4, vcc
	v_cndmask_b32_e32 v1, v1, v3, vcc
	ds_write_b64 v18, v[1:2]
.LBB54_134:                             ;   in Loop: Header=BB54_3 Depth=1
	s_or_b64 exec, exec, s[4:5]
	v_readlane_b32 s4, v61, 10
	v_readlane_b32 s5, v61, 11
	s_waitcnt lgkmcnt(0)
	s_barrier
	ds_read_b64 v[1:2], v18
	s_load_dwordx2 s[4:5], s[4:5], 0x0
	s_waitcnt lgkmcnt(0)
	v_div_scale_f64 v[3:4], s[16:17], s[4:5], s[4:5], v[1:2]
	v_div_scale_f64 v[9:10], vcc, v[1:2], s[4:5], v[1:2]
	v_rcp_f64_e32 v[5:6], v[3:4]
	v_fma_f64 v[7:8], -v[3:4], v[5:6], 1.0
	v_fma_f64 v[5:6], v[5:6], v[7:8], v[5:6]
	v_fma_f64 v[7:8], -v[3:4], v[5:6], 1.0
	v_fma_f64 v[5:6], v[5:6], v[7:8], v[5:6]
	v_mul_f64 v[7:8], v[9:10], v[5:6]
	v_fma_f64 v[3:4], -v[3:4], v[7:8], v[9:10]
	v_div_fmas_f64 v[3:4], v[3:4], v[5:6], v[7:8]
	v_div_fixup_f64 v[15:16], v[3:4], s[4:5], v[1:2]
	s_andn2_b64 vcc, exec, s[22:23]
	s_cbranch_vccnz .LBB54_121
.LBB54_135:                             ;   in Loop: Header=BB54_3 Depth=1
	v_mov_b32_dpp v1, v13 row_shr:1 row_mask:0xf bank_mask:0xf
	v_mov_b32_dpp v2, v14 row_shr:1 row_mask:0xf bank_mask:0xf
	v_cmp_lt_f64_e32 vcc, v[13:14], v[1:2]
	v_cndmask_b32_e32 v2, v14, v2, vcc
	v_cndmask_b32_e32 v1, v13, v1, vcc
	s_nop 0
	v_mov_b32_dpp v4, v2 row_shr:2 row_mask:0xf bank_mask:0xf
	v_mov_b32_dpp v3, v1 row_shr:2 row_mask:0xf bank_mask:0xf
	v_cmp_lt_f64_e32 vcc, v[1:2], v[3:4]
	v_cndmask_b32_e32 v2, v2, v4, vcc
	v_cndmask_b32_e32 v1, v1, v3, vcc
	s_nop 0
	;; [unrolled: 6-line block ×4, first 2 shown]
	v_mov_b32_dpp v5, v2 row_bcast:15 row_mask:0xa bank_mask:0xf
	v_mov_b32_dpp v3, v1 row_bcast:15 row_mask:0xa bank_mask:0xf
	s_and_saveexec_b64 s[4:5], s[2:3]
	s_cbranch_execz .LBB54_137
; %bb.136:                              ;   in Loop: Header=BB54_3 Depth=1
	v_mov_b32_e32 v4, v5
	v_cmp_lt_f64_e32 vcc, v[1:2], v[3:4]
	v_cndmask_b32_e32 v2, v2, v5, vcc
	v_cndmask_b32_e32 v1, v1, v3, vcc
	ds_write_b64 v42, v[1:2]
.LBB54_137:                             ;   in Loop: Header=BB54_3 Depth=1
	s_or_b64 exec, exec, s[4:5]
	s_waitcnt vmcnt(0) lgkmcnt(0)
	s_barrier
	s_and_saveexec_b64 s[4:5], s[20:21]
	s_cbranch_execz .LBB54_139
; %bb.138:                              ;   in Loop: Header=BB54_3 Depth=1
	ds_read2_b64 v[1:4], v40 offset1:16
	s_waitcnt lgkmcnt(0)
	v_cmp_lt_f64_e32 vcc, v[1:2], v[3:4]
	v_cndmask_b32_e32 v2, v2, v4, vcc
	v_cndmask_b32_e32 v1, v1, v3, vcc
	ds_write_b64 v40, v[1:2]
.LBB54_139:                             ;   in Loop: Header=BB54_3 Depth=1
	s_or_b64 exec, exec, s[4:5]
	s_waitcnt lgkmcnt(0)
	s_barrier
	s_and_saveexec_b64 s[4:5], s[6:7]
	s_cbranch_execz .LBB54_141
; %bb.140:                              ;   in Loop: Header=BB54_3 Depth=1
	ds_read2_b64 v[1:4], v40 offset1:8
	s_waitcnt lgkmcnt(0)
	v_cmp_lt_f64_e32 vcc, v[1:2], v[3:4]
	v_cndmask_b32_e32 v2, v2, v4, vcc
	v_cndmask_b32_e32 v1, v1, v3, vcc
	ds_write_b64 v40, v[1:2]
.LBB54_141:                             ;   in Loop: Header=BB54_3 Depth=1
	s_or_b64 exec, exec, s[4:5]
	s_waitcnt lgkmcnt(0)
	;; [unrolled: 13-line block ×4, first 2 shown]
	s_barrier
	s_and_saveexec_b64 s[4:5], s[12:13]
	s_cbranch_execz .LBB54_147
; %bb.146:                              ;   in Loop: Header=BB54_3 Depth=1
	ds_read_b128 v[1:4], v18
	s_waitcnt lgkmcnt(0)
	v_cmp_lt_f64_e32 vcc, v[1:2], v[3:4]
	v_cndmask_b32_e32 v2, v2, v4, vcc
	v_cndmask_b32_e32 v1, v1, v3, vcc
	ds_write_b64 v18, v[1:2]
.LBB54_147:                             ;   in Loop: Header=BB54_3 Depth=1
	s_or_b64 exec, exec, s[4:5]
	v_readlane_b32 s4, v61, 10
	v_readlane_b32 s5, v61, 11
	s_waitcnt lgkmcnt(0)
	s_barrier
	ds_read_b64 v[1:2], v18
	s_load_dwordx2 s[4:5], s[4:5], 0x0
	s_waitcnt lgkmcnt(0)
	v_div_scale_f64 v[3:4], s[16:17], s[4:5], s[4:5], v[1:2]
	v_div_scale_f64 v[9:10], vcc, v[1:2], s[4:5], v[1:2]
	v_rcp_f64_e32 v[5:6], v[3:4]
	v_fma_f64 v[7:8], -v[3:4], v[5:6], 1.0
	v_fma_f64 v[5:6], v[5:6], v[7:8], v[5:6]
	v_fma_f64 v[7:8], -v[3:4], v[5:6], 1.0
	v_fma_f64 v[5:6], v[5:6], v[7:8], v[5:6]
	v_mul_f64 v[7:8], v[9:10], v[5:6]
	v_fma_f64 v[3:4], -v[3:4], v[7:8], v[9:10]
	v_div_fmas_f64 v[3:4], v[3:4], v[5:6], v[7:8]
	v_div_fixup_f64 v[13:14], v[3:4], s[4:5], v[1:2]
	s_and_saveexec_b64 s[4:5], s[0:1]
	s_cbranch_execz .LBB54_159
.LBB54_148:                             ;   in Loop: Header=BB54_3 Depth=1
	s_mov_b64 s[16:17], 0
	v_mov_b32_e32 v1, v39
	s_branch .LBB54_150
.LBB54_149:                             ;   in Loop: Header=BB54_150 Depth=2
	s_or_b64 exec, exec, s[18:19]
	v_add_u32_e32 v1, 32, v1
	v_cmp_le_u32_e32 vcc, s55, v1
	s_or_b64 s[16:17], vcc, s[16:17]
	s_andn2_b64 exec, exec, s[16:17]
	s_cbranch_execz .LBB54_159
.LBB54_150:                             ;   Parent Loop BB54_3 Depth=1
                                        ; =>  This Loop Header: Depth=2
                                        ;       Child Loop BB54_153 Depth 3
                                        ;       Child Loop BB54_156 Depth 3
	v_cmp_gt_i32_e32 vcc, s33, v1
	s_and_saveexec_b64 s[18:19], vcc
	s_cbranch_execz .LBB54_149
; %bb.151:                              ;   in Loop: Header=BB54_150 Depth=2
	v_ashrrev_i32_e32 v2, 31, v1
	v_lshlrev_b64 v[3:4], 2, v[1:2]
	v_mov_b32_e32 v6, s37
	v_add_co_u32_e32 v5, vcc, s36, v3
	v_addc_co_u32_e32 v6, vcc, v6, v4, vcc
	global_load_dword v7, v[5:6], off
	v_mov_b32_e32 v6, s39
	v_add_co_u32_e32 v5, vcc, s38, v3
	v_addc_co_u32_e32 v6, vcc, v6, v4, vcc
	global_load_dword v6, v[5:6], off
	s_waitcnt vmcnt(1)
	v_add_u32_e32 v5, v43, v7
	s_waitcnt vmcnt(0)
	v_subrev_u32_e32 v10, s53, v6
	v_cmp_lt_i32_e32 vcc, v5, v10
	s_and_saveexec_b64 s[68:69], vcc
	s_cbranch_execz .LBB54_154
; %bb.152:                              ;   in Loop: Header=BB54_150 Depth=2
	v_ashrrev_i32_e32 v6, 31, v5
	v_lshlrev_b64 v[8:9], 4, v[5:6]
	v_mov_b32_e32 v7, s43
	v_add_co_u32_e32 v6, vcc, s42, v8
	v_addc_co_u32_e32 v7, vcc, v7, v9, vcc
	v_mov_b32_e32 v11, s75
	v_add_co_u32_e32 v8, vcc, s74, v8
	v_addc_co_u32_e32 v9, vcc, v11, v9, vcc
	s_mov_b64 s[56:57], 0
.LBB54_153:                             ;   Parent Loop BB54_3 Depth=1
                                        ;     Parent Loop BB54_150 Depth=2
                                        ; =>    This Inner Loop Header: Depth=3
	global_load_dwordx4 v[19:22], v[8:9], off
	v_add_u32_e32 v5, 32, v5
	v_cmp_ge_i32_e32 vcc, v5, v10
	s_or_b64 s[56:57], vcc, s[56:57]
	s_waitcnt vmcnt(0)
	global_store_dwordx4 v[6:7], v[19:22], off
	v_add_co_u32_e32 v6, vcc, 0x200, v6
	v_addc_co_u32_e32 v7, vcc, 0, v7, vcc
	v_add_co_u32_e32 v8, vcc, 0x200, v8
	v_addc_co_u32_e32 v9, vcc, 0, v9, vcc
	s_andn2_b64 exec, exec, s[56:57]
	s_cbranch_execnz .LBB54_153
.LBB54_154:                             ;   in Loop: Header=BB54_150 Depth=2
	s_or_b64 exec, exec, s[68:69]
	v_mov_b32_e32 v6, s25
	v_add_co_u32_e32 v5, vcc, s24, v3
	v_addc_co_u32_e32 v6, vcc, v6, v4, vcc
	global_load_dword v5, v[5:6], off
	v_mov_b32_e32 v6, s27
	v_add_co_u32_e32 v3, vcc, s26, v3
	v_addc_co_u32_e32 v4, vcc, v6, v4, vcc
	global_load_dword v4, v[3:4], off
	s_waitcnt vmcnt(1)
	v_add_u32_e32 v3, v44, v5
	s_waitcnt vmcnt(0)
	v_subrev_u32_e32 v8, s54, v4
	v_cmp_lt_i32_e32 vcc, v3, v8
	s_and_saveexec_b64 s[68:69], vcc
	s_cbranch_execz .LBB54_157
; %bb.155:                              ;   in Loop: Header=BB54_150 Depth=2
	v_ashrrev_i32_e32 v4, 31, v3
	v_lshlrev_b64 v[6:7], 4, v[3:4]
	v_mov_b32_e32 v5, s31
	v_add_co_u32_e32 v4, vcc, s30, v6
	v_addc_co_u32_e32 v5, vcc, v5, v7, vcc
	v_mov_b32_e32 v9, s77
	v_add_co_u32_e32 v6, vcc, s76, v6
	v_addc_co_u32_e32 v7, vcc, v9, v7, vcc
	s_mov_b64 s[56:57], 0
.LBB54_156:                             ;   Parent Loop BB54_3 Depth=1
                                        ;     Parent Loop BB54_150 Depth=2
                                        ; =>    This Inner Loop Header: Depth=3
	global_load_dwordx4 v[9:12], v[6:7], off
	v_add_u32_e32 v3, 32, v3
	v_cmp_ge_i32_e32 vcc, v3, v8
	s_or_b64 s[56:57], vcc, s[56:57]
	s_waitcnt vmcnt(0)
	global_store_dwordx4 v[4:5], v[9:12], off
	v_add_co_u32_e32 v4, vcc, 0x200, v4
	v_addc_co_u32_e32 v5, vcc, 0, v5, vcc
	v_add_co_u32_e32 v6, vcc, 0x200, v6
	v_addc_co_u32_e32 v7, vcc, 0, v7, vcc
	s_andn2_b64 exec, exec, s[56:57]
	s_cbranch_execnz .LBB54_156
.LBB54_157:                             ;   in Loop: Header=BB54_150 Depth=2
	s_or_b64 exec, exec, s[68:69]
	s_and_b64 exec, exec, s[14:15]
	s_cbranch_execz .LBB54_149
; %bb.158:                              ;   in Loop: Header=BB54_150 Depth=2
	v_lshlrev_b64 v[6:7], 4, v[1:2]
	v_mov_b32_e32 v3, s63
	v_add_co_u32_e32 v2, vcc, s62, v6
	v_addc_co_u32_e32 v3, vcc, v3, v7, vcc
	global_load_dwordx4 v[2:5], v[2:3], off
	v_mov_b32_e32 v8, s61
	v_add_co_u32_e32 v6, vcc, s60, v6
	v_addc_co_u32_e32 v7, vcc, v8, v7, vcc
	s_waitcnt vmcnt(0)
	global_store_dwordx4 v[6:7], v[2:5], off
	s_branch .LBB54_149
.LBB54_159:                             ;   in Loop: Header=BB54_3 Depth=1
	s_or_b64 exec, exec, s[4:5]
	s_mov_b64 s[16:17], -1
	s_and_b64 vcc, exec, s[64:65]
	s_mov_b64 s[18:19], -1
	s_cbranch_vccz .LBB54_169
; %bb.160:                              ;   in Loop: Header=BB54_3 Depth=1
	v_readlane_b32 s18, v61, 14
	v_readlane_b32 s19, v61, 15
	s_mov_b64 s[4:5], -1
	s_and_b64 vcc, exec, s[18:19]
                                        ; implicit-def: $sgpr18_sgpr19
	s_cbranch_vccz .LBB54_166
; %bb.161:                              ;   in Loop: Header=BB54_3 Depth=1
	v_readlane_b32 s18, v61, 12
	v_readlane_b32 s19, v61, 13
	s_and_b64 vcc, exec, s[18:19]
                                        ; implicit-def: $sgpr18_sgpr19
	s_cbranch_vccz .LBB54_163
; %bb.162:                              ;   in Loop: Header=BB54_3 Depth=1
	v_readlane_b32 s56, v61, 0
	v_readlane_b32 s58, v61, 2
	v_readlane_b32 s59, v61, 3
	v_readlane_b32 s57, v61, 1
	v_cmp_ge_f64_e64 s[18:19], s[58:59], v[13:14]
	s_mov_b64 s[4:5], 0
.LBB54_163:                             ;   in Loop: Header=BB54_3 Depth=1
	s_andn2_b64 vcc, exec, s[4:5]
	s_cbranch_vccnz .LBB54_165
; %bb.164:                              ;   in Loop: Header=BB54_3 Depth=1
	v_readlane_b32 s56, v61, 0
	v_readlane_b32 s58, v61, 2
	;; [unrolled: 1-line block ×3, first 2 shown]
	v_cmp_ge_f64_e32 vcc, s[58:59], v[15:16]
	s_andn2_b64 s[4:5], s[18:19], exec
	v_readlane_b32 s57, v61, 1
	s_and_b64 s[18:19], vcc, exec
	s_or_b64 s[18:19], s[4:5], s[18:19]
.LBB54_165:                             ;   in Loop: Header=BB54_3 Depth=1
	s_mov_b64 s[4:5], 0
.LBB54_166:                             ;   in Loop: Header=BB54_3 Depth=1
	s_andn2_b64 vcc, exec, s[4:5]
	s_cbranch_vccnz .LBB54_168
; %bb.167:                              ;   in Loop: Header=BB54_3 Depth=1
	v_readlane_b32 s56, v61, 0
	v_readlane_b32 s58, v61, 2
	;; [unrolled: 1-line block ×3, first 2 shown]
	v_cmp_ge_f64_e32 vcc, s[58:59], v[15:16]
	v_cmp_ge_f64_e64 s[4:5], s[58:59], v[13:14]
	s_andn2_b64 s[18:19], s[18:19], exec
	v_readlane_b32 s57, v61, 1
	s_and_b64 s[4:5], vcc, s[4:5]
	s_and_b64 s[4:5], s[4:5], exec
	s_or_b64 s[18:19], s[18:19], s[4:5]
.LBB54_168:                             ;   in Loop: Header=BB54_3 Depth=1
	s_xor_b64 s[18:19], s[18:19], -1
.LBB54_169:                             ;   in Loop: Header=BB54_3 Depth=1
	v_mov_b32_e32 v1, s66
	s_and_saveexec_b64 s[4:5], s[18:19]
	s_cbranch_execz .LBB54_2
; %bb.170:                              ;   in Loop: Header=BB54_3 Depth=1
	s_add_i32 s66, s66, 1
	s_cmp_eq_u32 s66, s67
	s_cselect_b64 s[16:17], -1, 0
	v_mov_b32_e32 v1, s67
	s_orn2_b64 s[16:17], s[16:17], exec
	s_branch .LBB54_2
.LBB54_171:
	s_or_b64 exec, exec, s[80:81]
	v_readlane_b32 s8, v61, 6
	v_readlane_b32 s9, v61, 7
	;; [unrolled: 1-line block ×4, first 2 shown]
.LBB54_172:
	v_readlane_b32 s0, v61, 4
	v_readlane_b32 s1, v61, 5
	s_or_b64 exec, exec, s[0:1]
	s_andn2_b64 vcc, exec, s[64:65]
	s_cbranch_vccnz .LBB54_189
; %bb.173:
	v_mov_b32_dpp v2, v1 row_shr:1 row_mask:0xf bank_mask:0xf
	v_max_i32_e32 v1, v1, v2
	v_cmp_eq_u32_e32 vcc, 31, v38
	s_nop 0
	v_mov_b32_dpp v2, v1 row_shr:2 row_mask:0xf bank_mask:0xf
	v_max_i32_e32 v1, v1, v2
	s_nop 1
	v_mov_b32_dpp v2, v1 row_shr:4 row_mask:0xf bank_mask:0xe
	v_max_i32_e32 v1, v1, v2
	;; [unrolled: 3-line block ×3, first 2 shown]
	s_nop 1
	v_mov_b32_dpp v2, v1 row_bcast:15 row_mask:0xa bank_mask:0xf
	s_and_saveexec_b64 s[0:1], vcc
; %bb.174:
	v_lshlrev_b32_e32 v3, 2, v37
	v_max_i32_e32 v1, v1, v2
	ds_write_b32 v3, v1 offset:256
; %bb.175:
	s_or_b64 exec, exec, s[0:1]
	v_cmp_gt_u32_e32 vcc, 16, v0
	v_lshlrev_b32_e32 v1, 2, v0
	s_waitcnt vmcnt(0) lgkmcnt(0)
	s_barrier
	s_and_saveexec_b64 s[0:1], vcc
	s_cbranch_execz .LBB54_177
; %bb.176:
	ds_read2_b32 v[2:3], v1 offset0:64 offset1:80
	s_waitcnt lgkmcnt(0)
	v_max_i32_e32 v2, v2, v3
	ds_write_b32 v1, v2 offset:256
.LBB54_177:
	s_or_b64 exec, exec, s[0:1]
	v_cmp_gt_u32_e32 vcc, 8, v0
	s_waitcnt lgkmcnt(0)
	s_barrier
	s_and_saveexec_b64 s[0:1], vcc
	s_cbranch_execz .LBB54_179
; %bb.178:
	ds_read2_b32 v[2:3], v1 offset0:64 offset1:72
	s_waitcnt lgkmcnt(0)
	v_max_i32_e32 v2, v2, v3
	ds_write_b32 v1, v2 offset:256
.LBB54_179:
	s_or_b64 exec, exec, s[0:1]
	v_cmp_gt_u32_e32 vcc, 4, v0
	s_waitcnt lgkmcnt(0)
	;; [unrolled: 12-line block ×3, first 2 shown]
	s_barrier
	s_and_saveexec_b64 s[0:1], vcc
	s_cbranch_execz .LBB54_183
; %bb.182:
	ds_read2_b32 v[2:3], v1 offset0:64 offset1:66
	s_waitcnt lgkmcnt(0)
	v_max_i32_e32 v2, v2, v3
	ds_write_b32 v1, v2 offset:256
.LBB54_183:
	s_or_b64 exec, exec, s[0:1]
	v_cmp_eq_u32_e32 vcc, 0, v0
	s_waitcnt lgkmcnt(0)
	s_barrier
	s_and_saveexec_b64 s[0:1], vcc
	s_cbranch_execz .LBB54_185
; %bb.184:
	v_mov_b32_e32 v3, 0
	ds_read_b64 v[1:2], v3 offset:256
	s_waitcnt lgkmcnt(0)
	v_max_i32_e32 v1, v1, v2
	ds_write_b32 v3, v1 offset:256
.LBB54_185:
	s_or_b64 exec, exec, s[0:1]
	s_waitcnt lgkmcnt(0)
	s_barrier
	s_and_saveexec_b64 s[0:1], vcc
	s_cbranch_execz .LBB54_188
; %bb.186:
	v_mbcnt_lo_u32_b32 v1, exec_lo, 0
	v_mbcnt_hi_u32_b32 v1, exec_hi, v1
	v_cmp_eq_u32_e32 vcc, 0, v1
	s_and_b64 exec, exec, vcc
	s_cbranch_execz .LBB54_188
; %bb.187:
	v_mov_b32_e32 v1, 0
	ds_read_b32 v2, v1 offset:256
	v_readlane_b32 s4, v61, 0
	v_readlane_b32 s5, v61, 1
	;; [unrolled: 1-line block ×4, first 2 shown]
	s_waitcnt lgkmcnt(0)
	v_add_u32_e32 v2, 1, v2
	s_nop 0
	global_atomic_smax v1, v2, s[4:5]
.LBB54_188:
	s_or_b64 exec, exec, s[0:1]
.LBB54_189:
	v_cmp_eq_u32_e32 vcc, 0, v0
	s_and_b64 s[0:1], vcc, s[34:35]
	s_and_saveexec_b64 s[2:3], s[0:1]
	s_cbranch_execz .LBB54_196
; %bb.190:
	v_mov_b32_e32 v0, 0
	s_mov_b64 s[0:1], exec
	v_mov_b32_e32 v1, 0x7ff80000
.LBB54_191:                             ; =>This Inner Loop Header: Depth=1
	s_ff1_i32_b64 s6, s[0:1]
	v_readlane_b32 s5, v16, s6
	v_readlane_b32 s4, v15, s6
	v_max_f64 v[0:1], v[0:1], v[0:1]
	v_max_f64 v[2:3], s[4:5], s[4:5]
	s_lshl_b64 s[4:5], 1, s6
	s_andn2_b64 s[0:1], s[0:1], s[4:5]
	s_cmp_lg_u64 s[0:1], 0
	v_max_f64 v[0:1], v[0:1], v[2:3]
	s_cbranch_scc1 .LBB54_191
; %bb.192:
	v_mbcnt_lo_u32_b32 v2, exec_lo, 0
	v_mbcnt_hi_u32_b32 v2, exec_hi, v2
	v_cmp_eq_u32_e64 s[0:1], 0, v2
	s_and_saveexec_b64 s[4:5], s[0:1]
	s_xor_b64 s[4:5], exec, s[4:5]
	s_cbranch_execz .LBB54_196
; %bb.193:
	v_mov_b32_e32 v6, 0
	global_load_dwordx2 v[2:3], v6, s[8:9]
	v_max_f64 v[4:5], v[0:1], v[0:1]
	s_mov_b64 s[4:5], 0
.LBB54_194:                             ; =>This Inner Loop Header: Depth=1
	s_waitcnt vmcnt(0)
	v_max_f64 v[0:1], v[2:3], v[2:3]
	v_max_f64 v[0:1], v[0:1], v[4:5]
	global_atomic_cmpswap_x2 v[0:1], v6, v[0:3], s[8:9] glc
	s_waitcnt vmcnt(0)
	v_cmp_eq_u64_e64 s[0:1], v[0:1], v[2:3]
	v_mov_b32_e32 v3, v1
	s_or_b64 s[4:5], s[0:1], s[4:5]
	v_mov_b32_e32 v2, v0
	s_andn2_b64 exec, exec, s[4:5]
	s_cbranch_execnz .LBB54_194
; %bb.195:
	s_or_b64 exec, exec, s[4:5]
.LBB54_196:
	s_or_b64 exec, exec, s[2:3]
	s_and_b64 s[0:1], vcc, s[22:23]
	s_and_saveexec_b64 s[2:3], s[0:1]
	s_cbranch_execz .LBB54_202
; %bb.197:
	v_mov_b32_e32 v0, 0
	s_mov_b64 s[0:1], exec
	v_mov_b32_e32 v1, 0x7ff80000
.LBB54_198:                             ; =>This Inner Loop Header: Depth=1
	s_ff1_i32_b64 s4, s[0:1]
	v_readlane_b32 s3, v14, s4
	v_readlane_b32 s2, v13, s4
	v_max_f64 v[0:1], v[0:1], v[0:1]
	v_max_f64 v[2:3], s[2:3], s[2:3]
	s_lshl_b64 s[2:3], 1, s4
	s_andn2_b64 s[0:1], s[0:1], s[2:3]
	s_cmp_lg_u64 s[0:1], 0
	v_max_f64 v[0:1], v[0:1], v[2:3]
	s_cbranch_scc1 .LBB54_198
; %bb.199:
	v_mbcnt_lo_u32_b32 v2, exec_lo, 0
	v_mbcnt_hi_u32_b32 v2, exec_hi, v2
	v_cmp_eq_u32_e32 vcc, 0, v2
	s_and_saveexec_b64 s[0:1], vcc
	s_xor_b64 s[0:1], exec, s[0:1]
	s_cbranch_execz .LBB54_202
; %bb.200:
	v_mov_b32_e32 v6, 0
	global_load_dwordx2 v[2:3], v6, s[10:11]
	v_max_f64 v[4:5], v[0:1], v[0:1]
	s_mov_b64 s[0:1], 0
.LBB54_201:                             ; =>This Inner Loop Header: Depth=1
	s_waitcnt vmcnt(0)
	v_max_f64 v[0:1], v[2:3], v[2:3]
	v_max_f64 v[0:1], v[0:1], v[4:5]
	global_atomic_cmpswap_x2 v[0:1], v6, v[0:3], s[10:11] glc
	s_waitcnt vmcnt(0)
	v_cmp_eq_u64_e32 vcc, v[0:1], v[2:3]
	v_mov_b32_e32 v3, v1
	s_or_b64 s[0:1], vcc, s[0:1]
	v_mov_b32_e32 v2, v0
	s_andn2_b64 exec, exec, s[0:1]
	s_cbranch_execnz .LBB54_201
.LBB54_202:
	s_endpgm
	.section	.rodata,"a",@progbits
	.p2align	6, 0x0
	.amdhsa_kernel _ZN9rocsparseL6kernelILi1024ELi32E21rocsparse_complex_numIdEiiEEvbbbT3_PS3_NS_15floating_traitsIT1_E6data_tES3_T2_PKS9_SB_PKS3_PKS6_21rocsparse_index_base_SB_SB_SD_PS6_SH_SG_SB_SB_SD_SH_SH_SG_SH_SH_PS8_SI_PKS8_
		.amdhsa_group_segment_fixed_size 384
		.amdhsa_private_segment_fixed_size 0
		.amdhsa_kernarg_size 208
		.amdhsa_user_sgpr_count 6
		.amdhsa_user_sgpr_private_segment_buffer 1
		.amdhsa_user_sgpr_dispatch_ptr 0
		.amdhsa_user_sgpr_queue_ptr 0
		.amdhsa_user_sgpr_kernarg_segment_ptr 1
		.amdhsa_user_sgpr_dispatch_id 0
		.amdhsa_user_sgpr_flat_scratch_init 0
		.amdhsa_user_sgpr_private_segment_size 0
		.amdhsa_uses_dynamic_stack 0
		.amdhsa_system_sgpr_private_segment_wavefront_offset 0
		.amdhsa_system_sgpr_workgroup_id_x 1
		.amdhsa_system_sgpr_workgroup_id_y 0
		.amdhsa_system_sgpr_workgroup_id_z 0
		.amdhsa_system_sgpr_workgroup_info 0
		.amdhsa_system_vgpr_workitem_id 0
		.amdhsa_next_free_vgpr 62
		.amdhsa_next_free_sgpr 96
		.amdhsa_reserve_vcc 1
		.amdhsa_reserve_flat_scratch 0
		.amdhsa_float_round_mode_32 0
		.amdhsa_float_round_mode_16_64 0
		.amdhsa_float_denorm_mode_32 3
		.amdhsa_float_denorm_mode_16_64 3
		.amdhsa_dx10_clamp 1
		.amdhsa_ieee_mode 1
		.amdhsa_fp16_overflow 0
		.amdhsa_exception_fp_ieee_invalid_op 0
		.amdhsa_exception_fp_denorm_src 0
		.amdhsa_exception_fp_ieee_div_zero 0
		.amdhsa_exception_fp_ieee_overflow 0
		.amdhsa_exception_fp_ieee_underflow 0
		.amdhsa_exception_fp_ieee_inexact 0
		.amdhsa_exception_int_div_zero 0
	.end_amdhsa_kernel
	.section	.text._ZN9rocsparseL6kernelILi1024ELi32E21rocsparse_complex_numIdEiiEEvbbbT3_PS3_NS_15floating_traitsIT1_E6data_tES3_T2_PKS9_SB_PKS3_PKS6_21rocsparse_index_base_SB_SB_SD_PS6_SH_SG_SB_SB_SD_SH_SH_SG_SH_SH_PS8_SI_PKS8_,"axG",@progbits,_ZN9rocsparseL6kernelILi1024ELi32E21rocsparse_complex_numIdEiiEEvbbbT3_PS3_NS_15floating_traitsIT1_E6data_tES3_T2_PKS9_SB_PKS3_PKS6_21rocsparse_index_base_SB_SB_SD_PS6_SH_SG_SB_SB_SD_SH_SH_SG_SH_SH_PS8_SI_PKS8_,comdat
.Lfunc_end54:
	.size	_ZN9rocsparseL6kernelILi1024ELi32E21rocsparse_complex_numIdEiiEEvbbbT3_PS3_NS_15floating_traitsIT1_E6data_tES3_T2_PKS9_SB_PKS3_PKS6_21rocsparse_index_base_SB_SB_SD_PS6_SH_SG_SB_SB_SD_SH_SH_SG_SH_SH_PS8_SI_PKS8_, .Lfunc_end54-_ZN9rocsparseL6kernelILi1024ELi32E21rocsparse_complex_numIdEiiEEvbbbT3_PS3_NS_15floating_traitsIT1_E6data_tES3_T2_PKS9_SB_PKS3_PKS6_21rocsparse_index_base_SB_SB_SD_PS6_SH_SG_SB_SB_SD_SH_SH_SG_SH_SH_PS8_SI_PKS8_
                                        ; -- End function
	.set _ZN9rocsparseL6kernelILi1024ELi32E21rocsparse_complex_numIdEiiEEvbbbT3_PS3_NS_15floating_traitsIT1_E6data_tES3_T2_PKS9_SB_PKS3_PKS6_21rocsparse_index_base_SB_SB_SD_PS6_SH_SG_SB_SB_SD_SH_SH_SG_SH_SH_PS8_SI_PKS8_.num_vgpr, 62
	.set _ZN9rocsparseL6kernelILi1024ELi32E21rocsparse_complex_numIdEiiEEvbbbT3_PS3_NS_15floating_traitsIT1_E6data_tES3_T2_PKS9_SB_PKS3_PKS6_21rocsparse_index_base_SB_SB_SD_PS6_SH_SG_SB_SB_SD_SH_SH_SG_SH_SH_PS8_SI_PKS8_.num_agpr, 0
	.set _ZN9rocsparseL6kernelILi1024ELi32E21rocsparse_complex_numIdEiiEEvbbbT3_PS3_NS_15floating_traitsIT1_E6data_tES3_T2_PKS9_SB_PKS3_PKS6_21rocsparse_index_base_SB_SB_SD_PS6_SH_SG_SB_SB_SD_SH_SH_SG_SH_SH_PS8_SI_PKS8_.numbered_sgpr, 96
	.set _ZN9rocsparseL6kernelILi1024ELi32E21rocsparse_complex_numIdEiiEEvbbbT3_PS3_NS_15floating_traitsIT1_E6data_tES3_T2_PKS9_SB_PKS3_PKS6_21rocsparse_index_base_SB_SB_SD_PS6_SH_SG_SB_SB_SD_SH_SH_SG_SH_SH_PS8_SI_PKS8_.num_named_barrier, 0
	.set _ZN9rocsparseL6kernelILi1024ELi32E21rocsparse_complex_numIdEiiEEvbbbT3_PS3_NS_15floating_traitsIT1_E6data_tES3_T2_PKS9_SB_PKS3_PKS6_21rocsparse_index_base_SB_SB_SD_PS6_SH_SG_SB_SB_SD_SH_SH_SG_SH_SH_PS8_SI_PKS8_.private_seg_size, 0
	.set _ZN9rocsparseL6kernelILi1024ELi32E21rocsparse_complex_numIdEiiEEvbbbT3_PS3_NS_15floating_traitsIT1_E6data_tES3_T2_PKS9_SB_PKS3_PKS6_21rocsparse_index_base_SB_SB_SD_PS6_SH_SG_SB_SB_SD_SH_SH_SG_SH_SH_PS8_SI_PKS8_.uses_vcc, 1
	.set _ZN9rocsparseL6kernelILi1024ELi32E21rocsparse_complex_numIdEiiEEvbbbT3_PS3_NS_15floating_traitsIT1_E6data_tES3_T2_PKS9_SB_PKS3_PKS6_21rocsparse_index_base_SB_SB_SD_PS6_SH_SG_SB_SB_SD_SH_SH_SG_SH_SH_PS8_SI_PKS8_.uses_flat_scratch, 0
	.set _ZN9rocsparseL6kernelILi1024ELi32E21rocsparse_complex_numIdEiiEEvbbbT3_PS3_NS_15floating_traitsIT1_E6data_tES3_T2_PKS9_SB_PKS3_PKS6_21rocsparse_index_base_SB_SB_SD_PS6_SH_SG_SB_SB_SD_SH_SH_SG_SH_SH_PS8_SI_PKS8_.has_dyn_sized_stack, 0
	.set _ZN9rocsparseL6kernelILi1024ELi32E21rocsparse_complex_numIdEiiEEvbbbT3_PS3_NS_15floating_traitsIT1_E6data_tES3_T2_PKS9_SB_PKS3_PKS6_21rocsparse_index_base_SB_SB_SD_PS6_SH_SG_SB_SB_SD_SH_SH_SG_SH_SH_PS8_SI_PKS8_.has_recursion, 0
	.set _ZN9rocsparseL6kernelILi1024ELi32E21rocsparse_complex_numIdEiiEEvbbbT3_PS3_NS_15floating_traitsIT1_E6data_tES3_T2_PKS9_SB_PKS3_PKS6_21rocsparse_index_base_SB_SB_SD_PS6_SH_SG_SB_SB_SD_SH_SH_SG_SH_SH_PS8_SI_PKS8_.has_indirect_call, 0
	.section	.AMDGPU.csdata,"",@progbits
; Kernel info:
; codeLenInByte = 9236
; TotalNumSgprs: 100
; NumVgprs: 62
; ScratchSize: 0
; MemoryBound: 1
; FloatMode: 240
; IeeeMode: 1
; LDSByteSize: 384 bytes/workgroup (compile time only)
; SGPRBlocks: 12
; VGPRBlocks: 15
; NumSGPRsForWavesPerEU: 100
; NumVGPRsForWavesPerEU: 62
; Occupancy: 4
; WaveLimiterHint : 1
; COMPUTE_PGM_RSRC2:SCRATCH_EN: 0
; COMPUTE_PGM_RSRC2:USER_SGPR: 6
; COMPUTE_PGM_RSRC2:TRAP_HANDLER: 0
; COMPUTE_PGM_RSRC2:TGID_X_EN: 1
; COMPUTE_PGM_RSRC2:TGID_Y_EN: 0
; COMPUTE_PGM_RSRC2:TGID_Z_EN: 0
; COMPUTE_PGM_RSRC2:TIDIG_COMP_CNT: 0
	.section	.text._ZN9rocsparseL6kernelILi1024ELi64E21rocsparse_complex_numIdEiiEEvbbbT3_PS3_NS_15floating_traitsIT1_E6data_tES3_T2_PKS9_SB_PKS3_PKS6_21rocsparse_index_base_SB_SB_SD_PS6_SH_SG_SB_SB_SD_SH_SH_SG_SH_SH_PS8_SI_PKS8_,"axG",@progbits,_ZN9rocsparseL6kernelILi1024ELi64E21rocsparse_complex_numIdEiiEEvbbbT3_PS3_NS_15floating_traitsIT1_E6data_tES3_T2_PKS9_SB_PKS3_PKS6_21rocsparse_index_base_SB_SB_SD_PS6_SH_SG_SB_SB_SD_SH_SH_SG_SH_SH_PS8_SI_PKS8_,comdat
	.globl	_ZN9rocsparseL6kernelILi1024ELi64E21rocsparse_complex_numIdEiiEEvbbbT3_PS3_NS_15floating_traitsIT1_E6data_tES3_T2_PKS9_SB_PKS3_PKS6_21rocsparse_index_base_SB_SB_SD_PS6_SH_SG_SB_SB_SD_SH_SH_SG_SH_SH_PS8_SI_PKS8_ ; -- Begin function _ZN9rocsparseL6kernelILi1024ELi64E21rocsparse_complex_numIdEiiEEvbbbT3_PS3_NS_15floating_traitsIT1_E6data_tES3_T2_PKS9_SB_PKS3_PKS6_21rocsparse_index_base_SB_SB_SD_PS6_SH_SG_SB_SB_SD_SH_SH_SG_SH_SH_PS8_SI_PKS8_
	.p2align	8
	.type	_ZN9rocsparseL6kernelILi1024ELi64E21rocsparse_complex_numIdEiiEEvbbbT3_PS3_NS_15floating_traitsIT1_E6data_tES3_T2_PKS9_SB_PKS3_PKS6_21rocsparse_index_base_SB_SB_SD_PS6_SH_SG_SB_SB_SD_SH_SH_SG_SH_SH_PS8_SI_PKS8_,@function
_ZN9rocsparseL6kernelILi1024ELi64E21rocsparse_complex_numIdEiiEEvbbbT3_PS3_NS_15floating_traitsIT1_E6data_tES3_T2_PKS9_SB_PKS3_PKS6_21rocsparse_index_base_SB_SB_SD_PS6_SH_SG_SB_SB_SD_SH_SH_SG_SH_SH_PS8_SI_PKS8_: ; @_ZN9rocsparseL6kernelILi1024ELi64E21rocsparse_complex_numIdEiiEEvbbbT3_PS3_NS_15floating_traitsIT1_E6data_tES3_T2_PKS9_SB_PKS3_PKS6_21rocsparse_index_base_SB_SB_SD_PS6_SH_SG_SB_SB_SD_SH_SH_SG_SH_SH_PS8_SI_PKS8_
; %bb.0:
	s_load_dword s0, s[4:5], 0x0
	s_load_dwordx2 s[64:65], s[4:5], 0x0
	s_load_dwordx4 s[8:11], s[4:5], 0xb8
	s_load_dwordx4 s[12:15], s[4:5], 0x8
	s_load_dword s33, s[4:5], 0x18
	s_waitcnt lgkmcnt(0)
	s_bitcmp1_b32 s0, 0
	s_cselect_b64 s[62:63], -1, 0
	s_bitcmp1_b32 s0, 8
                                        ; implicit-def: $vgpr61 : SGPR spill to VGPR lane
	s_cselect_b64 s[60:61], -1, 0
	s_bitcmp1_b32 s64, 16
	v_writelane_b32 v61, s12, 0
	s_cselect_b64 s[34:35], -1, 0
	v_lshrrev_b32_e32 v37, 6, v0
	s_lshl_b32 s29, s6, 10
	v_writelane_b32 v61, s13, 1
	v_or_b32_e32 v39, s29, v37
	v_mov_b32_e32 v1, 0
	s_cmp_gt_i32 s65, 0
	v_mov_b32_e32 v15, 0
	v_mov_b32_e32 v13, 0
	v_writelane_b32 v61, s14, 2
	v_and_b32_e32 v38, 63, v0
	v_lshlrev_b32_e32 v40, 3, v0
	s_mov_b32 s54, 0
	v_mov_b32_e32 v2, v1
	v_cmp_gt_i32_e32 vcc, s33, v39
	s_cselect_b64 s[0:1], -1, 0
	v_mov_b32_e32 v16, 0
	v_mov_b32_e32 v14, 0
	v_writelane_b32 v61, s15, 3
	ds_write_b64 v40, v[1:2]
	s_waitcnt lgkmcnt(0)
	s_barrier
	s_and_b64 s[0:1], s[0:1], vcc
	s_mov_b64 s[2:3], exec
	v_writelane_b32 v61, s2, 4
	s_and_b64 s[0:1], s[2:3], s[0:1]
	v_writelane_b32 v61, s3, 5
	s_mov_b64 exec, s[0:1]
	s_cbranch_execz .LBB55_168
; %bb.1:
	v_writelane_b32 v61, s8, 6
	s_load_dwordx2 s[68:69], s[4:5], 0xc8
	s_load_dwordx4 s[56:59], s[4:5], 0xa8
	s_load_dwordx8 s[20:27], s[4:5], 0x78
	s_load_dwordx8 s[36:43], s[4:5], 0x48
	v_writelane_b32 v61, s9, 7
	s_load_dword s55, s[4:5], 0x40
	s_load_dwordx2 s[72:73], s[4:5], 0x68
	s_load_dword s64, s[4:5], 0x70
	s_load_dwordx2 s[74:75], s[4:5], 0x98
	s_load_dword s28, s[4:5], 0xa0
	v_writelane_b32 v61, s10, 8
	s_load_dwordx8 s[44:51], s[4:5], 0x20
	v_writelane_b32 v61, s11, 9
	s_xor_b64 s[0:1], s[60:61], -1
	v_writelane_b32 v61, s0, 10
	s_and_b64 s[14:15], s[60:61], s[34:35]
	v_writelane_b32 v61, s1, 11
	s_addk_i32 s29, 0x400
	s_xor_b64 s[14:15], s[14:15], -1
	v_mov_b32_e32 v13, 0
	s_mov_b32 s80, 0
	v_mov_b32_e32 v15, 0
	s_waitcnt lgkmcnt(0)
	v_subrev_u32_e32 v41, s55, v38
	v_cmp_gt_u32_e64 s[0:1], s29, v39
	v_cmp_eq_u32_e64 s[2:3], 63, v38
	v_lshlrev_b32_e32 v42, 3, v37
	v_cmp_gt_u32_e64 s[18:19], 8, v0
	v_cmp_gt_u32_e64 s[6:7], 4, v0
	;; [unrolled: 1-line block ×3, first 2 shown]
	v_cmp_eq_u32_e64 s[10:11], 0, v0
	v_subrev_u32_e32 v43, s64, v38
	v_subrev_u32_e32 v44, s28, v38
	v_cmp_eq_u32_e64 s[12:13], 0, v38
	v_writelane_b32 v61, s14, 12
	v_mov_b32_e32 v14, 0
	s_mov_b64 s[78:79], 0
	v_mov_b32_e32 v18, 0
	s_brev_b32 s81, 8
	v_mov_b32_e32 v45, 0x260
	s_movk_i32 s30, 0x1f8
	v_mov_b32_e32 v46, 0x100
	v_mov_b32_e32 v16, 0
	v_mov_b32_e32 v47, 0xffffff80
	v_writelane_b32 v61, s15, 13
	s_branch .LBB55_3
.LBB55_2:                               ;   in Loop: Header=BB55_3 Depth=1
	s_or_b64 exec, exec, s[4:5]
	s_and_b64 s[4:5], exec, s[14:15]
	s_or_b64 s[78:79], s[4:5], s[78:79]
	s_andn2_b64 exec, exec, s[78:79]
	s_cbranch_execz .LBB55_167
.LBB55_3:                               ; =>This Loop Header: Depth=1
                                        ;     Child Loop BB55_7 Depth 2
                                        ;       Child Loop BB55_12 Depth 3
                                        ;         Child Loop BB55_16 Depth 4
                                        ;         Child Loop BB55_51 Depth 4
                                        ;         Child Loop BB55_67 Depth 4
                                        ;         Child Loop BB55_89 Depth 4
                                        ;         Child Loop BB55_102 Depth 4
                                        ;     Child Loop BB55_146 Depth 2
                                        ;       Child Loop BB55_149 Depth 3
                                        ;       Child Loop BB55_152 Depth 3
	s_mov_b32 s31, 0
	v_cndmask_b32_e64 v16, v16, 0, s[60:61]
	v_cndmask_b32_e64 v15, v15, 0, s[60:61]
	;; [unrolled: 1-line block ×4, first 2 shown]
	s_branch .LBB55_7
.LBB55_4:                               ;   in Loop: Header=BB55_7 Depth=2
	s_or_b64 exec, exec, s[84:85]
.LBB55_5:                               ;   in Loop: Header=BB55_7 Depth=2
	s_or_b64 exec, exec, s[82:83]
.LBB55_6:                               ;   in Loop: Header=BB55_7 Depth=2
	s_or_b64 exec, exec, s[4:5]
	s_add_i32 s31, s31, 1
	s_cmp_eq_u32 s31, 64
	s_cbranch_scc1 .LBB55_119
.LBB55_7:                               ;   Parent Loop BB55_3 Depth=1
                                        ; =>  This Loop Header: Depth=2
                                        ;       Child Loop BB55_12 Depth 3
                                        ;         Child Loop BB55_16 Depth 4
                                        ;         Child Loop BB55_51 Depth 4
	;; [unrolled: 1-line block ×5, first 2 shown]
	v_lshl_add_u32 v19, s31, 4, v39
	v_cmp_gt_i32_e32 vcc, s33, v19
	s_and_saveexec_b64 s[4:5], vcc
	s_cbranch_execz .LBB55_6
; %bb.8:                                ;   in Loop: Header=BB55_7 Depth=2
	v_ashrrev_i32_e32 v20, 31, v19
	v_lshlrev_b64 v[1:2], 2, v[19:20]
	v_mov_b32_e32 v4, s45
	v_add_co_u32_e32 v3, vcc, s44, v1
	v_addc_co_u32_e32 v4, vcc, v4, v2, vcc
	global_load_dword v5, v[3:4], off
	v_mov_b32_e32 v4, s47
	v_add_co_u32_e32 v3, vcc, s46, v1
	v_addc_co_u32_e32 v4, vcc, v4, v2, vcc
	global_load_dword v3, v[3:4], off
	s_waitcnt vmcnt(1)
	v_add_u32_e32 v20, v41, v5
	s_waitcnt vmcnt(0)
	v_subrev_u32_e32 v48, s55, v3
	v_cmp_lt_i32_e32 vcc, v20, v48
	s_and_saveexec_b64 s[82:83], vcc
	s_cbranch_execz .LBB55_5
; %bb.9:                                ;   in Loop: Header=BB55_7 Depth=2
	v_mov_b32_e32 v4, s39
	v_add_co_u32_e32 v3, vcc, s38, v1
	v_addc_co_u32_e32 v4, vcc, v4, v2, vcc
	v_mov_b32_e32 v5, s37
	v_add_co_u32_e32 v1, vcc, s36, v1
	v_addc_co_u32_e32 v2, vcc, v5, v2, vcc
	global_load_dword v1, v[1:2], off
	s_nop 0
	global_load_dword v2, v[3:4], off
	v_mov_b32_e32 v5, s41
	v_mov_b32_e32 v6, s43
	s_mov_b64 s[84:85], 0
	s_waitcnt vmcnt(1)
	v_subrev_u32_e32 v22, s64, v1
	v_ashrrev_i32_e32 v23, 31, v22
	s_waitcnt vmcnt(0)
	v_sub_u32_e32 v49, v2, v1
	v_lshlrev_b64 v[1:2], 2, v[22:23]
	v_lshlrev_b64 v[3:4], 4, v[22:23]
	v_add_co_u32_e32 v50, vcc, s40, v1
	v_addc_co_u32_e32 v51, vcc, v5, v2, vcc
	v_add_co_u32_e32 v52, vcc, s42, v3
	v_cmp_lt_i32_e64 s[14:15], 0, v49
	v_addc_co_u32_e32 v53, vcc, v6, v4, vcc
	s_branch .LBB55_12
.LBB55_10:                              ;   in Loop: Header=BB55_12 Depth=3
	s_or_b64 exec, exec, s[52:53]
.LBB55_11:                              ;   in Loop: Header=BB55_12 Depth=3
	s_or_b64 exec, exec, s[16:17]
	v_add_u32_e32 v20, 64, v20
	v_cmp_ge_i32_e32 vcc, v20, v48
	s_or_b64 s[84:85], vcc, s[84:85]
	s_andn2_b64 exec, exec, s[84:85]
	s_cbranch_execz .LBB55_4
.LBB55_12:                              ;   Parent Loop BB55_3 Depth=1
                                        ;     Parent Loop BB55_7 Depth=2
                                        ; =>    This Loop Header: Depth=3
                                        ;         Child Loop BB55_16 Depth 4
                                        ;         Child Loop BB55_51 Depth 4
	;; [unrolled: 1-line block ×5, first 2 shown]
	v_ashrrev_i32_e32 v21, 31, v20
	v_lshlrev_b64 v[1:2], 2, v[20:21]
	v_mov_b32_e32 v3, s49
	v_add_co_u32_e32 v1, vcc, s48, v1
	v_addc_co_u32_e32 v2, vcc, v3, v2, vcc
	global_load_dword v1, v[1:2], off
	v_mov_b32_e32 v4, s21
	v_mov_b32_e32 v5, s23
	;; [unrolled: 1-line block ×8, first 2 shown]
	s_waitcnt vmcnt(0)
	v_subrev_u32_e32 v23, s55, v1
	v_ashrrev_i32_e32 v24, 31, v23
	v_lshlrev_b64 v[1:2], 2, v[23:24]
	v_add_co_u32_e32 v3, vcc, s20, v1
	v_addc_co_u32_e32 v4, vcc, v4, v2, vcc
	v_add_co_u32_e32 v1, vcc, s22, v1
	v_addc_co_u32_e32 v2, vcc, v5, v2, vcc
	global_load_dword v3, v[3:4], off
	s_nop 0
	global_load_dword v1, v[1:2], off
	s_waitcnt vmcnt(1)
	v_subrev_u32_e32 v29, s28, v3
	s_waitcnt vmcnt(0)
	v_sub_u32_e32 v54, v1, v3
	s_and_saveexec_b64 s[16:17], s[14:15]
	s_cbranch_execz .LBB55_20
; %bb.13:                               ;   in Loop: Header=BB55_12 Depth=3
	v_ashrrev_i32_e32 v30, 31, v29
	v_lshlrev_b64 v[1:2], 2, v[29:30]
	v_mov_b32_e32 v3, s25
	v_add_co_u32_e32 v1, vcc, s24, v1
	v_addc_co_u32_e32 v2, vcc, v3, v2, vcc
	v_lshlrev_b64 v[3:4], 4, v[29:30]
	v_mov_b32_e32 v5, s27
	v_add_co_u32_e32 v3, vcc, s26, v3
	v_mov_b32_e32 v25, 0
	v_mov_b32_e32 v30, 0
	;; [unrolled: 1-line block ×3, first 2 shown]
	v_addc_co_u32_e32 v4, vcc, v5, v4, vcc
	v_mov_b32_e32 v26, 0
	s_mov_b64 s[86:87], 0
	v_mov_b32_e32 v28, 0
	v_mov_b32_e32 v17, v30
                                        ; implicit-def: $sgpr88_sgpr89
	s_branch .LBB55_16
.LBB55_14:                              ;   in Loop: Header=BB55_16 Depth=4
	s_or_b64 exec, exec, s[66:67]
	v_cmp_le_i32_e32 vcc, v5, v6
	v_addc_co_u32_e32 v17, vcc, 0, v17, vcc
	v_cmp_ge_i32_e32 vcc, v5, v6
	v_addc_co_u32_e32 v30, vcc, 0, v30, vcc
	v_cmp_ge_i32_e32 vcc, v17, v49
	s_andn2_b64 s[52:53], s[88:89], exec
	s_and_b64 s[66:67], vcc, exec
	s_or_b64 s[88:89], s[52:53], s[66:67]
.LBB55_15:                              ;   in Loop: Header=BB55_16 Depth=4
	s_or_b64 exec, exec, s[90:91]
	s_and_b64 s[52:53], exec, s[88:89]
	s_or_b64 s[86:87], s[52:53], s[86:87]
	s_andn2_b64 exec, exec, s[86:87]
	s_cbranch_execz .LBB55_19
.LBB55_16:                              ;   Parent Loop BB55_3 Depth=1
                                        ;     Parent Loop BB55_7 Depth=2
                                        ;       Parent Loop BB55_12 Depth=3
                                        ; =>      This Inner Loop Header: Depth=4
	v_cmp_lt_i32_e32 vcc, v30, v54
	s_or_b64 s[88:89], s[88:89], exec
	s_and_saveexec_b64 s[90:91], vcc
	s_cbranch_execz .LBB55_15
; %bb.17:                               ;   in Loop: Header=BB55_16 Depth=4
	v_lshlrev_b64 v[5:6], 2, v[17:18]
	v_mov_b32_e32 v31, v18
	v_add_co_u32_e32 v5, vcc, v50, v5
	v_addc_co_u32_e32 v6, vcc, v51, v6, vcc
	global_load_dword v7, v[5:6], off
	v_lshlrev_b64 v[5:6], 2, v[30:31]
	v_add_co_u32_e32 v5, vcc, v1, v5
	v_addc_co_u32_e32 v6, vcc, v2, v6, vcc
	global_load_dword v6, v[5:6], off
	s_waitcnt vmcnt(1)
	v_subrev_u32_e32 v5, s64, v7
	s_waitcnt vmcnt(0)
	v_subrev_u32_e32 v6, s28, v6
	v_cmp_eq_u32_e32 vcc, v5, v6
	s_and_saveexec_b64 s[66:67], vcc
	s_cbranch_execz .LBB55_14
; %bb.18:                               ;   in Loop: Header=BB55_16 Depth=4
	v_lshlrev_b64 v[7:8], 4, v[17:18]
	v_lshlrev_b64 v[11:12], 4, v[30:31]
	v_add_co_u32_e32 v7, vcc, v52, v7
	v_addc_co_u32_e32 v8, vcc, v53, v8, vcc
	v_add_co_u32_e32 v11, vcc, v3, v11
	v_addc_co_u32_e32 v12, vcc, v4, v12, vcc
	global_load_dwordx4 v[7:10], v[7:8], off
	s_nop 0
	global_load_dwordx4 v[31:34], v[11:12], off
	s_waitcnt vmcnt(0)
	v_fma_f64 v[11:12], v[7:8], v[31:32], v[25:26]
	v_fma_f64 v[27:28], v[9:10], v[31:32], v[27:28]
	v_fma_f64 v[25:26], -v[9:10], v[33:34], v[11:12]
	v_fma_f64 v[27:28], v[7:8], v[33:34], v[27:28]
	s_branch .LBB55_14
.LBB55_19:                              ;   in Loop: Header=BB55_12 Depth=3
	s_or_b64 exec, exec, s[86:87]
.LBB55_20:                              ;   in Loop: Header=BB55_12 Depth=3
	s_or_b64 exec, exec, s[16:17]
	v_lshlrev_b64 v[1:2], 4, v[20:21]
	v_mov_b32_e32 v3, s51
	v_add_co_u32_e32 v1, vcc, s50, v1
	v_addc_co_u32_e32 v2, vcc, v3, v2, vcc
	global_load_dwordx4 v[1:4], v[1:2], off
	v_cmp_le_i32_e64 s[16:17], v19, v23
	v_cmp_gt_i32_e32 vcc, v19, v23
	s_waitcnt vmcnt(0)
	v_add_f64 v[5:6], v[1:2], -v[25:26]
	v_add_f64 v[7:8], v[3:4], -v[27:28]
	s_and_saveexec_b64 s[86:87], vcc
	s_cbranch_execz .LBB55_30
; %bb.21:                               ;   in Loop: Header=BB55_12 Depth=3
	v_lshlrev_b64 v[9:10], 4, v[23:24]
	v_mov_b32_e32 v11, s57
	v_add_co_u32_e32 v9, vcc, s56, v9
	v_addc_co_u32_e32 v10, vcc, v11, v10, vcc
	global_load_dwordx4 v[9:12], v[9:10], off
                                        ; implicit-def: $vgpr35_vgpr36
	s_waitcnt vmcnt(0)
	v_cmp_gt_f64_e32 vcc, 0, v[9:10]
	v_xor_b32_e32 v21, 0x80000000, v10
	v_xor_b32_e32 v33, 0x80000000, v12
	v_mov_b32_e32 v31, v9
	v_cndmask_b32_e32 v32, v10, v21, vcc
	v_cmp_gt_f64_e32 vcc, 0, v[11:12]
	v_cndmask_b32_e32 v34, v12, v33, vcc
	v_mov_b32_e32 v33, v11
	v_cmp_ngt_f64_e32 vcc, v[31:32], v[33:34]
	s_and_saveexec_b64 s[52:53], vcc
	s_xor_b64 s[66:67], exec, s[52:53]
	s_cbranch_execz .LBB55_25
; %bb.22:                               ;   in Loop: Header=BB55_12 Depth=3
	v_cmp_neq_f64_e32 vcc, 0, v[11:12]
	v_mov_b32_e32 v35, 0
	v_mov_b32_e32 v36, 0
	s_and_saveexec_b64 s[70:71], vcc
	s_cbranch_execz .LBB55_24
; %bb.23:                               ;   in Loop: Header=BB55_12 Depth=3
	v_div_scale_f64 v[35:36], s[52:53], v[33:34], v[33:34], v[31:32]
	v_rcp_f64_e32 v[55:56], v[35:36]
	v_fma_f64 v[57:58], -v[35:36], v[55:56], 1.0
	v_fma_f64 v[55:56], v[55:56], v[57:58], v[55:56]
	v_div_scale_f64 v[57:58], vcc, v[31:32], v[33:34], v[31:32]
	v_fma_f64 v[59:60], -v[35:36], v[55:56], 1.0
	v_fma_f64 v[55:56], v[55:56], v[59:60], v[55:56]
	v_mul_f64 v[59:60], v[57:58], v[55:56]
	v_fma_f64 v[35:36], -v[35:36], v[59:60], v[57:58]
	v_div_fmas_f64 v[35:36], v[35:36], v[55:56], v[59:60]
	v_div_fixup_f64 v[31:32], v[35:36], v[33:34], v[31:32]
	v_fma_f64 v[31:32], v[31:32], v[31:32], 1.0
	v_cmp_gt_f64_e32 vcc, s[80:81], v[31:32]
	v_cndmask_b32_e32 v21, 0, v46, vcc
	v_ldexp_f64 v[31:32], v[31:32], v21
	v_cndmask_b32_e32 v21, 0, v47, vcc
	v_rsq_f64_e32 v[35:36], v[31:32]
	v_cmp_class_f64_e32 vcc, v[31:32], v45
	v_mul_f64 v[55:56], v[31:32], v[35:36]
	v_mul_f64 v[35:36], v[35:36], 0.5
	v_fma_f64 v[57:58], -v[35:36], v[55:56], 0.5
	v_fma_f64 v[55:56], v[55:56], v[57:58], v[55:56]
	v_fma_f64 v[35:36], v[35:36], v[57:58], v[35:36]
	v_fma_f64 v[57:58], -v[55:56], v[55:56], v[31:32]
	v_fma_f64 v[55:56], v[57:58], v[35:36], v[55:56]
	v_fma_f64 v[57:58], -v[55:56], v[55:56], v[31:32]
	v_fma_f64 v[35:36], v[57:58], v[35:36], v[55:56]
	v_ldexp_f64 v[35:36], v[35:36], v21
	v_cndmask_b32_e32 v32, v36, v32, vcc
	v_cndmask_b32_e32 v31, v35, v31, vcc
	v_mul_f64 v[35:36], v[33:34], v[31:32]
.LBB55_24:                              ;   in Loop: Header=BB55_12 Depth=3
	s_or_b64 exec, exec, s[70:71]
                                        ; implicit-def: $vgpr31_vgpr32
                                        ; implicit-def: $vgpr33_vgpr34
.LBB55_25:                              ;   in Loop: Header=BB55_12 Depth=3
	s_andn2_saveexec_b64 s[66:67], s[66:67]
	s_cbranch_execz .LBB55_27
; %bb.26:                               ;   in Loop: Header=BB55_12 Depth=3
	v_div_scale_f64 v[35:36], s[52:53], v[31:32], v[31:32], v[33:34]
	v_rcp_f64_e32 v[55:56], v[35:36]
	v_fma_f64 v[57:58], -v[35:36], v[55:56], 1.0
	v_fma_f64 v[55:56], v[55:56], v[57:58], v[55:56]
	v_div_scale_f64 v[57:58], vcc, v[33:34], v[31:32], v[33:34]
	v_fma_f64 v[59:60], -v[35:36], v[55:56], 1.0
	v_fma_f64 v[55:56], v[55:56], v[59:60], v[55:56]
	v_mul_f64 v[59:60], v[57:58], v[55:56]
	v_fma_f64 v[35:36], -v[35:36], v[59:60], v[57:58]
	v_div_fmas_f64 v[35:36], v[35:36], v[55:56], v[59:60]
	v_div_fixup_f64 v[33:34], v[35:36], v[31:32], v[33:34]
	v_fma_f64 v[33:34], v[33:34], v[33:34], 1.0
	v_cmp_gt_f64_e32 vcc, s[80:81], v[33:34]
	v_cndmask_b32_e32 v21, 0, v46, vcc
	v_ldexp_f64 v[33:34], v[33:34], v21
	v_cndmask_b32_e32 v21, 0, v47, vcc
	v_rsq_f64_e32 v[35:36], v[33:34]
	v_cmp_class_f64_e32 vcc, v[33:34], v45
	v_mul_f64 v[55:56], v[33:34], v[35:36]
	v_mul_f64 v[35:36], v[35:36], 0.5
	v_fma_f64 v[57:58], -v[35:36], v[55:56], 0.5
	v_fma_f64 v[55:56], v[55:56], v[57:58], v[55:56]
	v_fma_f64 v[35:36], v[35:36], v[57:58], v[35:36]
	v_fma_f64 v[57:58], -v[55:56], v[55:56], v[33:34]
	v_fma_f64 v[55:56], v[57:58], v[35:36], v[55:56]
	v_fma_f64 v[57:58], -v[55:56], v[55:56], v[33:34]
	v_fma_f64 v[35:36], v[57:58], v[35:36], v[55:56]
	v_ldexp_f64 v[35:36], v[35:36], v21
	v_cndmask_b32_e32 v34, v36, v34, vcc
	v_cndmask_b32_e32 v33, v35, v33, vcc
	v_mul_f64 v[35:36], v[31:32], v[33:34]
.LBB55_27:                              ;   in Loop: Header=BB55_12 Depth=3
	s_or_b64 exec, exec, s[66:67]
	v_cmp_lt_f64_e32 vcc, 0, v[35:36]
	v_mov_b32_e32 v31, 0
	v_mov_b32_e32 v33, 0
	;; [unrolled: 1-line block ×4, first 2 shown]
	s_and_saveexec_b64 s[66:67], vcc
	s_cbranch_execz .LBB55_29
; %bb.28:                               ;   in Loop: Header=BB55_12 Depth=3
	v_mul_f64 v[31:32], v[11:12], v[11:12]
	v_fma_f64 v[31:32], v[9:10], v[9:10], v[31:32]
	v_div_scale_f64 v[33:34], s[52:53], v[31:32], v[31:32], 1.0
	v_rcp_f64_e32 v[35:36], v[33:34]
	v_fma_f64 v[55:56], -v[33:34], v[35:36], 1.0
	v_fma_f64 v[35:36], v[35:36], v[55:56], v[35:36]
	v_div_scale_f64 v[55:56], vcc, 1.0, v[31:32], 1.0
	v_fma_f64 v[57:58], -v[33:34], v[35:36], 1.0
	v_fma_f64 v[35:36], v[35:36], v[57:58], v[35:36]
	v_mul_f64 v[57:58], v[55:56], v[35:36]
	v_fma_f64 v[33:34], -v[33:34], v[57:58], v[55:56]
	v_div_fmas_f64 v[33:34], v[33:34], v[35:36], v[57:58]
	v_mul_f64 v[35:36], v[7:8], v[11:12]
	v_mul_f64 v[11:12], v[11:12], -v[5:6]
	v_fma_f64 v[5:6], v[5:6], v[9:10], v[35:36]
	v_fma_f64 v[7:8], v[7:8], v[9:10], v[11:12]
	v_div_fixup_f64 v[31:32], v[33:34], v[31:32], 1.0
	v_mul_f64 v[33:34], v[5:6], v[31:32]
	v_mul_f64 v[31:32], v[7:8], v[31:32]
.LBB55_29:                              ;   in Loop: Header=BB55_12 Depth=3
	s_or_b64 exec, exec, s[66:67]
	v_mov_b32_e32 v7, v31
	v_mov_b32_e32 v5, v33
	;; [unrolled: 1-line block ×4, first 2 shown]
.LBB55_30:                              ;   in Loop: Header=BB55_12 Depth=3
	s_or_b64 exec, exec, s[86:87]
	v_cmp_gt_f64_e32 vcc, 0, v[5:6]
	v_xor_b32_e32 v9, 0x80000000, v6
	v_xor_b32_e32 v11, 0x80000000, v8
                                        ; implicit-def: $vgpr31_vgpr32
	v_cndmask_b32_e32 v10, v6, v9, vcc
	v_cmp_gt_f64_e32 vcc, 0, v[7:8]
	v_mov_b32_e32 v9, v5
	v_cndmask_b32_e32 v12, v8, v11, vcc
	v_mov_b32_e32 v11, v7
	v_cmp_ngt_f64_e32 vcc, v[9:10], v[11:12]
	s_and_saveexec_b64 s[52:53], vcc
	s_xor_b64 s[66:67], exec, s[52:53]
	s_cbranch_execnz .LBB55_34
; %bb.31:                               ;   in Loop: Header=BB55_12 Depth=3
	s_andn2_saveexec_b64 s[66:67], s[66:67]
	s_cbranch_execnz .LBB55_37
.LBB55_32:                              ;   in Loop: Header=BB55_12 Depth=3
	s_or_b64 exec, exec, s[66:67]
	v_cmp_class_f64_e64 s[86:87], v[31:32], s30
	s_and_saveexec_b64 s[88:89], s[86:87]
	s_cbranch_execnz .LBB55_38
.LBB55_33:                              ;   in Loop: Header=BB55_12 Depth=3
	s_or_b64 exec, exec, s[88:89]
	s_and_b64 s[52:53], s[34:35], s[86:87]
	s_and_saveexec_b64 s[16:17], s[52:53]
	s_cbranch_execz .LBB55_11
	s_branch .LBB55_79
.LBB55_34:                              ;   in Loop: Header=BB55_12 Depth=3
	v_cmp_neq_f64_e32 vcc, 0, v[7:8]
	v_mov_b32_e32 v31, 0
	v_mov_b32_e32 v32, 0
	s_and_saveexec_b64 s[70:71], vcc
	s_cbranch_execz .LBB55_36
; %bb.35:                               ;   in Loop: Header=BB55_12 Depth=3
	v_div_scale_f64 v[31:32], s[52:53], v[11:12], v[11:12], v[9:10]
	v_rcp_f64_e32 v[33:34], v[31:32]
	v_fma_f64 v[35:36], -v[31:32], v[33:34], 1.0
	v_fma_f64 v[33:34], v[33:34], v[35:36], v[33:34]
	v_div_scale_f64 v[35:36], vcc, v[9:10], v[11:12], v[9:10]
	v_fma_f64 v[55:56], -v[31:32], v[33:34], 1.0
	v_fma_f64 v[33:34], v[33:34], v[55:56], v[33:34]
	v_mul_f64 v[55:56], v[35:36], v[33:34]
	v_fma_f64 v[31:32], -v[31:32], v[55:56], v[35:36]
	v_div_fmas_f64 v[31:32], v[31:32], v[33:34], v[55:56]
	v_div_fixup_f64 v[9:10], v[31:32], v[11:12], v[9:10]
	v_fma_f64 v[9:10], v[9:10], v[9:10], 1.0
	v_cmp_gt_f64_e32 vcc, s[80:81], v[9:10]
	v_cndmask_b32_e32 v21, 0, v46, vcc
	v_ldexp_f64 v[9:10], v[9:10], v21
	v_cndmask_b32_e32 v21, 0, v47, vcc
	v_rsq_f64_e32 v[31:32], v[9:10]
	v_cmp_class_f64_e32 vcc, v[9:10], v45
	v_mul_f64 v[33:34], v[9:10], v[31:32]
	v_mul_f64 v[31:32], v[31:32], 0.5
	v_fma_f64 v[35:36], -v[31:32], v[33:34], 0.5
	v_fma_f64 v[33:34], v[33:34], v[35:36], v[33:34]
	v_fma_f64 v[31:32], v[31:32], v[35:36], v[31:32]
	v_fma_f64 v[35:36], -v[33:34], v[33:34], v[9:10]
	v_fma_f64 v[33:34], v[35:36], v[31:32], v[33:34]
	v_fma_f64 v[35:36], -v[33:34], v[33:34], v[9:10]
	v_fma_f64 v[31:32], v[35:36], v[31:32], v[33:34]
	v_ldexp_f64 v[31:32], v[31:32], v21
	v_cndmask_b32_e32 v10, v32, v10, vcc
	v_cndmask_b32_e32 v9, v31, v9, vcc
	v_mul_f64 v[31:32], v[11:12], v[9:10]
.LBB55_36:                              ;   in Loop: Header=BB55_12 Depth=3
	s_or_b64 exec, exec, s[70:71]
                                        ; implicit-def: $vgpr9_vgpr10
                                        ; implicit-def: $vgpr11_vgpr12
	s_andn2_saveexec_b64 s[66:67], s[66:67]
	s_cbranch_execz .LBB55_32
.LBB55_37:                              ;   in Loop: Header=BB55_12 Depth=3
	v_div_scale_f64 v[31:32], s[52:53], v[9:10], v[9:10], v[11:12]
	v_rcp_f64_e32 v[33:34], v[31:32]
	v_fma_f64 v[35:36], -v[31:32], v[33:34], 1.0
	v_fma_f64 v[33:34], v[33:34], v[35:36], v[33:34]
	v_div_scale_f64 v[35:36], vcc, v[11:12], v[9:10], v[11:12]
	v_fma_f64 v[55:56], -v[31:32], v[33:34], 1.0
	v_fma_f64 v[33:34], v[33:34], v[55:56], v[33:34]
	v_mul_f64 v[55:56], v[35:36], v[33:34]
	v_fma_f64 v[31:32], -v[31:32], v[55:56], v[35:36]
	v_div_fmas_f64 v[31:32], v[31:32], v[33:34], v[55:56]
	v_div_fixup_f64 v[11:12], v[31:32], v[9:10], v[11:12]
	v_fma_f64 v[11:12], v[11:12], v[11:12], 1.0
	v_cmp_gt_f64_e32 vcc, s[80:81], v[11:12]
	v_cndmask_b32_e32 v21, 0, v46, vcc
	v_ldexp_f64 v[11:12], v[11:12], v21
	v_cndmask_b32_e32 v21, 0, v47, vcc
	v_rsq_f64_e32 v[31:32], v[11:12]
	v_cmp_class_f64_e32 vcc, v[11:12], v45
	v_mul_f64 v[33:34], v[11:12], v[31:32]
	v_mul_f64 v[31:32], v[31:32], 0.5
	v_fma_f64 v[35:36], -v[31:32], v[33:34], 0.5
	v_fma_f64 v[33:34], v[33:34], v[35:36], v[33:34]
	v_fma_f64 v[31:32], v[31:32], v[35:36], v[31:32]
	v_fma_f64 v[35:36], -v[33:34], v[33:34], v[11:12]
	v_fma_f64 v[33:34], v[35:36], v[31:32], v[33:34]
	v_fma_f64 v[35:36], -v[33:34], v[33:34], v[11:12]
	v_fma_f64 v[31:32], v[35:36], v[31:32], v[33:34]
	v_ldexp_f64 v[31:32], v[31:32], v21
	v_cndmask_b32_e32 v12, v32, v12, vcc
	v_cndmask_b32_e32 v11, v31, v11, vcc
	v_mul_f64 v[31:32], v[9:10], v[11:12]
	s_or_b64 exec, exec, s[66:67]
	v_cmp_class_f64_e64 s[86:87], v[31:32], s30
	s_and_saveexec_b64 s[88:89], s[86:87]
	s_cbranch_execz .LBB55_33
.LBB55_38:                              ;   in Loop: Header=BB55_12 Depth=3
	s_and_saveexec_b64 s[52:53], s[16:17]
	s_xor_b64 s[16:17], exec, s[52:53]
	s_cbranch_execz .LBB55_63
; %bb.39:                               ;   in Loop: Header=BB55_12 Depth=3
	v_cmp_ge_i32_e32 vcc, v19, v23
	s_and_saveexec_b64 s[52:53], vcc
	s_xor_b64 s[90:91], exec, s[52:53]
	s_cbranch_execz .LBB55_47
; %bb.40:                               ;   in Loop: Header=BB55_12 Depth=3
	v_lshlrev_b64 v[9:10], 4, v[23:24]
	v_mov_b32_e32 v12, s59
	v_add_co_u32_e32 v11, vcc, s58, v9
	v_addc_co_u32_e32 v12, vcc, v12, v10, vcc
	s_andn2_b64 vcc, exec, s[60:61]
	global_store_dwordx4 v[11:12], v[5:8], off
	s_cbranch_vccnz .LBB55_46
; %bb.41:                               ;   in Loop: Header=BB55_12 Depth=3
	v_mov_b32_e32 v11, s57
	v_add_co_u32_e32 v9, vcc, s56, v9
	v_addc_co_u32_e32 v10, vcc, v11, v10, vcc
	global_load_dwordx4 v[9:12], v[9:10], off
	s_waitcnt vmcnt(0)
	v_add_f64 v[5:6], v[9:10], -v[5:6]
	v_add_f64 v[11:12], v[11:12], -v[7:8]
                                        ; implicit-def: $vgpr9_vgpr10
	v_cmp_gt_f64_e32 vcc, 0, v[5:6]
	v_xor_b32_e32 v7, 0x80000000, v6
	v_xor_b32_e32 v8, 0x80000000, v12
	v_cndmask_b32_e32 v6, v6, v7, vcc
	v_cmp_gt_f64_e32 vcc, 0, v[11:12]
	v_mov_b32_e32 v7, v11
	v_cndmask_b32_e32 v8, v12, v8, vcc
	v_cmp_ngt_f64_e32 vcc, v[5:6], v[7:8]
	s_and_saveexec_b64 s[52:53], vcc
	s_xor_b64 s[66:67], exec, s[52:53]
	s_cbranch_execnz .LBB55_107
; %bb.42:                               ;   in Loop: Header=BB55_12 Depth=3
	s_andn2_saveexec_b64 s[66:67], s[66:67]
	s_cbranch_execnz .LBB55_110
.LBB55_43:                              ;   in Loop: Header=BB55_12 Depth=3
	s_or_b64 exec, exec, s[66:67]
	v_cmp_class_f64_e64 s[66:67], v[9:10], s30
	s_and_saveexec_b64 s[52:53], s[66:67]
	s_cbranch_execz .LBB55_45
.LBB55_44:                              ;   in Loop: Header=BB55_12 Depth=3
	v_cmp_lt_f64_e32 vcc, v[15:16], v[9:10]
	v_cndmask_b32_e32 v16, v16, v10, vcc
	v_cndmask_b32_e32 v15, v15, v9, vcc
.LBB55_45:                              ;   in Loop: Header=BB55_12 Depth=3
	s_or_b64 exec, exec, s[52:53]
.LBB55_46:                              ;   in Loop: Header=BB55_12 Depth=3
                                        ; implicit-def: $vgpr5_vgpr6
.LBB55_47:                              ;   in Loop: Header=BB55_12 Depth=3
	s_andn2_saveexec_b64 s[90:91], s[90:91]
	s_cbranch_execz .LBB55_62
; %bb.48:                               ;   in Loop: Header=BB55_12 Depth=3
	v_cmp_lt_i32_e32 vcc, v30, v54
	s_and_saveexec_b64 s[92:93], vcc
	s_cbranch_execz .LBB55_61
; %bb.49:                               ;   in Loop: Header=BB55_12 Depth=3
	s_mov_b64 s[94:95], 0
	v_mov_b32_e32 v11, v30
                                        ; implicit-def: $sgpr66_sgpr67
                                        ; implicit-def: $sgpr76_sgpr77
                                        ; implicit-def: $sgpr70_sgpr71
	s_branch .LBB55_51
.LBB55_50:                              ;   in Loop: Header=BB55_51 Depth=4
	s_or_b64 exec, exec, s[52:53]
	s_and_b64 s[52:53], exec, s[76:77]
	s_or_b64 s[94:95], s[52:53], s[94:95]
	s_andn2_b64 s[52:53], s[66:67], exec
	s_and_b64 s[66:67], s[70:71], exec
	s_or_b64 s[66:67], s[52:53], s[66:67]
	s_andn2_b64 exec, exec, s[94:95]
	s_cbranch_execz .LBB55_53
.LBB55_51:                              ;   Parent Loop BB55_3 Depth=1
                                        ;     Parent Loop BB55_7 Depth=2
                                        ;       Parent Loop BB55_12 Depth=3
                                        ; =>      This Inner Loop Header: Depth=4
	v_add_u32_e32 v9, v29, v11
	v_ashrrev_i32_e32 v10, 31, v9
	v_lshlrev_b64 v[31:32], 2, v[9:10]
	v_mov_b32_e32 v12, s25
	v_add_co_u32_e32 v31, vcc, s24, v31
	v_addc_co_u32_e32 v32, vcc, v12, v32, vcc
	global_load_dword v12, v[31:32], off
	s_or_b64 s[70:71], s[70:71], exec
	s_or_b64 s[76:77], s[76:77], exec
	s_waitcnt vmcnt(0)
	v_subrev_u32_e32 v12, s28, v12
	v_cmp_ne_u32_e32 vcc, v12, v19
	s_and_saveexec_b64 s[52:53], vcc
	s_cbranch_execz .LBB55_50
; %bb.52:                               ;   in Loop: Header=BB55_51 Depth=4
	v_add_u32_e32 v11, 1, v11
	v_cmp_ge_i32_e32 vcc, v11, v54
	s_andn2_b64 s[76:77], s[76:77], exec
	s_and_b64 vcc, vcc, exec
	s_andn2_b64 s[70:71], s[70:71], exec
	s_or_b64 s[76:77], s[76:77], vcc
	s_branch .LBB55_50
.LBB55_53:                              ;   in Loop: Header=BB55_12 Depth=3
	s_or_b64 exec, exec, s[94:95]
	s_and_saveexec_b64 s[52:53], s[66:67]
	s_xor_b64 s[94:95], exec, s[52:53]
	s_cbranch_execz .LBB55_60
; %bb.54:                               ;   in Loop: Header=BB55_12 Depth=3
	v_lshlrev_b64 v[9:10], 4, v[9:10]
	v_mov_b32_e32 v12, s75
	v_add_co_u32_e32 v11, vcc, s74, v9
	v_addc_co_u32_e32 v12, vcc, v12, v10, vcc
	s_andn2_b64 vcc, exec, s[60:61]
	global_store_dwordx4 v[11:12], v[5:8], off
	s_cbranch_vccnz .LBB55_60
; %bb.55:                               ;   in Loop: Header=BB55_12 Depth=3
	v_mov_b32_e32 v11, s27
	v_add_co_u32_e32 v9, vcc, s26, v9
	v_addc_co_u32_e32 v10, vcc, v11, v10, vcc
	global_load_dwordx4 v[9:12], v[9:10], off
	s_waitcnt vmcnt(0)
	v_add_f64 v[5:6], v[9:10], -v[5:6]
	v_add_f64 v[11:12], v[11:12], -v[7:8]
                                        ; implicit-def: $vgpr9_vgpr10
	v_cmp_gt_f64_e32 vcc, 0, v[5:6]
	v_xor_b32_e32 v7, 0x80000000, v6
	v_xor_b32_e32 v8, 0x80000000, v12
	v_cndmask_b32_e32 v6, v6, v7, vcc
	v_cmp_gt_f64_e32 vcc, 0, v[11:12]
	v_mov_b32_e32 v7, v11
	v_cndmask_b32_e32 v8, v12, v8, vcc
	v_cmp_ngt_f64_e32 vcc, v[5:6], v[7:8]
	s_and_saveexec_b64 s[52:53], vcc
	s_xor_b64 s[66:67], exec, s[52:53]
	s_cbranch_execnz .LBB55_115
; %bb.56:                               ;   in Loop: Header=BB55_12 Depth=3
	s_andn2_saveexec_b64 s[66:67], s[66:67]
	s_cbranch_execnz .LBB55_118
.LBB55_57:                              ;   in Loop: Header=BB55_12 Depth=3
	s_or_b64 exec, exec, s[66:67]
	v_cmp_class_f64_e64 s[66:67], v[9:10], s30
	s_and_saveexec_b64 s[52:53], s[66:67]
	s_cbranch_execz .LBB55_59
.LBB55_58:                              ;   in Loop: Header=BB55_12 Depth=3
	v_cmp_lt_f64_e32 vcc, v[15:16], v[9:10]
	v_cndmask_b32_e32 v16, v16, v10, vcc
	v_cndmask_b32_e32 v15, v15, v9, vcc
.LBB55_59:                              ;   in Loop: Header=BB55_12 Depth=3
	s_or_b64 exec, exec, s[52:53]
.LBB55_60:                              ;   in Loop: Header=BB55_12 Depth=3
	s_or_b64 exec, exec, s[94:95]
.LBB55_61:                              ;   in Loop: Header=BB55_12 Depth=3
	s_or_b64 exec, exec, s[92:93]
.LBB55_62:                              ;   in Loop: Header=BB55_12 Depth=3
	s_or_b64 exec, exec, s[90:91]
                                        ; implicit-def: $vgpr5_vgpr6
.LBB55_63:                              ;   in Loop: Header=BB55_12 Depth=3
	s_andn2_saveexec_b64 s[16:17], s[16:17]
	s_cbranch_execz .LBB55_78
; %bb.64:                               ;   in Loop: Header=BB55_12 Depth=3
	v_cmp_lt_i32_e32 vcc, v17, v49
	s_and_saveexec_b64 s[90:91], vcc
	s_cbranch_execz .LBB55_77
; %bb.65:                               ;   in Loop: Header=BB55_12 Depth=3
	s_mov_b64 s[92:93], 0
	v_mov_b32_e32 v11, v17
                                        ; implicit-def: $sgpr66_sgpr67
                                        ; implicit-def: $sgpr76_sgpr77
                                        ; implicit-def: $sgpr70_sgpr71
	s_branch .LBB55_67
.LBB55_66:                              ;   in Loop: Header=BB55_67 Depth=4
	s_or_b64 exec, exec, s[94:95]
	s_and_b64 s[52:53], exec, s[76:77]
	s_or_b64 s[92:93], s[52:53], s[92:93]
	s_andn2_b64 s[52:53], s[66:67], exec
	s_and_b64 s[66:67], s[70:71], exec
	s_or_b64 s[66:67], s[52:53], s[66:67]
	s_andn2_b64 exec, exec, s[92:93]
	s_cbranch_execz .LBB55_69
.LBB55_67:                              ;   Parent Loop BB55_3 Depth=1
                                        ;     Parent Loop BB55_7 Depth=2
                                        ;       Parent Loop BB55_12 Depth=3
                                        ; =>      This Inner Loop Header: Depth=4
	v_add_u32_e32 v9, v22, v11
	v_ashrrev_i32_e32 v10, 31, v9
	v_lshlrev_b64 v[31:32], 2, v[9:10]
	v_mov_b32_e32 v12, s41
	v_add_co_u32_e32 v31, vcc, s40, v31
	v_addc_co_u32_e32 v32, vcc, v12, v32, vcc
	global_load_dword v12, v[31:32], off
	s_or_b64 s[70:71], s[70:71], exec
	s_or_b64 s[76:77], s[76:77], exec
	s_waitcnt vmcnt(0)
	v_subrev_u32_e32 v12, s64, v12
	v_cmp_ne_u32_e32 vcc, v12, v23
	s_and_saveexec_b64 s[94:95], vcc
	s_cbranch_execz .LBB55_66
; %bb.68:                               ;   in Loop: Header=BB55_67 Depth=4
	v_add_u32_e32 v11, 1, v11
	v_cmp_ge_i32_e32 vcc, v11, v49
	s_andn2_b64 s[52:53], s[76:77], exec
	s_and_b64 s[76:77], vcc, exec
	s_andn2_b64 s[70:71], s[70:71], exec
	s_or_b64 s[76:77], s[52:53], s[76:77]
	s_branch .LBB55_66
.LBB55_69:                              ;   in Loop: Header=BB55_12 Depth=3
	s_or_b64 exec, exec, s[92:93]
	s_and_saveexec_b64 s[52:53], s[66:67]
	s_xor_b64 s[92:93], exec, s[52:53]
	s_cbranch_execz .LBB55_76
; %bb.70:                               ;   in Loop: Header=BB55_12 Depth=3
	v_lshlrev_b64 v[9:10], 4, v[9:10]
	v_mov_b32_e32 v12, s73
	v_add_co_u32_e32 v11, vcc, s72, v9
	v_addc_co_u32_e32 v12, vcc, v12, v10, vcc
	s_andn2_b64 vcc, exec, s[60:61]
	global_store_dwordx4 v[11:12], v[5:8], off
	s_cbranch_vccnz .LBB55_76
; %bb.71:                               ;   in Loop: Header=BB55_12 Depth=3
	v_mov_b32_e32 v11, s43
	v_add_co_u32_e32 v9, vcc, s42, v9
	v_addc_co_u32_e32 v10, vcc, v11, v10, vcc
	global_load_dwordx4 v[9:12], v[9:10], off
	s_waitcnt vmcnt(0)
	v_add_f64 v[5:6], v[9:10], -v[5:6]
	v_add_f64 v[11:12], v[11:12], -v[7:8]
                                        ; implicit-def: $vgpr9_vgpr10
	v_cmp_gt_f64_e32 vcc, 0, v[5:6]
	v_xor_b32_e32 v7, 0x80000000, v6
	v_xor_b32_e32 v8, 0x80000000, v12
	v_cndmask_b32_e32 v6, v6, v7, vcc
	v_cmp_gt_f64_e32 vcc, 0, v[11:12]
	v_mov_b32_e32 v7, v11
	v_cndmask_b32_e32 v8, v12, v8, vcc
	v_cmp_ngt_f64_e32 vcc, v[5:6], v[7:8]
	s_and_saveexec_b64 s[52:53], vcc
	s_xor_b64 s[66:67], exec, s[52:53]
	s_cbranch_execnz .LBB55_111
; %bb.72:                               ;   in Loop: Header=BB55_12 Depth=3
	s_andn2_saveexec_b64 s[66:67], s[66:67]
	s_cbranch_execnz .LBB55_114
.LBB55_73:                              ;   in Loop: Header=BB55_12 Depth=3
	s_or_b64 exec, exec, s[66:67]
	v_cmp_class_f64_e64 s[66:67], v[9:10], s30
	s_and_saveexec_b64 s[52:53], s[66:67]
	s_cbranch_execz .LBB55_75
.LBB55_74:                              ;   in Loop: Header=BB55_12 Depth=3
	v_cmp_lt_f64_e32 vcc, v[15:16], v[9:10]
	v_cndmask_b32_e32 v16, v16, v10, vcc
	v_cndmask_b32_e32 v15, v15, v9, vcc
.LBB55_75:                              ;   in Loop: Header=BB55_12 Depth=3
	s_or_b64 exec, exec, s[52:53]
.LBB55_76:                              ;   in Loop: Header=BB55_12 Depth=3
	s_or_b64 exec, exec, s[92:93]
.LBB55_77:                              ;   in Loop: Header=BB55_12 Depth=3
	s_or_b64 exec, exec, s[90:91]
.LBB55_78:                              ;   in Loop: Header=BB55_12 Depth=3
	s_or_b64 exec, exec, s[16:17]
	s_or_b64 exec, exec, s[88:89]
	s_and_b64 s[52:53], s[34:35], s[86:87]
	s_and_saveexec_b64 s[16:17], s[52:53]
	s_cbranch_execz .LBB55_11
.LBB55_79:                              ;   in Loop: Header=BB55_12 Depth=3
	v_cmp_ge_i32_e32 vcc, v30, v54
	s_and_saveexec_b64 s[52:53], vcc
	s_xor_b64 s[86:87], exec, s[52:53]
	s_cbranch_execnz .LBB55_86
; %bb.80:                               ;   in Loop: Header=BB55_12 Depth=3
	s_andn2_saveexec_b64 s[86:87], s[86:87]
	s_cbranch_execnz .LBB55_100
.LBB55_81:                              ;   in Loop: Header=BB55_12 Depth=3
	s_or_b64 exec, exec, s[86:87]
	v_cmp_eq_u32_e32 vcc, v19, v23
	s_and_saveexec_b64 s[66:67], vcc
	s_cbranch_execz .LBB55_83
.LBB55_82:                              ;   in Loop: Header=BB55_12 Depth=3
	v_lshlrev_b64 v[5:6], 4, v[23:24]
	v_mov_b32_e32 v7, s57
	v_add_co_u32_e32 v5, vcc, s56, v5
	v_addc_co_u32_e32 v6, vcc, v7, v6, vcc
	global_load_dwordx4 v[5:8], v[5:6], off
	s_waitcnt vmcnt(0)
	v_add_f64 v[25:26], v[25:26], v[5:6]
	v_add_f64 v[27:28], v[27:28], v[7:8]
.LBB55_83:                              ;   in Loop: Header=BB55_12 Depth=3
	s_or_b64 exec, exec, s[66:67]
	v_add_f64 v[1:2], v[1:2], -v[25:26]
	v_add_f64 v[7:8], v[3:4], -v[27:28]
                                        ; implicit-def: $vgpr5_vgpr6
	v_cmp_gt_f64_e32 vcc, 0, v[1:2]
	v_xor_b32_e32 v3, 0x80000000, v2
	v_xor_b32_e32 v4, 0x80000000, v8
	v_cndmask_b32_e32 v2, v2, v3, vcc
	v_cmp_gt_f64_e32 vcc, 0, v[7:8]
	v_mov_b32_e32 v3, v7
	v_cndmask_b32_e32 v4, v8, v4, vcc
	v_cmp_ngt_f64_e32 vcc, v[1:2], v[3:4]
	s_and_saveexec_b64 s[52:53], vcc
	s_xor_b64 s[66:67], exec, s[52:53]
	s_cbranch_execnz .LBB55_91
; %bb.84:                               ;   in Loop: Header=BB55_12 Depth=3
	s_andn2_saveexec_b64 s[66:67], s[66:67]
	s_cbranch_execnz .LBB55_94
.LBB55_85:                              ;   in Loop: Header=BB55_12 Depth=3
	s_or_b64 exec, exec, s[66:67]
	v_cmp_class_f64_e64 s[66:67], v[5:6], s30
	s_and_saveexec_b64 s[52:53], s[66:67]
	s_cbranch_execz .LBB55_10
	s_branch .LBB55_95
.LBB55_86:                              ;   in Loop: Header=BB55_12 Depth=3
	v_cmp_lt_i32_e32 vcc, v17, v49
	s_and_saveexec_b64 s[88:89], vcc
	s_cbranch_execz .LBB55_99
; %bb.87:                               ;   in Loop: Header=BB55_12 Depth=3
	s_mov_b64 s[92:93], 0
                                        ; implicit-def: $sgpr90_sgpr91
                                        ; implicit-def: $sgpr70_sgpr71
                                        ; implicit-def: $sgpr66_sgpr67
	s_branch .LBB55_89
.LBB55_88:                              ;   in Loop: Header=BB55_89 Depth=4
	s_or_b64 exec, exec, s[52:53]
	s_and_b64 s[52:53], exec, s[70:71]
	s_or_b64 s[92:93], s[52:53], s[92:93]
	s_andn2_b64 s[52:53], s[90:91], exec
	s_and_b64 s[76:77], s[66:67], exec
	s_or_b64 s[90:91], s[52:53], s[76:77]
	s_andn2_b64 exec, exec, s[92:93]
	s_cbranch_execz .LBB55_96
.LBB55_89:                              ;   Parent Loop BB55_3 Depth=1
                                        ;     Parent Loop BB55_7 Depth=2
                                        ;       Parent Loop BB55_12 Depth=3
                                        ; =>      This Inner Loop Header: Depth=4
	v_add_u32_e32 v5, v22, v17
	v_ashrrev_i32_e32 v6, 31, v5
	v_lshlrev_b64 v[7:8], 2, v[5:6]
	v_mov_b32_e32 v9, s41
	v_add_co_u32_e32 v7, vcc, s40, v7
	v_addc_co_u32_e32 v8, vcc, v9, v8, vcc
	global_load_dword v7, v[7:8], off
	s_or_b64 s[66:67], s[66:67], exec
	s_or_b64 s[70:71], s[70:71], exec
	s_waitcnt vmcnt(0)
	v_subrev_u32_e32 v7, s64, v7
	v_cmp_ne_u32_e32 vcc, v7, v23
	s_and_saveexec_b64 s[52:53], vcc
	s_cbranch_execz .LBB55_88
; %bb.90:                               ;   in Loop: Header=BB55_89 Depth=4
	v_add_u32_e32 v17, 1, v17
	v_cmp_ge_i32_e32 vcc, v17, v49
	s_andn2_b64 s[70:71], s[70:71], exec
	s_and_b64 s[76:77], vcc, exec
	s_andn2_b64 s[66:67], s[66:67], exec
	s_or_b64 s[70:71], s[70:71], s[76:77]
	s_branch .LBB55_88
.LBB55_91:                              ;   in Loop: Header=BB55_12 Depth=3
	v_cmp_neq_f64_e32 vcc, 0, v[7:8]
	v_mov_b32_e32 v5, 0
	v_mov_b32_e32 v6, 0
	s_and_saveexec_b64 s[70:71], vcc
	s_cbranch_execz .LBB55_93
; %bb.92:                               ;   in Loop: Header=BB55_12 Depth=3
	v_div_scale_f64 v[5:6], s[52:53], v[3:4], v[3:4], v[1:2]
	v_rcp_f64_e32 v[7:8], v[5:6]
	v_fma_f64 v[9:10], -v[5:6], v[7:8], 1.0
	v_fma_f64 v[7:8], v[7:8], v[9:10], v[7:8]
	v_div_scale_f64 v[9:10], vcc, v[1:2], v[3:4], v[1:2]
	v_fma_f64 v[11:12], -v[5:6], v[7:8], 1.0
	v_fma_f64 v[7:8], v[7:8], v[11:12], v[7:8]
	v_mul_f64 v[11:12], v[9:10], v[7:8]
	v_fma_f64 v[5:6], -v[5:6], v[11:12], v[9:10]
	v_div_fmas_f64 v[5:6], v[5:6], v[7:8], v[11:12]
	v_div_fixup_f64 v[1:2], v[5:6], v[3:4], v[1:2]
	v_fma_f64 v[1:2], v[1:2], v[1:2], 1.0
	v_cmp_gt_f64_e32 vcc, s[80:81], v[1:2]
	v_cndmask_b32_e32 v5, 0, v46, vcc
	v_ldexp_f64 v[1:2], v[1:2], v5
	v_rsq_f64_e32 v[5:6], v[1:2]
	v_mul_f64 v[7:8], v[1:2], v[5:6]
	v_mul_f64 v[5:6], v[5:6], 0.5
	v_fma_f64 v[9:10], -v[5:6], v[7:8], 0.5
	v_fma_f64 v[7:8], v[7:8], v[9:10], v[7:8]
	v_fma_f64 v[5:6], v[5:6], v[9:10], v[5:6]
	v_fma_f64 v[9:10], -v[7:8], v[7:8], v[1:2]
	v_fma_f64 v[7:8], v[9:10], v[5:6], v[7:8]
	v_fma_f64 v[9:10], -v[7:8], v[7:8], v[1:2]
	v_fma_f64 v[5:6], v[9:10], v[5:6], v[7:8]
	v_cndmask_b32_e32 v7, 0, v47, vcc
	v_cmp_class_f64_e32 vcc, v[1:2], v45
	v_ldexp_f64 v[5:6], v[5:6], v7
	v_cndmask_b32_e32 v2, v6, v2, vcc
	v_cndmask_b32_e32 v1, v5, v1, vcc
	v_mul_f64 v[5:6], v[3:4], v[1:2]
.LBB55_93:                              ;   in Loop: Header=BB55_12 Depth=3
	s_or_b64 exec, exec, s[70:71]
                                        ; implicit-def: $vgpr1_vgpr2
                                        ; implicit-def: $vgpr3_vgpr4
	s_andn2_saveexec_b64 s[66:67], s[66:67]
	s_cbranch_execz .LBB55_85
.LBB55_94:                              ;   in Loop: Header=BB55_12 Depth=3
	v_div_scale_f64 v[5:6], s[52:53], v[1:2], v[1:2], v[3:4]
	v_rcp_f64_e32 v[7:8], v[5:6]
	v_fma_f64 v[9:10], -v[5:6], v[7:8], 1.0
	v_fma_f64 v[7:8], v[7:8], v[9:10], v[7:8]
	v_div_scale_f64 v[9:10], vcc, v[3:4], v[1:2], v[3:4]
	v_fma_f64 v[11:12], -v[5:6], v[7:8], 1.0
	v_fma_f64 v[7:8], v[7:8], v[11:12], v[7:8]
	v_mul_f64 v[11:12], v[9:10], v[7:8]
	v_fma_f64 v[5:6], -v[5:6], v[11:12], v[9:10]
	v_div_fmas_f64 v[5:6], v[5:6], v[7:8], v[11:12]
	v_div_fixup_f64 v[3:4], v[5:6], v[1:2], v[3:4]
	v_fma_f64 v[3:4], v[3:4], v[3:4], 1.0
	v_cmp_gt_f64_e32 vcc, s[80:81], v[3:4]
	v_cndmask_b32_e32 v5, 0, v46, vcc
	v_ldexp_f64 v[3:4], v[3:4], v5
	v_rsq_f64_e32 v[5:6], v[3:4]
	v_mul_f64 v[7:8], v[3:4], v[5:6]
	v_mul_f64 v[5:6], v[5:6], 0.5
	v_fma_f64 v[9:10], -v[5:6], v[7:8], 0.5
	v_fma_f64 v[7:8], v[7:8], v[9:10], v[7:8]
	v_fma_f64 v[5:6], v[5:6], v[9:10], v[5:6]
	v_fma_f64 v[9:10], -v[7:8], v[7:8], v[3:4]
	v_fma_f64 v[7:8], v[9:10], v[5:6], v[7:8]
	v_fma_f64 v[9:10], -v[7:8], v[7:8], v[3:4]
	v_fma_f64 v[5:6], v[9:10], v[5:6], v[7:8]
	v_cndmask_b32_e32 v7, 0, v47, vcc
	v_cmp_class_f64_e32 vcc, v[3:4], v45
	v_ldexp_f64 v[5:6], v[5:6], v7
	v_cndmask_b32_e32 v4, v6, v4, vcc
	v_cndmask_b32_e32 v3, v5, v3, vcc
	v_mul_f64 v[5:6], v[1:2], v[3:4]
	s_or_b64 exec, exec, s[66:67]
	v_cmp_class_f64_e64 s[66:67], v[5:6], s30
	s_and_saveexec_b64 s[52:53], s[66:67]
	s_cbranch_execz .LBB55_10
.LBB55_95:                              ;   in Loop: Header=BB55_12 Depth=3
	v_cmp_lt_f64_e32 vcc, v[13:14], v[5:6]
	v_cndmask_b32_e32 v14, v14, v6, vcc
	v_cndmask_b32_e32 v13, v13, v5, vcc
	s_branch .LBB55_10
.LBB55_96:                              ;   in Loop: Header=BB55_12 Depth=3
	s_or_b64 exec, exec, s[92:93]
	s_and_saveexec_b64 s[52:53], s[90:91]
	s_xor_b64 s[66:67], exec, s[52:53]
	s_cbranch_execz .LBB55_98
; %bb.97:                               ;   in Loop: Header=BB55_12 Depth=3
	v_lshlrev_b64 v[5:6], 4, v[5:6]
	v_mov_b32_e32 v7, s43
	v_add_co_u32_e32 v9, vcc, s42, v5
	v_addc_co_u32_e32 v10, vcc, v7, v6, vcc
	v_lshlrev_b64 v[5:6], 4, v[23:24]
	v_mov_b32_e32 v7, s57
	v_add_co_u32_e32 v5, vcc, s56, v5
	v_addc_co_u32_e32 v6, vcc, v7, v6, vcc
	global_load_dwordx4 v[5:8], v[5:6], off
	s_nop 0
	global_load_dwordx4 v[9:12], v[9:10], off
	s_waitcnt vmcnt(0)
	v_mul_f64 v[29:30], v[7:8], -v[11:12]
	v_mul_f64 v[7:8], v[7:8], v[9:10]
	v_fma_f64 v[9:10], v[9:10], v[5:6], v[29:30]
	v_fma_f64 v[5:6], v[11:12], v[5:6], v[7:8]
	v_add_f64 v[25:26], v[25:26], v[9:10]
	v_add_f64 v[27:28], v[27:28], v[5:6]
.LBB55_98:                              ;   in Loop: Header=BB55_12 Depth=3
	s_or_b64 exec, exec, s[66:67]
.LBB55_99:                              ;   in Loop: Header=BB55_12 Depth=3
	s_or_b64 exec, exec, s[88:89]
                                        ; implicit-def: $vgpr30
                                        ; implicit-def: $vgpr29
                                        ; implicit-def: $vgpr54
	s_andn2_saveexec_b64 s[86:87], s[86:87]
	s_cbranch_execz .LBB55_81
.LBB55_100:                             ;   in Loop: Header=BB55_12 Depth=3
	s_mov_b64 s[90:91], 0
                                        ; implicit-def: $sgpr88_sgpr89
                                        ; implicit-def: $sgpr70_sgpr71
                                        ; implicit-def: $sgpr66_sgpr67
	s_branch .LBB55_102
.LBB55_101:                             ;   in Loop: Header=BB55_102 Depth=4
	s_or_b64 exec, exec, s[52:53]
	s_and_b64 s[52:53], exec, s[70:71]
	s_or_b64 s[90:91], s[52:53], s[90:91]
	s_andn2_b64 s[52:53], s[88:89], exec
	s_and_b64 s[76:77], s[66:67], exec
	s_or_b64 s[88:89], s[52:53], s[76:77]
	s_andn2_b64 exec, exec, s[90:91]
	s_cbranch_execz .LBB55_104
.LBB55_102:                             ;   Parent Loop BB55_3 Depth=1
                                        ;     Parent Loop BB55_7 Depth=2
                                        ;       Parent Loop BB55_12 Depth=3
                                        ; =>      This Inner Loop Header: Depth=4
	v_add_u32_e32 v5, v29, v30
	v_ashrrev_i32_e32 v6, 31, v5
	v_lshlrev_b64 v[7:8], 2, v[5:6]
	v_mov_b32_e32 v9, s25
	v_add_co_u32_e32 v7, vcc, s24, v7
	v_addc_co_u32_e32 v8, vcc, v9, v8, vcc
	global_load_dword v7, v[7:8], off
	s_or_b64 s[66:67], s[66:67], exec
	s_or_b64 s[70:71], s[70:71], exec
	s_waitcnt vmcnt(0)
	v_subrev_u32_e32 v7, s28, v7
	v_cmp_ne_u32_e32 vcc, v7, v19
	s_and_saveexec_b64 s[52:53], vcc
	s_cbranch_execz .LBB55_101
; %bb.103:                              ;   in Loop: Header=BB55_102 Depth=4
	v_add_u32_e32 v30, 1, v30
	v_cmp_ge_i32_e32 vcc, v30, v54
	s_andn2_b64 s[70:71], s[70:71], exec
	s_and_b64 s[76:77], vcc, exec
	s_andn2_b64 s[66:67], s[66:67], exec
	s_or_b64 s[70:71], s[70:71], s[76:77]
	s_branch .LBB55_101
.LBB55_104:                             ;   in Loop: Header=BB55_12 Depth=3
	s_or_b64 exec, exec, s[90:91]
	s_and_saveexec_b64 s[52:53], s[88:89]
	s_xor_b64 s[66:67], exec, s[52:53]
	s_cbranch_execz .LBB55_106
; %bb.105:                              ;   in Loop: Header=BB55_12 Depth=3
	v_lshlrev_b64 v[5:6], 4, v[5:6]
	v_mov_b32_e32 v7, s27
	v_add_co_u32_e32 v5, vcc, s26, v5
	v_addc_co_u32_e32 v6, vcc, v7, v6, vcc
	global_load_dwordx4 v[5:8], v[5:6], off
	s_waitcnt vmcnt(0)
	v_add_f64 v[25:26], v[25:26], v[5:6]
	v_add_f64 v[27:28], v[27:28], v[7:8]
.LBB55_106:                             ;   in Loop: Header=BB55_12 Depth=3
	s_or_b64 exec, exec, s[66:67]
	s_or_b64 exec, exec, s[86:87]
	v_cmp_eq_u32_e32 vcc, v19, v23
	s_and_saveexec_b64 s[66:67], vcc
	s_cbranch_execnz .LBB55_82
	s_branch .LBB55_83
.LBB55_107:                             ;   in Loop: Header=BB55_12 Depth=3
	v_cmp_neq_f64_e32 vcc, 0, v[11:12]
	v_mov_b32_e32 v9, 0
	v_mov_b32_e32 v10, 0
	s_and_saveexec_b64 s[70:71], vcc
	s_cbranch_execz .LBB55_109
; %bb.108:                              ;   in Loop: Header=BB55_12 Depth=3
	v_div_scale_f64 v[9:10], s[52:53], v[7:8], v[7:8], v[5:6]
	v_rcp_f64_e32 v[11:12], v[9:10]
	v_fma_f64 v[31:32], -v[9:10], v[11:12], 1.0
	v_fma_f64 v[11:12], v[11:12], v[31:32], v[11:12]
	v_div_scale_f64 v[31:32], vcc, v[5:6], v[7:8], v[5:6]
	v_fma_f64 v[33:34], -v[9:10], v[11:12], 1.0
	v_fma_f64 v[11:12], v[11:12], v[33:34], v[11:12]
	v_mul_f64 v[33:34], v[31:32], v[11:12]
	v_fma_f64 v[9:10], -v[9:10], v[33:34], v[31:32]
	v_div_fmas_f64 v[9:10], v[9:10], v[11:12], v[33:34]
	v_div_fixup_f64 v[5:6], v[9:10], v[7:8], v[5:6]
	v_fma_f64 v[5:6], v[5:6], v[5:6], 1.0
	v_cmp_gt_f64_e32 vcc, s[80:81], v[5:6]
	v_cndmask_b32_e32 v9, 0, v46, vcc
	v_ldexp_f64 v[5:6], v[5:6], v9
	v_rsq_f64_e32 v[9:10], v[5:6]
	v_mul_f64 v[11:12], v[5:6], v[9:10]
	v_mul_f64 v[9:10], v[9:10], 0.5
	v_fma_f64 v[31:32], -v[9:10], v[11:12], 0.5
	v_fma_f64 v[11:12], v[11:12], v[31:32], v[11:12]
	v_fma_f64 v[9:10], v[9:10], v[31:32], v[9:10]
	v_fma_f64 v[31:32], -v[11:12], v[11:12], v[5:6]
	v_fma_f64 v[11:12], v[31:32], v[9:10], v[11:12]
	v_fma_f64 v[31:32], -v[11:12], v[11:12], v[5:6]
	v_fma_f64 v[9:10], v[31:32], v[9:10], v[11:12]
	v_cndmask_b32_e32 v11, 0, v47, vcc
	v_cmp_class_f64_e32 vcc, v[5:6], v45
	v_ldexp_f64 v[9:10], v[9:10], v11
	v_cndmask_b32_e32 v6, v10, v6, vcc
	v_cndmask_b32_e32 v5, v9, v5, vcc
	v_mul_f64 v[9:10], v[7:8], v[5:6]
.LBB55_109:                             ;   in Loop: Header=BB55_12 Depth=3
	s_or_b64 exec, exec, s[70:71]
                                        ; implicit-def: $vgpr5_vgpr6
                                        ; implicit-def: $vgpr7_vgpr8
	s_andn2_saveexec_b64 s[66:67], s[66:67]
	s_cbranch_execz .LBB55_43
.LBB55_110:                             ;   in Loop: Header=BB55_12 Depth=3
	v_div_scale_f64 v[9:10], s[52:53], v[5:6], v[5:6], v[7:8]
	v_rcp_f64_e32 v[11:12], v[9:10]
	v_fma_f64 v[31:32], -v[9:10], v[11:12], 1.0
	v_fma_f64 v[11:12], v[11:12], v[31:32], v[11:12]
	v_div_scale_f64 v[31:32], vcc, v[7:8], v[5:6], v[7:8]
	v_fma_f64 v[33:34], -v[9:10], v[11:12], 1.0
	v_fma_f64 v[11:12], v[11:12], v[33:34], v[11:12]
	v_mul_f64 v[33:34], v[31:32], v[11:12]
	v_fma_f64 v[9:10], -v[9:10], v[33:34], v[31:32]
	v_div_fmas_f64 v[9:10], v[9:10], v[11:12], v[33:34]
	v_div_fixup_f64 v[7:8], v[9:10], v[5:6], v[7:8]
	v_fma_f64 v[7:8], v[7:8], v[7:8], 1.0
	v_cmp_gt_f64_e32 vcc, s[80:81], v[7:8]
	v_cndmask_b32_e32 v9, 0, v46, vcc
	v_ldexp_f64 v[7:8], v[7:8], v9
	v_rsq_f64_e32 v[9:10], v[7:8]
	v_mul_f64 v[11:12], v[7:8], v[9:10]
	v_mul_f64 v[9:10], v[9:10], 0.5
	v_fma_f64 v[31:32], -v[9:10], v[11:12], 0.5
	v_fma_f64 v[11:12], v[11:12], v[31:32], v[11:12]
	v_fma_f64 v[9:10], v[9:10], v[31:32], v[9:10]
	v_fma_f64 v[31:32], -v[11:12], v[11:12], v[7:8]
	v_fma_f64 v[11:12], v[31:32], v[9:10], v[11:12]
	v_fma_f64 v[31:32], -v[11:12], v[11:12], v[7:8]
	v_fma_f64 v[9:10], v[31:32], v[9:10], v[11:12]
	v_cndmask_b32_e32 v11, 0, v47, vcc
	v_cmp_class_f64_e32 vcc, v[7:8], v45
	v_ldexp_f64 v[9:10], v[9:10], v11
	v_cndmask_b32_e32 v8, v10, v8, vcc
	v_cndmask_b32_e32 v7, v9, v7, vcc
	v_mul_f64 v[9:10], v[5:6], v[7:8]
	s_or_b64 exec, exec, s[66:67]
	v_cmp_class_f64_e64 s[66:67], v[9:10], s30
	s_and_saveexec_b64 s[52:53], s[66:67]
	s_cbranch_execnz .LBB55_44
	s_branch .LBB55_45
.LBB55_111:                             ;   in Loop: Header=BB55_12 Depth=3
	v_cmp_neq_f64_e32 vcc, 0, v[11:12]
	v_mov_b32_e32 v9, 0
	v_mov_b32_e32 v10, 0
	s_and_saveexec_b64 s[70:71], vcc
	s_cbranch_execz .LBB55_113
; %bb.112:                              ;   in Loop: Header=BB55_12 Depth=3
	v_div_scale_f64 v[9:10], s[52:53], v[7:8], v[7:8], v[5:6]
	v_rcp_f64_e32 v[11:12], v[9:10]
	v_fma_f64 v[31:32], -v[9:10], v[11:12], 1.0
	v_fma_f64 v[11:12], v[11:12], v[31:32], v[11:12]
	v_div_scale_f64 v[31:32], vcc, v[5:6], v[7:8], v[5:6]
	v_fma_f64 v[33:34], -v[9:10], v[11:12], 1.0
	v_fma_f64 v[11:12], v[11:12], v[33:34], v[11:12]
	v_mul_f64 v[33:34], v[31:32], v[11:12]
	v_fma_f64 v[9:10], -v[9:10], v[33:34], v[31:32]
	v_div_fmas_f64 v[9:10], v[9:10], v[11:12], v[33:34]
	v_div_fixup_f64 v[5:6], v[9:10], v[7:8], v[5:6]
	v_fma_f64 v[5:6], v[5:6], v[5:6], 1.0
	v_cmp_gt_f64_e32 vcc, s[80:81], v[5:6]
	v_cndmask_b32_e32 v9, 0, v46, vcc
	v_ldexp_f64 v[5:6], v[5:6], v9
	v_rsq_f64_e32 v[9:10], v[5:6]
	v_mul_f64 v[11:12], v[5:6], v[9:10]
	v_mul_f64 v[9:10], v[9:10], 0.5
	v_fma_f64 v[31:32], -v[9:10], v[11:12], 0.5
	v_fma_f64 v[11:12], v[11:12], v[31:32], v[11:12]
	v_fma_f64 v[9:10], v[9:10], v[31:32], v[9:10]
	v_fma_f64 v[31:32], -v[11:12], v[11:12], v[5:6]
	v_fma_f64 v[11:12], v[31:32], v[9:10], v[11:12]
	v_fma_f64 v[31:32], -v[11:12], v[11:12], v[5:6]
	v_fma_f64 v[9:10], v[31:32], v[9:10], v[11:12]
	v_cndmask_b32_e32 v11, 0, v47, vcc
	v_cmp_class_f64_e32 vcc, v[5:6], v45
	v_ldexp_f64 v[9:10], v[9:10], v11
	v_cndmask_b32_e32 v6, v10, v6, vcc
	v_cndmask_b32_e32 v5, v9, v5, vcc
	v_mul_f64 v[9:10], v[7:8], v[5:6]
.LBB55_113:                             ;   in Loop: Header=BB55_12 Depth=3
	s_or_b64 exec, exec, s[70:71]
                                        ; implicit-def: $vgpr5_vgpr6
                                        ; implicit-def: $vgpr7_vgpr8
	s_andn2_saveexec_b64 s[66:67], s[66:67]
	s_cbranch_execz .LBB55_73
.LBB55_114:                             ;   in Loop: Header=BB55_12 Depth=3
	v_div_scale_f64 v[9:10], s[52:53], v[5:6], v[5:6], v[7:8]
	v_rcp_f64_e32 v[11:12], v[9:10]
	v_fma_f64 v[31:32], -v[9:10], v[11:12], 1.0
	v_fma_f64 v[11:12], v[11:12], v[31:32], v[11:12]
	v_div_scale_f64 v[31:32], vcc, v[7:8], v[5:6], v[7:8]
	v_fma_f64 v[33:34], -v[9:10], v[11:12], 1.0
	v_fma_f64 v[11:12], v[11:12], v[33:34], v[11:12]
	v_mul_f64 v[33:34], v[31:32], v[11:12]
	v_fma_f64 v[9:10], -v[9:10], v[33:34], v[31:32]
	v_div_fmas_f64 v[9:10], v[9:10], v[11:12], v[33:34]
	v_div_fixup_f64 v[7:8], v[9:10], v[5:6], v[7:8]
	v_fma_f64 v[7:8], v[7:8], v[7:8], 1.0
	v_cmp_gt_f64_e32 vcc, s[80:81], v[7:8]
	v_cndmask_b32_e32 v9, 0, v46, vcc
	v_ldexp_f64 v[7:8], v[7:8], v9
	v_rsq_f64_e32 v[9:10], v[7:8]
	v_mul_f64 v[11:12], v[7:8], v[9:10]
	v_mul_f64 v[9:10], v[9:10], 0.5
	v_fma_f64 v[31:32], -v[9:10], v[11:12], 0.5
	v_fma_f64 v[11:12], v[11:12], v[31:32], v[11:12]
	v_fma_f64 v[9:10], v[9:10], v[31:32], v[9:10]
	v_fma_f64 v[31:32], -v[11:12], v[11:12], v[7:8]
	v_fma_f64 v[11:12], v[31:32], v[9:10], v[11:12]
	v_fma_f64 v[31:32], -v[11:12], v[11:12], v[7:8]
	v_fma_f64 v[9:10], v[31:32], v[9:10], v[11:12]
	v_cndmask_b32_e32 v11, 0, v47, vcc
	v_cmp_class_f64_e32 vcc, v[7:8], v45
	v_ldexp_f64 v[9:10], v[9:10], v11
	v_cndmask_b32_e32 v8, v10, v8, vcc
	v_cndmask_b32_e32 v7, v9, v7, vcc
	v_mul_f64 v[9:10], v[5:6], v[7:8]
	s_or_b64 exec, exec, s[66:67]
	v_cmp_class_f64_e64 s[66:67], v[9:10], s30
	s_and_saveexec_b64 s[52:53], s[66:67]
	s_cbranch_execnz .LBB55_74
	s_branch .LBB55_75
.LBB55_115:                             ;   in Loop: Header=BB55_12 Depth=3
	v_cmp_neq_f64_e32 vcc, 0, v[11:12]
	v_mov_b32_e32 v9, 0
	v_mov_b32_e32 v10, 0
	s_and_saveexec_b64 s[70:71], vcc
	s_cbranch_execz .LBB55_117
; %bb.116:                              ;   in Loop: Header=BB55_12 Depth=3
	v_div_scale_f64 v[9:10], s[52:53], v[7:8], v[7:8], v[5:6]
	v_rcp_f64_e32 v[11:12], v[9:10]
	v_fma_f64 v[31:32], -v[9:10], v[11:12], 1.0
	v_fma_f64 v[11:12], v[11:12], v[31:32], v[11:12]
	v_div_scale_f64 v[31:32], vcc, v[5:6], v[7:8], v[5:6]
	v_fma_f64 v[33:34], -v[9:10], v[11:12], 1.0
	v_fma_f64 v[11:12], v[11:12], v[33:34], v[11:12]
	v_mul_f64 v[33:34], v[31:32], v[11:12]
	v_fma_f64 v[9:10], -v[9:10], v[33:34], v[31:32]
	v_div_fmas_f64 v[9:10], v[9:10], v[11:12], v[33:34]
	v_div_fixup_f64 v[5:6], v[9:10], v[7:8], v[5:6]
	v_fma_f64 v[5:6], v[5:6], v[5:6], 1.0
	v_cmp_gt_f64_e32 vcc, s[80:81], v[5:6]
	v_cndmask_b32_e32 v9, 0, v46, vcc
	v_ldexp_f64 v[5:6], v[5:6], v9
	v_rsq_f64_e32 v[9:10], v[5:6]
	v_mul_f64 v[11:12], v[5:6], v[9:10]
	v_mul_f64 v[9:10], v[9:10], 0.5
	v_fma_f64 v[31:32], -v[9:10], v[11:12], 0.5
	v_fma_f64 v[11:12], v[11:12], v[31:32], v[11:12]
	v_fma_f64 v[9:10], v[9:10], v[31:32], v[9:10]
	v_fma_f64 v[31:32], -v[11:12], v[11:12], v[5:6]
	v_fma_f64 v[11:12], v[31:32], v[9:10], v[11:12]
	v_fma_f64 v[31:32], -v[11:12], v[11:12], v[5:6]
	v_fma_f64 v[9:10], v[31:32], v[9:10], v[11:12]
	v_cndmask_b32_e32 v11, 0, v47, vcc
	v_cmp_class_f64_e32 vcc, v[5:6], v45
	v_ldexp_f64 v[9:10], v[9:10], v11
	v_cndmask_b32_e32 v6, v10, v6, vcc
	v_cndmask_b32_e32 v5, v9, v5, vcc
	v_mul_f64 v[9:10], v[7:8], v[5:6]
.LBB55_117:                             ;   in Loop: Header=BB55_12 Depth=3
	s_or_b64 exec, exec, s[70:71]
                                        ; implicit-def: $vgpr5_vgpr6
                                        ; implicit-def: $vgpr7_vgpr8
	s_andn2_saveexec_b64 s[66:67], s[66:67]
	s_cbranch_execz .LBB55_57
.LBB55_118:                             ;   in Loop: Header=BB55_12 Depth=3
	v_div_scale_f64 v[9:10], s[52:53], v[5:6], v[5:6], v[7:8]
	v_rcp_f64_e32 v[11:12], v[9:10]
	v_fma_f64 v[31:32], -v[9:10], v[11:12], 1.0
	v_fma_f64 v[11:12], v[11:12], v[31:32], v[11:12]
	v_div_scale_f64 v[31:32], vcc, v[7:8], v[5:6], v[7:8]
	v_fma_f64 v[33:34], -v[9:10], v[11:12], 1.0
	v_fma_f64 v[11:12], v[11:12], v[33:34], v[11:12]
	v_mul_f64 v[33:34], v[31:32], v[11:12]
	v_fma_f64 v[9:10], -v[9:10], v[33:34], v[31:32]
	v_div_fmas_f64 v[9:10], v[9:10], v[11:12], v[33:34]
	v_div_fixup_f64 v[7:8], v[9:10], v[5:6], v[7:8]
	v_fma_f64 v[7:8], v[7:8], v[7:8], 1.0
	v_cmp_gt_f64_e32 vcc, s[80:81], v[7:8]
	v_cndmask_b32_e32 v9, 0, v46, vcc
	v_ldexp_f64 v[7:8], v[7:8], v9
	v_rsq_f64_e32 v[9:10], v[7:8]
	v_mul_f64 v[11:12], v[7:8], v[9:10]
	v_mul_f64 v[9:10], v[9:10], 0.5
	v_fma_f64 v[31:32], -v[9:10], v[11:12], 0.5
	v_fma_f64 v[11:12], v[11:12], v[31:32], v[11:12]
	v_fma_f64 v[9:10], v[9:10], v[31:32], v[9:10]
	v_fma_f64 v[31:32], -v[11:12], v[11:12], v[7:8]
	v_fma_f64 v[11:12], v[31:32], v[9:10], v[11:12]
	v_fma_f64 v[31:32], -v[11:12], v[11:12], v[7:8]
	v_fma_f64 v[9:10], v[31:32], v[9:10], v[11:12]
	v_cndmask_b32_e32 v11, 0, v47, vcc
	v_cmp_class_f64_e32 vcc, v[7:8], v45
	v_ldexp_f64 v[9:10], v[9:10], v11
	v_cndmask_b32_e32 v8, v10, v8, vcc
	v_cndmask_b32_e32 v7, v9, v7, vcc
	v_mul_f64 v[9:10], v[5:6], v[7:8]
	s_or_b64 exec, exec, s[66:67]
	v_cmp_class_f64_e64 s[66:67], v[9:10], s30
	s_and_saveexec_b64 s[52:53], s[66:67]
	s_cbranch_execnz .LBB55_58
	s_branch .LBB55_59
.LBB55_119:                             ;   in Loop: Header=BB55_3 Depth=1
	s_and_b64 vcc, exec, s[60:61]
	s_cbranch_vccnz .LBB55_122
; %bb.120:                              ;   in Loop: Header=BB55_3 Depth=1
	s_andn2_b64 vcc, exec, s[34:35]
	s_cbranch_vccz .LBB55_133
.LBB55_121:                             ;   in Loop: Header=BB55_3 Depth=1
	s_and_saveexec_b64 s[4:5], s[0:1]
	s_cbranch_execnz .LBB55_144
	s_branch .LBB55_155
.LBB55_122:                             ;   in Loop: Header=BB55_3 Depth=1
	v_mov_b32_dpp v1, v15 row_shr:1 row_mask:0xf bank_mask:0xf
	v_mov_b32_dpp v2, v16 row_shr:1 row_mask:0xf bank_mask:0xf
	v_cmp_lt_f64_e32 vcc, v[15:16], v[1:2]
	v_cndmask_b32_e32 v2, v16, v2, vcc
	v_cndmask_b32_e32 v1, v15, v1, vcc
	s_nop 0
	v_mov_b32_dpp v4, v2 row_shr:2 row_mask:0xf bank_mask:0xf
	v_mov_b32_dpp v3, v1 row_shr:2 row_mask:0xf bank_mask:0xf
	v_cmp_lt_f64_e32 vcc, v[1:2], v[3:4]
	v_cndmask_b32_e32 v2, v2, v4, vcc
	v_cndmask_b32_e32 v1, v1, v3, vcc
	s_nop 0
	;; [unrolled: 6-line block ×4, first 2 shown]
	v_mov_b32_dpp v4, v2 row_bcast:15 row_mask:0xa bank_mask:0xf
	v_mov_b32_dpp v3, v1 row_bcast:15 row_mask:0xa bank_mask:0xf
	v_cmp_lt_f64_e32 vcc, v[1:2], v[3:4]
	v_cndmask_b32_e32 v2, v2, v4, vcc
	v_cndmask_b32_e32 v1, v1, v3, vcc
	s_nop 0
	v_mov_b32_dpp v5, v2 row_bcast:31 row_mask:0xc bank_mask:0xf
	v_mov_b32_dpp v3, v1 row_bcast:31 row_mask:0xc bank_mask:0xf
	s_and_saveexec_b64 s[4:5], s[2:3]
	s_cbranch_execz .LBB55_124
; %bb.123:                              ;   in Loop: Header=BB55_3 Depth=1
	v_mov_b32_e32 v4, v5
	v_cmp_lt_f64_e32 vcc, v[1:2], v[3:4]
	v_cndmask_b32_e32 v2, v2, v5, vcc
	v_cndmask_b32_e32 v1, v1, v3, vcc
	ds_write_b64 v42, v[1:2]
.LBB55_124:                             ;   in Loop: Header=BB55_3 Depth=1
	s_or_b64 exec, exec, s[4:5]
	s_waitcnt vmcnt(0) lgkmcnt(0)
	s_barrier
	s_and_saveexec_b64 s[4:5], s[18:19]
	s_cbranch_execz .LBB55_126
; %bb.125:                              ;   in Loop: Header=BB55_3 Depth=1
	ds_read2_b64 v[1:4], v40 offset1:8
	s_waitcnt lgkmcnt(0)
	v_cmp_lt_f64_e32 vcc, v[1:2], v[3:4]
	v_cndmask_b32_e32 v2, v2, v4, vcc
	v_cndmask_b32_e32 v1, v1, v3, vcc
	ds_write_b64 v40, v[1:2]
.LBB55_126:                             ;   in Loop: Header=BB55_3 Depth=1
	s_or_b64 exec, exec, s[4:5]
	s_waitcnt lgkmcnt(0)
	s_barrier
	s_and_saveexec_b64 s[4:5], s[6:7]
	s_cbranch_execz .LBB55_128
; %bb.127:                              ;   in Loop: Header=BB55_3 Depth=1
	ds_read2_b64 v[1:4], v40 offset1:4
	s_waitcnt lgkmcnt(0)
	v_cmp_lt_f64_e32 vcc, v[1:2], v[3:4]
	v_cndmask_b32_e32 v2, v2, v4, vcc
	v_cndmask_b32_e32 v1, v1, v3, vcc
	ds_write_b64 v40, v[1:2]
.LBB55_128:                             ;   in Loop: Header=BB55_3 Depth=1
	s_or_b64 exec, exec, s[4:5]
	s_waitcnt lgkmcnt(0)
	;; [unrolled: 13-line block ×3, first 2 shown]
	s_barrier
	s_and_saveexec_b64 s[4:5], s[10:11]
	s_cbranch_execz .LBB55_132
; %bb.131:                              ;   in Loop: Header=BB55_3 Depth=1
	ds_read_b128 v[1:4], v18
	s_waitcnt lgkmcnt(0)
	v_cmp_lt_f64_e32 vcc, v[1:2], v[3:4]
	v_cndmask_b32_e32 v2, v2, v4, vcc
	v_cndmask_b32_e32 v1, v1, v3, vcc
	ds_write_b64 v18, v[1:2]
.LBB55_132:                             ;   in Loop: Header=BB55_3 Depth=1
	s_or_b64 exec, exec, s[4:5]
	s_waitcnt lgkmcnt(0)
	s_barrier
	ds_read_b64 v[1:2], v18
	s_load_dwordx2 s[4:5], s[68:69], 0x0
	s_waitcnt lgkmcnt(0)
	v_div_scale_f64 v[3:4], s[14:15], s[4:5], s[4:5], v[1:2]
	v_div_scale_f64 v[9:10], vcc, v[1:2], s[4:5], v[1:2]
	v_rcp_f64_e32 v[5:6], v[3:4]
	v_fma_f64 v[7:8], -v[3:4], v[5:6], 1.0
	v_fma_f64 v[5:6], v[5:6], v[7:8], v[5:6]
	v_fma_f64 v[7:8], -v[3:4], v[5:6], 1.0
	v_fma_f64 v[5:6], v[5:6], v[7:8], v[5:6]
	v_mul_f64 v[7:8], v[9:10], v[5:6]
	v_fma_f64 v[3:4], -v[3:4], v[7:8], v[9:10]
	v_div_fmas_f64 v[3:4], v[3:4], v[5:6], v[7:8]
	v_div_fixup_f64 v[15:16], v[3:4], s[4:5], v[1:2]
	s_andn2_b64 vcc, exec, s[34:35]
	s_cbranch_vccnz .LBB55_121
.LBB55_133:                             ;   in Loop: Header=BB55_3 Depth=1
	v_mov_b32_dpp v1, v13 row_shr:1 row_mask:0xf bank_mask:0xf
	v_mov_b32_dpp v2, v14 row_shr:1 row_mask:0xf bank_mask:0xf
	v_cmp_lt_f64_e32 vcc, v[13:14], v[1:2]
	v_cndmask_b32_e32 v2, v14, v2, vcc
	v_cndmask_b32_e32 v1, v13, v1, vcc
	s_nop 0
	v_mov_b32_dpp v4, v2 row_shr:2 row_mask:0xf bank_mask:0xf
	v_mov_b32_dpp v3, v1 row_shr:2 row_mask:0xf bank_mask:0xf
	v_cmp_lt_f64_e32 vcc, v[1:2], v[3:4]
	v_cndmask_b32_e32 v2, v2, v4, vcc
	v_cndmask_b32_e32 v1, v1, v3, vcc
	s_nop 0
	;; [unrolled: 6-line block ×4, first 2 shown]
	v_mov_b32_dpp v4, v2 row_bcast:15 row_mask:0xa bank_mask:0xf
	v_mov_b32_dpp v3, v1 row_bcast:15 row_mask:0xa bank_mask:0xf
	v_cmp_lt_f64_e32 vcc, v[1:2], v[3:4]
	v_cndmask_b32_e32 v2, v2, v4, vcc
	v_cndmask_b32_e32 v1, v1, v3, vcc
	s_nop 0
	v_mov_b32_dpp v5, v2 row_bcast:31 row_mask:0xc bank_mask:0xf
	v_mov_b32_dpp v3, v1 row_bcast:31 row_mask:0xc bank_mask:0xf
	s_and_saveexec_b64 s[4:5], s[2:3]
	s_cbranch_execz .LBB55_135
; %bb.134:                              ;   in Loop: Header=BB55_3 Depth=1
	v_mov_b32_e32 v4, v5
	v_cmp_lt_f64_e32 vcc, v[1:2], v[3:4]
	v_cndmask_b32_e32 v2, v2, v5, vcc
	v_cndmask_b32_e32 v1, v1, v3, vcc
	ds_write_b64 v42, v[1:2]
.LBB55_135:                             ;   in Loop: Header=BB55_3 Depth=1
	s_or_b64 exec, exec, s[4:5]
	s_waitcnt vmcnt(0) lgkmcnt(0)
	s_barrier
	s_and_saveexec_b64 s[4:5], s[18:19]
	s_cbranch_execz .LBB55_137
; %bb.136:                              ;   in Loop: Header=BB55_3 Depth=1
	ds_read2_b64 v[1:4], v40 offset1:8
	s_waitcnt lgkmcnt(0)
	v_cmp_lt_f64_e32 vcc, v[1:2], v[3:4]
	v_cndmask_b32_e32 v2, v2, v4, vcc
	v_cndmask_b32_e32 v1, v1, v3, vcc
	ds_write_b64 v40, v[1:2]
.LBB55_137:                             ;   in Loop: Header=BB55_3 Depth=1
	s_or_b64 exec, exec, s[4:5]
	s_waitcnt lgkmcnt(0)
	s_barrier
	s_and_saveexec_b64 s[4:5], s[6:7]
	s_cbranch_execz .LBB55_139
; %bb.138:                              ;   in Loop: Header=BB55_3 Depth=1
	ds_read2_b64 v[1:4], v40 offset1:4
	s_waitcnt lgkmcnt(0)
	v_cmp_lt_f64_e32 vcc, v[1:2], v[3:4]
	v_cndmask_b32_e32 v2, v2, v4, vcc
	v_cndmask_b32_e32 v1, v1, v3, vcc
	ds_write_b64 v40, v[1:2]
.LBB55_139:                             ;   in Loop: Header=BB55_3 Depth=1
	s_or_b64 exec, exec, s[4:5]
	s_waitcnt lgkmcnt(0)
	;; [unrolled: 13-line block ×3, first 2 shown]
	s_barrier
	s_and_saveexec_b64 s[4:5], s[10:11]
	s_cbranch_execz .LBB55_143
; %bb.142:                              ;   in Loop: Header=BB55_3 Depth=1
	ds_read_b128 v[1:4], v18
	s_waitcnt lgkmcnt(0)
	v_cmp_lt_f64_e32 vcc, v[1:2], v[3:4]
	v_cndmask_b32_e32 v2, v2, v4, vcc
	v_cndmask_b32_e32 v1, v1, v3, vcc
	ds_write_b64 v18, v[1:2]
.LBB55_143:                             ;   in Loop: Header=BB55_3 Depth=1
	s_or_b64 exec, exec, s[4:5]
	s_waitcnt lgkmcnt(0)
	s_barrier
	ds_read_b64 v[1:2], v18
	s_load_dwordx2 s[4:5], s[68:69], 0x0
	s_waitcnt lgkmcnt(0)
	v_div_scale_f64 v[3:4], s[14:15], s[4:5], s[4:5], v[1:2]
	v_div_scale_f64 v[9:10], vcc, v[1:2], s[4:5], v[1:2]
	v_rcp_f64_e32 v[5:6], v[3:4]
	v_fma_f64 v[7:8], -v[3:4], v[5:6], 1.0
	v_fma_f64 v[5:6], v[5:6], v[7:8], v[5:6]
	v_fma_f64 v[7:8], -v[3:4], v[5:6], 1.0
	v_fma_f64 v[5:6], v[5:6], v[7:8], v[5:6]
	v_mul_f64 v[7:8], v[9:10], v[5:6]
	v_fma_f64 v[3:4], -v[3:4], v[7:8], v[9:10]
	v_div_fmas_f64 v[3:4], v[3:4], v[5:6], v[7:8]
	v_div_fixup_f64 v[13:14], v[3:4], s[4:5], v[1:2]
	s_and_saveexec_b64 s[4:5], s[0:1]
	s_cbranch_execz .LBB55_155
.LBB55_144:                             ;   in Loop: Header=BB55_3 Depth=1
	s_mov_b64 s[14:15], 0
	v_mov_b32_e32 v1, v39
	s_branch .LBB55_146
.LBB55_145:                             ;   in Loop: Header=BB55_146 Depth=2
	s_or_b64 exec, exec, s[16:17]
	v_add_u32_e32 v1, 16, v1
	v_cmp_le_u32_e32 vcc, s29, v1
	s_or_b64 s[14:15], vcc, s[14:15]
	s_andn2_b64 exec, exec, s[14:15]
	s_cbranch_execz .LBB55_155
.LBB55_146:                             ;   Parent Loop BB55_3 Depth=1
                                        ; =>  This Loop Header: Depth=2
                                        ;       Child Loop BB55_149 Depth 3
                                        ;       Child Loop BB55_152 Depth 3
	v_cmp_gt_i32_e32 vcc, s33, v1
	s_and_saveexec_b64 s[16:17], vcc
	s_cbranch_execz .LBB55_145
; %bb.147:                              ;   in Loop: Header=BB55_146 Depth=2
	v_ashrrev_i32_e32 v2, 31, v1
	v_lshlrev_b64 v[3:4], 2, v[1:2]
	v_mov_b32_e32 v6, s37
	v_add_co_u32_e32 v5, vcc, s36, v3
	v_addc_co_u32_e32 v6, vcc, v6, v4, vcc
	global_load_dword v7, v[5:6], off
	v_mov_b32_e32 v6, s39
	v_add_co_u32_e32 v5, vcc, s38, v3
	v_addc_co_u32_e32 v6, vcc, v6, v4, vcc
	global_load_dword v6, v[5:6], off
	s_waitcnt vmcnt(1)
	v_add_u32_e32 v5, v43, v7
	s_waitcnt vmcnt(0)
	v_subrev_u32_e32 v10, s64, v6
	v_cmp_lt_i32_e32 vcc, v5, v10
	s_and_saveexec_b64 s[66:67], vcc
	s_cbranch_execz .LBB55_150
; %bb.148:                              ;   in Loop: Header=BB55_146 Depth=2
	v_ashrrev_i32_e32 v6, 31, v5
	v_lshlrev_b64 v[8:9], 4, v[5:6]
	v_mov_b32_e32 v7, s43
	v_add_co_u32_e32 v6, vcc, s42, v8
	v_addc_co_u32_e32 v7, vcc, v7, v9, vcc
	v_mov_b32_e32 v11, s73
	v_add_co_u32_e32 v8, vcc, s72, v8
	v_addc_co_u32_e32 v9, vcc, v11, v9, vcc
	s_mov_b64 s[70:71], 0
.LBB55_149:                             ;   Parent Loop BB55_3 Depth=1
                                        ;     Parent Loop BB55_146 Depth=2
                                        ; =>    This Inner Loop Header: Depth=3
	global_load_dwordx4 v[19:22], v[8:9], off
	v_add_u32_e32 v5, 64, v5
	v_cmp_ge_i32_e32 vcc, v5, v10
	s_or_b64 s[70:71], vcc, s[70:71]
	s_waitcnt vmcnt(0)
	global_store_dwordx4 v[6:7], v[19:22], off
	v_add_co_u32_e32 v6, vcc, 0x400, v6
	v_addc_co_u32_e32 v7, vcc, 0, v7, vcc
	v_add_co_u32_e32 v8, vcc, 0x400, v8
	v_addc_co_u32_e32 v9, vcc, 0, v9, vcc
	s_andn2_b64 exec, exec, s[70:71]
	s_cbranch_execnz .LBB55_149
.LBB55_150:                             ;   in Loop: Header=BB55_146 Depth=2
	s_or_b64 exec, exec, s[66:67]
	v_mov_b32_e32 v6, s21
	v_add_co_u32_e32 v5, vcc, s20, v3
	v_addc_co_u32_e32 v6, vcc, v6, v4, vcc
	global_load_dword v5, v[5:6], off
	v_mov_b32_e32 v6, s23
	v_add_co_u32_e32 v3, vcc, s22, v3
	v_addc_co_u32_e32 v4, vcc, v6, v4, vcc
	global_load_dword v4, v[3:4], off
	s_waitcnt vmcnt(1)
	v_add_u32_e32 v3, v44, v5
	s_waitcnt vmcnt(0)
	v_subrev_u32_e32 v8, s28, v4
	v_cmp_lt_i32_e32 vcc, v3, v8
	s_and_saveexec_b64 s[66:67], vcc
	s_cbranch_execz .LBB55_153
; %bb.151:                              ;   in Loop: Header=BB55_146 Depth=2
	v_ashrrev_i32_e32 v4, 31, v3
	v_lshlrev_b64 v[6:7], 4, v[3:4]
	v_mov_b32_e32 v5, s27
	v_add_co_u32_e32 v4, vcc, s26, v6
	v_addc_co_u32_e32 v5, vcc, v5, v7, vcc
	v_mov_b32_e32 v9, s75
	v_add_co_u32_e32 v6, vcc, s74, v6
	v_addc_co_u32_e32 v7, vcc, v9, v7, vcc
	s_mov_b64 s[70:71], 0
.LBB55_152:                             ;   Parent Loop BB55_3 Depth=1
                                        ;     Parent Loop BB55_146 Depth=2
                                        ; =>    This Inner Loop Header: Depth=3
	global_load_dwordx4 v[9:12], v[6:7], off
	v_add_u32_e32 v3, 64, v3
	v_cmp_ge_i32_e32 vcc, v3, v8
	s_or_b64 s[70:71], vcc, s[70:71]
	s_waitcnt vmcnt(0)
	global_store_dwordx4 v[4:5], v[9:12], off
	v_add_co_u32_e32 v4, vcc, 0x400, v4
	v_addc_co_u32_e32 v5, vcc, 0, v5, vcc
	v_add_co_u32_e32 v6, vcc, 0x400, v6
	v_addc_co_u32_e32 v7, vcc, 0, v7, vcc
	s_andn2_b64 exec, exec, s[70:71]
	s_cbranch_execnz .LBB55_152
.LBB55_153:                             ;   in Loop: Header=BB55_146 Depth=2
	s_or_b64 exec, exec, s[66:67]
	s_and_b64 exec, exec, s[12:13]
	s_cbranch_execz .LBB55_145
; %bb.154:                              ;   in Loop: Header=BB55_146 Depth=2
	v_lshlrev_b64 v[6:7], 4, v[1:2]
	v_mov_b32_e32 v3, s59
	v_add_co_u32_e32 v2, vcc, s58, v6
	v_addc_co_u32_e32 v3, vcc, v3, v7, vcc
	global_load_dwordx4 v[2:5], v[2:3], off
	v_mov_b32_e32 v8, s57
	v_add_co_u32_e32 v6, vcc, s56, v6
	v_addc_co_u32_e32 v7, vcc, v8, v7, vcc
	s_waitcnt vmcnt(0)
	global_store_dwordx4 v[6:7], v[2:5], off
	s_branch .LBB55_145
.LBB55_155:                             ;   in Loop: Header=BB55_3 Depth=1
	s_or_b64 exec, exec, s[4:5]
	s_mov_b64 s[14:15], -1
	s_and_b64 vcc, exec, s[62:63]
	s_mov_b64 s[16:17], -1
	s_cbranch_vccz .LBB55_165
; %bb.156:                              ;   in Loop: Header=BB55_3 Depth=1
	v_readlane_b32 s16, v61, 12
	v_readlane_b32 s17, v61, 13
	s_mov_b64 s[4:5], -1
	s_and_b64 vcc, exec, s[16:17]
                                        ; implicit-def: $sgpr16_sgpr17
	s_cbranch_vccz .LBB55_162
; %bb.157:                              ;   in Loop: Header=BB55_3 Depth=1
	v_readlane_b32 s16, v61, 10
	v_readlane_b32 s17, v61, 11
	s_and_b64 vcc, exec, s[16:17]
                                        ; implicit-def: $sgpr16_sgpr17
	s_cbranch_vccz .LBB55_159
; %bb.158:                              ;   in Loop: Header=BB55_3 Depth=1
	v_readlane_b32 s84, v61, 0
	v_readlane_b32 s86, v61, 2
	;; [unrolled: 1-line block ×4, first 2 shown]
	v_cmp_ge_f64_e64 s[16:17], s[86:87], v[13:14]
	s_mov_b64 s[4:5], 0
.LBB55_159:                             ;   in Loop: Header=BB55_3 Depth=1
	s_andn2_b64 vcc, exec, s[4:5]
	s_cbranch_vccnz .LBB55_161
; %bb.160:                              ;   in Loop: Header=BB55_3 Depth=1
	v_readlane_b32 s84, v61, 0
	v_readlane_b32 s86, v61, 2
	;; [unrolled: 1-line block ×3, first 2 shown]
	v_cmp_ge_f64_e32 vcc, s[86:87], v[15:16]
	s_andn2_b64 s[4:5], s[16:17], exec
	v_readlane_b32 s85, v61, 1
	s_and_b64 s[16:17], vcc, exec
	s_or_b64 s[16:17], s[4:5], s[16:17]
.LBB55_161:                             ;   in Loop: Header=BB55_3 Depth=1
	s_mov_b64 s[4:5], 0
.LBB55_162:                             ;   in Loop: Header=BB55_3 Depth=1
	s_andn2_b64 vcc, exec, s[4:5]
	s_cbranch_vccnz .LBB55_164
; %bb.163:                              ;   in Loop: Header=BB55_3 Depth=1
	v_readlane_b32 s84, v61, 0
	v_readlane_b32 s86, v61, 2
	;; [unrolled: 1-line block ×3, first 2 shown]
	v_cmp_ge_f64_e32 vcc, s[86:87], v[15:16]
	v_cmp_ge_f64_e64 s[4:5], s[86:87], v[13:14]
	s_andn2_b64 s[16:17], s[16:17], exec
	v_readlane_b32 s85, v61, 1
	s_and_b64 s[4:5], vcc, s[4:5]
	s_and_b64 s[4:5], s[4:5], exec
	s_or_b64 s[16:17], s[16:17], s[4:5]
.LBB55_164:                             ;   in Loop: Header=BB55_3 Depth=1
	s_xor_b64 s[16:17], s[16:17], -1
.LBB55_165:                             ;   in Loop: Header=BB55_3 Depth=1
	v_mov_b32_e32 v1, s54
	s_and_saveexec_b64 s[4:5], s[16:17]
	s_cbranch_execz .LBB55_2
; %bb.166:                              ;   in Loop: Header=BB55_3 Depth=1
	s_add_i32 s54, s54, 1
	s_cmp_eq_u32 s54, s65
	s_cselect_b64 s[14:15], -1, 0
	v_mov_b32_e32 v1, s65
	s_orn2_b64 s[14:15], s[14:15], exec
	s_branch .LBB55_2
.LBB55_167:
	s_or_b64 exec, exec, s[78:79]
	v_readlane_b32 s8, v61, 6
	v_readlane_b32 s9, v61, 7
	;; [unrolled: 1-line block ×4, first 2 shown]
.LBB55_168:
	v_readlane_b32 s0, v61, 4
	v_readlane_b32 s1, v61, 5
	s_or_b64 exec, exec, s[0:1]
	s_andn2_b64 vcc, exec, s[62:63]
	s_cbranch_vccnz .LBB55_183
; %bb.169:
	v_mov_b32_dpp v2, v1 row_shr:1 row_mask:0xf bank_mask:0xf
	v_max_i32_e32 v1, v1, v2
	v_cmp_eq_u32_e32 vcc, 63, v38
	s_nop 0
	v_mov_b32_dpp v2, v1 row_shr:2 row_mask:0xf bank_mask:0xf
	v_max_i32_e32 v1, v1, v2
	s_nop 1
	v_mov_b32_dpp v2, v1 row_shr:4 row_mask:0xf bank_mask:0xe
	v_max_i32_e32 v1, v1, v2
	;; [unrolled: 3-line block ×3, first 2 shown]
	s_nop 1
	v_mov_b32_dpp v2, v1 row_bcast:15 row_mask:0xa bank_mask:0xf
	v_max_i32_e32 v1, v1, v2
	s_nop 1
	v_mov_b32_dpp v2, v1 row_bcast:31 row_mask:0xc bank_mask:0xf
	s_and_saveexec_b64 s[0:1], vcc
; %bb.170:
	v_lshlrev_b32_e32 v3, 2, v37
	v_max_i32_e32 v1, v1, v2
	ds_write_b32 v3, v1 offset:128
; %bb.171:
	s_or_b64 exec, exec, s[0:1]
	v_cmp_gt_u32_e32 vcc, 8, v0
	v_lshlrev_b32_e32 v1, 2, v0
	s_waitcnt vmcnt(0) lgkmcnt(0)
	s_barrier
	s_and_saveexec_b64 s[0:1], vcc
	s_cbranch_execz .LBB55_173
; %bb.172:
	ds_read2_b32 v[2:3], v1 offset0:32 offset1:40
	s_waitcnt lgkmcnt(0)
	v_max_i32_e32 v2, v2, v3
	ds_write_b32 v1, v2 offset:128
.LBB55_173:
	s_or_b64 exec, exec, s[0:1]
	v_cmp_gt_u32_e32 vcc, 4, v0
	s_waitcnt lgkmcnt(0)
	s_barrier
	s_and_saveexec_b64 s[0:1], vcc
	s_cbranch_execz .LBB55_175
; %bb.174:
	ds_read2_b32 v[2:3], v1 offset0:32 offset1:36
	s_waitcnt lgkmcnt(0)
	v_max_i32_e32 v2, v2, v3
	ds_write_b32 v1, v2 offset:128
.LBB55_175:
	s_or_b64 exec, exec, s[0:1]
	v_cmp_gt_u32_e32 vcc, 2, v0
	s_waitcnt lgkmcnt(0)
	s_barrier
	s_and_saveexec_b64 s[0:1], vcc
	s_cbranch_execz .LBB55_177
; %bb.176:
	ds_read2_b32 v[2:3], v1 offset0:32 offset1:34
	s_waitcnt lgkmcnt(0)
	v_max_i32_e32 v2, v2, v3
	ds_write_b32 v1, v2 offset:128
.LBB55_177:
	s_or_b64 exec, exec, s[0:1]
	v_cmp_eq_u32_e32 vcc, 0, v0
	s_waitcnt lgkmcnt(0)
	s_barrier
	s_and_saveexec_b64 s[0:1], vcc
	s_cbranch_execz .LBB55_179
; %bb.178:
	v_mov_b32_e32 v3, 0
	ds_read_b64 v[1:2], v3 offset:128
	s_waitcnt lgkmcnt(0)
	v_max_i32_e32 v1, v1, v2
	ds_write_b32 v3, v1 offset:128
.LBB55_179:
	s_or_b64 exec, exec, s[0:1]
	s_waitcnt lgkmcnt(0)
	s_barrier
	s_and_saveexec_b64 s[0:1], vcc
	s_cbranch_execz .LBB55_182
; %bb.180:
	v_mbcnt_lo_u32_b32 v1, exec_lo, 0
	v_mbcnt_hi_u32_b32 v1, exec_hi, v1
	v_cmp_eq_u32_e32 vcc, 0, v1
	s_and_b64 exec, exec, vcc
	s_cbranch_execz .LBB55_182
; %bb.181:
	v_mov_b32_e32 v1, 0
	ds_read_b32 v2, v1 offset:128
	v_readlane_b32 s4, v61, 0
	v_readlane_b32 s5, v61, 1
	;; [unrolled: 1-line block ×4, first 2 shown]
	s_waitcnt lgkmcnt(0)
	v_add_u32_e32 v2, 1, v2
	s_nop 0
	global_atomic_smax v1, v2, s[4:5]
.LBB55_182:
	s_or_b64 exec, exec, s[0:1]
.LBB55_183:
	v_cmp_eq_u32_e32 vcc, 0, v0
	s_and_b64 s[0:1], vcc, s[60:61]
	s_and_saveexec_b64 s[2:3], s[0:1]
	s_cbranch_execz .LBB55_190
; %bb.184:
	v_mov_b32_e32 v0, 0
	s_mov_b64 s[0:1], exec
	v_mov_b32_e32 v1, 0x7ff80000
.LBB55_185:                             ; =>This Inner Loop Header: Depth=1
	s_ff1_i32_b64 s6, s[0:1]
	v_readlane_b32 s5, v16, s6
	v_readlane_b32 s4, v15, s6
	v_max_f64 v[0:1], v[0:1], v[0:1]
	v_max_f64 v[2:3], s[4:5], s[4:5]
	s_lshl_b64 s[4:5], 1, s6
	s_andn2_b64 s[0:1], s[0:1], s[4:5]
	s_cmp_lg_u64 s[0:1], 0
	v_max_f64 v[0:1], v[0:1], v[2:3]
	s_cbranch_scc1 .LBB55_185
; %bb.186:
	v_mbcnt_lo_u32_b32 v2, exec_lo, 0
	v_mbcnt_hi_u32_b32 v2, exec_hi, v2
	v_cmp_eq_u32_e64 s[0:1], 0, v2
	s_and_saveexec_b64 s[4:5], s[0:1]
	s_xor_b64 s[4:5], exec, s[4:5]
	s_cbranch_execz .LBB55_190
; %bb.187:
	v_mov_b32_e32 v6, 0
	global_load_dwordx2 v[2:3], v6, s[8:9]
	v_max_f64 v[4:5], v[0:1], v[0:1]
	s_mov_b64 s[4:5], 0
.LBB55_188:                             ; =>This Inner Loop Header: Depth=1
	s_waitcnt vmcnt(0)
	v_max_f64 v[0:1], v[2:3], v[2:3]
	v_max_f64 v[0:1], v[0:1], v[4:5]
	global_atomic_cmpswap_x2 v[0:1], v6, v[0:3], s[8:9] glc
	s_waitcnt vmcnt(0)
	v_cmp_eq_u64_e64 s[0:1], v[0:1], v[2:3]
	v_mov_b32_e32 v3, v1
	s_or_b64 s[4:5], s[0:1], s[4:5]
	v_mov_b32_e32 v2, v0
	s_andn2_b64 exec, exec, s[4:5]
	s_cbranch_execnz .LBB55_188
; %bb.189:
	s_or_b64 exec, exec, s[4:5]
.LBB55_190:
	s_or_b64 exec, exec, s[2:3]
	s_and_b64 s[0:1], vcc, s[34:35]
	s_and_saveexec_b64 s[2:3], s[0:1]
	s_cbranch_execz .LBB55_196
; %bb.191:
	v_mov_b32_e32 v0, 0
	s_mov_b64 s[0:1], exec
	v_mov_b32_e32 v1, 0x7ff80000
.LBB55_192:                             ; =>This Inner Loop Header: Depth=1
	s_ff1_i32_b64 s4, s[0:1]
	v_readlane_b32 s3, v14, s4
	v_readlane_b32 s2, v13, s4
	v_max_f64 v[0:1], v[0:1], v[0:1]
	v_max_f64 v[2:3], s[2:3], s[2:3]
	s_lshl_b64 s[2:3], 1, s4
	s_andn2_b64 s[0:1], s[0:1], s[2:3]
	s_cmp_lg_u64 s[0:1], 0
	v_max_f64 v[0:1], v[0:1], v[2:3]
	s_cbranch_scc1 .LBB55_192
; %bb.193:
	v_mbcnt_lo_u32_b32 v2, exec_lo, 0
	v_mbcnt_hi_u32_b32 v2, exec_hi, v2
	v_cmp_eq_u32_e32 vcc, 0, v2
	s_and_saveexec_b64 s[0:1], vcc
	s_xor_b64 s[0:1], exec, s[0:1]
	s_cbranch_execz .LBB55_196
; %bb.194:
	v_mov_b32_e32 v6, 0
	global_load_dwordx2 v[2:3], v6, s[10:11]
	v_max_f64 v[4:5], v[0:1], v[0:1]
	s_mov_b64 s[0:1], 0
.LBB55_195:                             ; =>This Inner Loop Header: Depth=1
	s_waitcnt vmcnt(0)
	v_max_f64 v[0:1], v[2:3], v[2:3]
	v_max_f64 v[0:1], v[0:1], v[4:5]
	global_atomic_cmpswap_x2 v[0:1], v6, v[0:3], s[10:11] glc
	s_waitcnt vmcnt(0)
	v_cmp_eq_u64_e32 vcc, v[0:1], v[2:3]
	v_mov_b32_e32 v3, v1
	s_or_b64 s[0:1], vcc, s[0:1]
	v_mov_b32_e32 v2, v0
	s_andn2_b64 exec, exec, s[0:1]
	s_cbranch_execnz .LBB55_195
.LBB55_196:
	s_endpgm
	.section	.rodata,"a",@progbits
	.p2align	6, 0x0
	.amdhsa_kernel _ZN9rocsparseL6kernelILi1024ELi64E21rocsparse_complex_numIdEiiEEvbbbT3_PS3_NS_15floating_traitsIT1_E6data_tES3_T2_PKS9_SB_PKS3_PKS6_21rocsparse_index_base_SB_SB_SD_PS6_SH_SG_SB_SB_SD_SH_SH_SG_SH_SH_PS8_SI_PKS8_
		.amdhsa_group_segment_fixed_size 192
		.amdhsa_private_segment_fixed_size 0
		.amdhsa_kernarg_size 208
		.amdhsa_user_sgpr_count 6
		.amdhsa_user_sgpr_private_segment_buffer 1
		.amdhsa_user_sgpr_dispatch_ptr 0
		.amdhsa_user_sgpr_queue_ptr 0
		.amdhsa_user_sgpr_kernarg_segment_ptr 1
		.amdhsa_user_sgpr_dispatch_id 0
		.amdhsa_user_sgpr_flat_scratch_init 0
		.amdhsa_user_sgpr_private_segment_size 0
		.amdhsa_uses_dynamic_stack 0
		.amdhsa_system_sgpr_private_segment_wavefront_offset 0
		.amdhsa_system_sgpr_workgroup_id_x 1
		.amdhsa_system_sgpr_workgroup_id_y 0
		.amdhsa_system_sgpr_workgroup_id_z 0
		.amdhsa_system_sgpr_workgroup_info 0
		.amdhsa_system_vgpr_workitem_id 0
		.amdhsa_next_free_vgpr 62
		.amdhsa_next_free_sgpr 96
		.amdhsa_reserve_vcc 1
		.amdhsa_reserve_flat_scratch 0
		.amdhsa_float_round_mode_32 0
		.amdhsa_float_round_mode_16_64 0
		.amdhsa_float_denorm_mode_32 3
		.amdhsa_float_denorm_mode_16_64 3
		.amdhsa_dx10_clamp 1
		.amdhsa_ieee_mode 1
		.amdhsa_fp16_overflow 0
		.amdhsa_exception_fp_ieee_invalid_op 0
		.amdhsa_exception_fp_denorm_src 0
		.amdhsa_exception_fp_ieee_div_zero 0
		.amdhsa_exception_fp_ieee_overflow 0
		.amdhsa_exception_fp_ieee_underflow 0
		.amdhsa_exception_fp_ieee_inexact 0
		.amdhsa_exception_int_div_zero 0
	.end_amdhsa_kernel
	.section	.text._ZN9rocsparseL6kernelILi1024ELi64E21rocsparse_complex_numIdEiiEEvbbbT3_PS3_NS_15floating_traitsIT1_E6data_tES3_T2_PKS9_SB_PKS3_PKS6_21rocsparse_index_base_SB_SB_SD_PS6_SH_SG_SB_SB_SD_SH_SH_SG_SH_SH_PS8_SI_PKS8_,"axG",@progbits,_ZN9rocsparseL6kernelILi1024ELi64E21rocsparse_complex_numIdEiiEEvbbbT3_PS3_NS_15floating_traitsIT1_E6data_tES3_T2_PKS9_SB_PKS3_PKS6_21rocsparse_index_base_SB_SB_SD_PS6_SH_SG_SB_SB_SD_SH_SH_SG_SH_SH_PS8_SI_PKS8_,comdat
.Lfunc_end55:
	.size	_ZN9rocsparseL6kernelILi1024ELi64E21rocsparse_complex_numIdEiiEEvbbbT3_PS3_NS_15floating_traitsIT1_E6data_tES3_T2_PKS9_SB_PKS3_PKS6_21rocsparse_index_base_SB_SB_SD_PS6_SH_SG_SB_SB_SD_SH_SH_SG_SH_SH_PS8_SI_PKS8_, .Lfunc_end55-_ZN9rocsparseL6kernelILi1024ELi64E21rocsparse_complex_numIdEiiEEvbbbT3_PS3_NS_15floating_traitsIT1_E6data_tES3_T2_PKS9_SB_PKS3_PKS6_21rocsparse_index_base_SB_SB_SD_PS6_SH_SG_SB_SB_SD_SH_SH_SG_SH_SH_PS8_SI_PKS8_
                                        ; -- End function
	.set _ZN9rocsparseL6kernelILi1024ELi64E21rocsparse_complex_numIdEiiEEvbbbT3_PS3_NS_15floating_traitsIT1_E6data_tES3_T2_PKS9_SB_PKS3_PKS6_21rocsparse_index_base_SB_SB_SD_PS6_SH_SG_SB_SB_SD_SH_SH_SG_SH_SH_PS8_SI_PKS8_.num_vgpr, 62
	.set _ZN9rocsparseL6kernelILi1024ELi64E21rocsparse_complex_numIdEiiEEvbbbT3_PS3_NS_15floating_traitsIT1_E6data_tES3_T2_PKS9_SB_PKS3_PKS6_21rocsparse_index_base_SB_SB_SD_PS6_SH_SG_SB_SB_SD_SH_SH_SG_SH_SH_PS8_SI_PKS8_.num_agpr, 0
	.set _ZN9rocsparseL6kernelILi1024ELi64E21rocsparse_complex_numIdEiiEEvbbbT3_PS3_NS_15floating_traitsIT1_E6data_tES3_T2_PKS9_SB_PKS3_PKS6_21rocsparse_index_base_SB_SB_SD_PS6_SH_SG_SB_SB_SD_SH_SH_SG_SH_SH_PS8_SI_PKS8_.numbered_sgpr, 96
	.set _ZN9rocsparseL6kernelILi1024ELi64E21rocsparse_complex_numIdEiiEEvbbbT3_PS3_NS_15floating_traitsIT1_E6data_tES3_T2_PKS9_SB_PKS3_PKS6_21rocsparse_index_base_SB_SB_SD_PS6_SH_SG_SB_SB_SD_SH_SH_SG_SH_SH_PS8_SI_PKS8_.num_named_barrier, 0
	.set _ZN9rocsparseL6kernelILi1024ELi64E21rocsparse_complex_numIdEiiEEvbbbT3_PS3_NS_15floating_traitsIT1_E6data_tES3_T2_PKS9_SB_PKS3_PKS6_21rocsparse_index_base_SB_SB_SD_PS6_SH_SG_SB_SB_SD_SH_SH_SG_SH_SH_PS8_SI_PKS8_.private_seg_size, 0
	.set _ZN9rocsparseL6kernelILi1024ELi64E21rocsparse_complex_numIdEiiEEvbbbT3_PS3_NS_15floating_traitsIT1_E6data_tES3_T2_PKS9_SB_PKS3_PKS6_21rocsparse_index_base_SB_SB_SD_PS6_SH_SG_SB_SB_SD_SH_SH_SG_SH_SH_PS8_SI_PKS8_.uses_vcc, 1
	.set _ZN9rocsparseL6kernelILi1024ELi64E21rocsparse_complex_numIdEiiEEvbbbT3_PS3_NS_15floating_traitsIT1_E6data_tES3_T2_PKS9_SB_PKS3_PKS6_21rocsparse_index_base_SB_SB_SD_PS6_SH_SG_SB_SB_SD_SH_SH_SG_SH_SH_PS8_SI_PKS8_.uses_flat_scratch, 0
	.set _ZN9rocsparseL6kernelILi1024ELi64E21rocsparse_complex_numIdEiiEEvbbbT3_PS3_NS_15floating_traitsIT1_E6data_tES3_T2_PKS9_SB_PKS3_PKS6_21rocsparse_index_base_SB_SB_SD_PS6_SH_SG_SB_SB_SD_SH_SH_SG_SH_SH_PS8_SI_PKS8_.has_dyn_sized_stack, 0
	.set _ZN9rocsparseL6kernelILi1024ELi64E21rocsparse_complex_numIdEiiEEvbbbT3_PS3_NS_15floating_traitsIT1_E6data_tES3_T2_PKS9_SB_PKS3_PKS6_21rocsparse_index_base_SB_SB_SD_PS6_SH_SG_SB_SB_SD_SH_SH_SG_SH_SH_PS8_SI_PKS8_.has_recursion, 0
	.set _ZN9rocsparseL6kernelILi1024ELi64E21rocsparse_complex_numIdEiiEEvbbbT3_PS3_NS_15floating_traitsIT1_E6data_tES3_T2_PKS9_SB_PKS3_PKS6_21rocsparse_index_base_SB_SB_SD_PS6_SH_SG_SB_SB_SD_SH_SH_SG_SH_SH_PS8_SI_PKS8_.has_indirect_call, 0
	.section	.AMDGPU.csdata,"",@progbits
; Kernel info:
; codeLenInByte = 9104
; TotalNumSgprs: 100
; NumVgprs: 62
; ScratchSize: 0
; MemoryBound: 1
; FloatMode: 240
; IeeeMode: 1
; LDSByteSize: 192 bytes/workgroup (compile time only)
; SGPRBlocks: 12
; VGPRBlocks: 15
; NumSGPRsForWavesPerEU: 100
; NumVGPRsForWavesPerEU: 62
; Occupancy: 4
; WaveLimiterHint : 1
; COMPUTE_PGM_RSRC2:SCRATCH_EN: 0
; COMPUTE_PGM_RSRC2:USER_SGPR: 6
; COMPUTE_PGM_RSRC2:TRAP_HANDLER: 0
; COMPUTE_PGM_RSRC2:TGID_X_EN: 1
; COMPUTE_PGM_RSRC2:TGID_Y_EN: 0
; COMPUTE_PGM_RSRC2:TGID_Z_EN: 0
; COMPUTE_PGM_RSRC2:TIDIG_COMP_CNT: 0
	.section	.AMDGPU.gpr_maximums,"",@progbits
	.set amdgpu.max_num_vgpr, 0
	.set amdgpu.max_num_agpr, 0
	.set amdgpu.max_num_sgpr, 0
	.section	.AMDGPU.csdata,"",@progbits
	.type	__hip_cuid_e3f1a02cab48ecbc,@object ; @__hip_cuid_e3f1a02cab48ecbc
	.section	.bss,"aw",@nobits
	.globl	__hip_cuid_e3f1a02cab48ecbc
__hip_cuid_e3f1a02cab48ecbc:
	.byte	0                               ; 0x0
	.size	__hip_cuid_e3f1a02cab48ecbc, 1

	.ident	"AMD clang version 22.0.0git (https://github.com/RadeonOpenCompute/llvm-project roc-7.2.4 26084 f58b06dce1f9c15707c5f808fd002e18c2accf7e)"
	.section	".note.GNU-stack","",@progbits
	.addrsig
	.addrsig_sym __hip_cuid_e3f1a02cab48ecbc
	.amdgpu_metadata
---
amdhsa.kernels:
  - .args:
      - .offset:         0
        .size:           4
        .value_kind:     by_value
      - .offset:         4
        .size:           4
        .value_kind:     by_value
      - .offset:         8
        .size:           4
        .value_kind:     by_value
      - .actual_access:  read_only
        .address_space:  global
        .offset:         16
        .size:           8
        .value_kind:     global_buffer
      - .actual_access:  read_only
        .address_space:  global
        .offset:         24
        .size:           8
        .value_kind:     global_buffer
      - .actual_access:  read_only
        .address_space:  global
        .offset:         32
        .size:           8
        .value_kind:     global_buffer
      - .actual_access:  read_only
        .address_space:  global
        .offset:         40
        .size:           8
        .value_kind:     global_buffer
      - .offset:         48
        .size:           4
        .value_kind:     by_value
      - .actual_access:  read_only
        .address_space:  global
        .offset:         56
        .size:           8
        .value_kind:     global_buffer
      - .actual_access:  read_only
        .address_space:  global
        .offset:         64
        .size:           8
        .value_kind:     global_buffer
      - .actual_access:  read_only
        .address_space:  global
        .offset:         72
        .size:           8
        .value_kind:     global_buffer
      - .address_space:  global
        .offset:         80
        .size:           8
        .value_kind:     global_buffer
      - .address_space:  global
        .offset:         88
        .size:           8
        .value_kind:     global_buffer
      - .offset:         96
        .size:           4
        .value_kind:     by_value
      - .actual_access:  read_only
        .address_space:  global
        .offset:         104
        .size:           8
        .value_kind:     global_buffer
      - .actual_access:  read_only
        .address_space:  global
        .offset:         112
        .size:           8
        .value_kind:     global_buffer
      - .actual_access:  read_only
        .address_space:  global
        .offset:         120
        .size:           8
        .value_kind:     global_buffer
      - .address_space:  global
        .offset:         128
        .size:           8
        .value_kind:     global_buffer
      - .address_space:  global
        .offset:         136
        .size:           8
        .value_kind:     global_buffer
      - .offset:         144
        .size:           4
        .value_kind:     by_value
      - .address_space:  global
        .offset:         152
        .size:           8
        .value_kind:     global_buffer
      - .address_space:  global
        .offset:         160
        .size:           8
        .value_kind:     global_buffer
    .group_segment_fixed_size: 0
    .kernarg_segment_align: 8
    .kernarg_segment_size: 168
    .language:       OpenCL C
    .language_version:
      - 2
      - 0
    .max_flat_workgroup_size: 1024
    .name:           _ZN9rocsparseL14kernel_freerunILi1024ELi1EfiiEEvT3_S1_T2_PKS2_S4_PKS1_PKT1_21rocsparse_index_base_S4_S4_S6_PS7_SB_SA_S4_S4_S6_SB_SB_SA_SB_SB_
    .private_segment_fixed_size: 0
    .sgpr_count:     72
    .sgpr_spill_count: 0
    .symbol:         _ZN9rocsparseL14kernel_freerunILi1024ELi1EfiiEEvT3_S1_T2_PKS2_S4_PKS1_PKT1_21rocsparse_index_base_S4_S4_S6_PS7_SB_SA_S4_S4_S6_SB_SB_SA_SB_SB_.kd
    .uniform_work_group_size: 1
    .uses_dynamic_stack: false
    .vgpr_count:     33
    .vgpr_spill_count: 0
    .wavefront_size: 64
  - .args:
      - .offset:         0
        .size:           4
        .value_kind:     by_value
      - .offset:         4
        .size:           4
        .value_kind:     by_value
      - .offset:         8
        .size:           4
        .value_kind:     by_value
      - .actual_access:  read_only
        .address_space:  global
        .offset:         16
        .size:           8
        .value_kind:     global_buffer
      - .actual_access:  read_only
        .address_space:  global
        .offset:         24
        .size:           8
        .value_kind:     global_buffer
      - .actual_access:  read_only
        .address_space:  global
        .offset:         32
        .size:           8
        .value_kind:     global_buffer
      - .actual_access:  read_only
        .address_space:  global
        .offset:         40
        .size:           8
        .value_kind:     global_buffer
      - .offset:         48
        .size:           4
        .value_kind:     by_value
      - .actual_access:  read_only
        .address_space:  global
        .offset:         56
        .size:           8
        .value_kind:     global_buffer
      - .actual_access:  read_only
        .address_space:  global
        .offset:         64
        .size:           8
        .value_kind:     global_buffer
      - .actual_access:  read_only
        .address_space:  global
        .offset:         72
        .size:           8
        .value_kind:     global_buffer
      - .address_space:  global
        .offset:         80
        .size:           8
        .value_kind:     global_buffer
      - .address_space:  global
        .offset:         88
        .size:           8
        .value_kind:     global_buffer
      - .offset:         96
        .size:           4
        .value_kind:     by_value
      - .actual_access:  read_only
        .address_space:  global
        .offset:         104
        .size:           8
        .value_kind:     global_buffer
      - .actual_access:  read_only
        .address_space:  global
        .offset:         112
        .size:           8
        .value_kind:     global_buffer
      - .actual_access:  read_only
        .address_space:  global
        .offset:         120
        .size:           8
        .value_kind:     global_buffer
      - .address_space:  global
        .offset:         128
        .size:           8
        .value_kind:     global_buffer
      - .address_space:  global
        .offset:         136
        .size:           8
        .value_kind:     global_buffer
      - .offset:         144
        .size:           4
        .value_kind:     by_value
      - .address_space:  global
        .offset:         152
        .size:           8
        .value_kind:     global_buffer
      - .address_space:  global
        .offset:         160
        .size:           8
        .value_kind:     global_buffer
    .group_segment_fixed_size: 0
    .kernarg_segment_align: 8
    .kernarg_segment_size: 168
    .language:       OpenCL C
    .language_version:
      - 2
      - 0
    .max_flat_workgroup_size: 1024
    .name:           _ZN9rocsparseL14kernel_freerunILi1024ELi2EfiiEEvT3_S1_T2_PKS2_S4_PKS1_PKT1_21rocsparse_index_base_S4_S4_S6_PS7_SB_SA_S4_S4_S6_SB_SB_SA_SB_SB_
    .private_segment_fixed_size: 0
    .sgpr_count:     78
    .sgpr_spill_count: 0
    .symbol:         _ZN9rocsparseL14kernel_freerunILi1024ELi2EfiiEEvT3_S1_T2_PKS2_S4_PKS1_PKT1_21rocsparse_index_base_S4_S4_S6_PS7_SB_SA_S4_S4_S6_SB_SB_SA_SB_SB_.kd
    .uniform_work_group_size: 1
    .uses_dynamic_stack: false
    .vgpr_count:     52
    .vgpr_spill_count: 0
    .wavefront_size: 64
  - .args:
      - .offset:         0
        .size:           4
        .value_kind:     by_value
      - .offset:         4
        .size:           4
        .value_kind:     by_value
      - .offset:         8
        .size:           4
        .value_kind:     by_value
      - .actual_access:  read_only
        .address_space:  global
        .offset:         16
        .size:           8
        .value_kind:     global_buffer
      - .actual_access:  read_only
        .address_space:  global
        .offset:         24
        .size:           8
        .value_kind:     global_buffer
      - .actual_access:  read_only
        .address_space:  global
        .offset:         32
        .size:           8
        .value_kind:     global_buffer
      - .actual_access:  read_only
        .address_space:  global
        .offset:         40
        .size:           8
        .value_kind:     global_buffer
      - .offset:         48
        .size:           4
        .value_kind:     by_value
      - .actual_access:  read_only
        .address_space:  global
        .offset:         56
        .size:           8
        .value_kind:     global_buffer
      - .actual_access:  read_only
        .address_space:  global
        .offset:         64
        .size:           8
        .value_kind:     global_buffer
      - .actual_access:  read_only
        .address_space:  global
        .offset:         72
        .size:           8
        .value_kind:     global_buffer
      - .address_space:  global
        .offset:         80
        .size:           8
        .value_kind:     global_buffer
      - .address_space:  global
        .offset:         88
        .size:           8
        .value_kind:     global_buffer
      - .offset:         96
        .size:           4
        .value_kind:     by_value
      - .actual_access:  read_only
        .address_space:  global
        .offset:         104
        .size:           8
        .value_kind:     global_buffer
      - .actual_access:  read_only
        .address_space:  global
        .offset:         112
        .size:           8
        .value_kind:     global_buffer
      - .actual_access:  read_only
        .address_space:  global
        .offset:         120
        .size:           8
        .value_kind:     global_buffer
      - .address_space:  global
        .offset:         128
        .size:           8
        .value_kind:     global_buffer
      - .address_space:  global
        .offset:         136
        .size:           8
        .value_kind:     global_buffer
      - .offset:         144
        .size:           4
        .value_kind:     by_value
      - .address_space:  global
        .offset:         152
        .size:           8
        .value_kind:     global_buffer
      - .address_space:  global
        .offset:         160
        .size:           8
        .value_kind:     global_buffer
    .group_segment_fixed_size: 0
    .kernarg_segment_align: 8
    .kernarg_segment_size: 168
    .language:       OpenCL C
    .language_version:
      - 2
      - 0
    .max_flat_workgroup_size: 1024
    .name:           _ZN9rocsparseL14kernel_freerunILi1024ELi4EfiiEEvT3_S1_T2_PKS2_S4_PKS1_PKT1_21rocsparse_index_base_S4_S4_S6_PS7_SB_SA_S4_S4_S6_SB_SB_SA_SB_SB_
    .private_segment_fixed_size: 0
    .sgpr_count:     76
    .sgpr_spill_count: 0
    .symbol:         _ZN9rocsparseL14kernel_freerunILi1024ELi4EfiiEEvT3_S1_T2_PKS2_S4_PKS1_PKT1_21rocsparse_index_base_S4_S4_S6_PS7_SB_SA_S4_S4_S6_SB_SB_SA_SB_SB_.kd
    .uniform_work_group_size: 1
    .uses_dynamic_stack: false
    .vgpr_count:     36
    .vgpr_spill_count: 0
    .wavefront_size: 64
  - .args:
      - .offset:         0
        .size:           4
        .value_kind:     by_value
      - .offset:         4
        .size:           4
        .value_kind:     by_value
      - .offset:         8
        .size:           4
        .value_kind:     by_value
      - .actual_access:  read_only
        .address_space:  global
        .offset:         16
        .size:           8
        .value_kind:     global_buffer
      - .actual_access:  read_only
        .address_space:  global
        .offset:         24
        .size:           8
        .value_kind:     global_buffer
      - .actual_access:  read_only
        .address_space:  global
        .offset:         32
        .size:           8
        .value_kind:     global_buffer
      - .actual_access:  read_only
        .address_space:  global
        .offset:         40
        .size:           8
        .value_kind:     global_buffer
      - .offset:         48
        .size:           4
        .value_kind:     by_value
      - .actual_access:  read_only
        .address_space:  global
        .offset:         56
        .size:           8
        .value_kind:     global_buffer
      - .actual_access:  read_only
        .address_space:  global
        .offset:         64
        .size:           8
        .value_kind:     global_buffer
      - .actual_access:  read_only
        .address_space:  global
        .offset:         72
        .size:           8
        .value_kind:     global_buffer
      - .address_space:  global
        .offset:         80
        .size:           8
        .value_kind:     global_buffer
      - .address_space:  global
        .offset:         88
        .size:           8
        .value_kind:     global_buffer
      - .offset:         96
        .size:           4
        .value_kind:     by_value
      - .actual_access:  read_only
        .address_space:  global
        .offset:         104
        .size:           8
        .value_kind:     global_buffer
      - .actual_access:  read_only
        .address_space:  global
        .offset:         112
        .size:           8
        .value_kind:     global_buffer
      - .actual_access:  read_only
        .address_space:  global
        .offset:         120
        .size:           8
        .value_kind:     global_buffer
      - .address_space:  global
        .offset:         128
        .size:           8
        .value_kind:     global_buffer
      - .address_space:  global
        .offset:         136
        .size:           8
        .value_kind:     global_buffer
      - .offset:         144
        .size:           4
        .value_kind:     by_value
      - .address_space:  global
        .offset:         152
        .size:           8
        .value_kind:     global_buffer
      - .address_space:  global
        .offset:         160
        .size:           8
        .value_kind:     global_buffer
    .group_segment_fixed_size: 0
    .kernarg_segment_align: 8
    .kernarg_segment_size: 168
    .language:       OpenCL C
    .language_version:
      - 2
      - 0
    .max_flat_workgroup_size: 1024
    .name:           _ZN9rocsparseL14kernel_freerunILi1024ELi8EfiiEEvT3_S1_T2_PKS2_S4_PKS1_PKT1_21rocsparse_index_base_S4_S4_S6_PS7_SB_SA_S4_S4_S6_SB_SB_SA_SB_SB_
    .private_segment_fixed_size: 0
    .sgpr_count:     76
    .sgpr_spill_count: 0
    .symbol:         _ZN9rocsparseL14kernel_freerunILi1024ELi8EfiiEEvT3_S1_T2_PKS2_S4_PKS1_PKT1_21rocsparse_index_base_S4_S4_S6_PS7_SB_SA_S4_S4_S6_SB_SB_SA_SB_SB_.kd
    .uniform_work_group_size: 1
    .uses_dynamic_stack: false
    .vgpr_count:     36
    .vgpr_spill_count: 0
    .wavefront_size: 64
  - .args:
      - .offset:         0
        .size:           4
        .value_kind:     by_value
      - .offset:         4
        .size:           4
        .value_kind:     by_value
      - .offset:         8
        .size:           4
        .value_kind:     by_value
      - .actual_access:  read_only
        .address_space:  global
        .offset:         16
        .size:           8
        .value_kind:     global_buffer
      - .actual_access:  read_only
        .address_space:  global
        .offset:         24
        .size:           8
        .value_kind:     global_buffer
      - .actual_access:  read_only
        .address_space:  global
        .offset:         32
        .size:           8
        .value_kind:     global_buffer
      - .actual_access:  read_only
        .address_space:  global
        .offset:         40
        .size:           8
        .value_kind:     global_buffer
      - .offset:         48
        .size:           4
        .value_kind:     by_value
      - .actual_access:  read_only
        .address_space:  global
        .offset:         56
        .size:           8
        .value_kind:     global_buffer
      - .actual_access:  read_only
        .address_space:  global
        .offset:         64
        .size:           8
        .value_kind:     global_buffer
      - .actual_access:  read_only
        .address_space:  global
        .offset:         72
        .size:           8
        .value_kind:     global_buffer
      - .address_space:  global
        .offset:         80
        .size:           8
        .value_kind:     global_buffer
      - .address_space:  global
        .offset:         88
        .size:           8
        .value_kind:     global_buffer
      - .offset:         96
        .size:           4
        .value_kind:     by_value
      - .actual_access:  read_only
        .address_space:  global
        .offset:         104
        .size:           8
        .value_kind:     global_buffer
      - .actual_access:  read_only
        .address_space:  global
        .offset:         112
        .size:           8
        .value_kind:     global_buffer
      - .actual_access:  read_only
        .address_space:  global
        .offset:         120
        .size:           8
        .value_kind:     global_buffer
      - .address_space:  global
        .offset:         128
        .size:           8
        .value_kind:     global_buffer
      - .address_space:  global
        .offset:         136
        .size:           8
        .value_kind:     global_buffer
      - .offset:         144
        .size:           4
        .value_kind:     by_value
      - .address_space:  global
        .offset:         152
        .size:           8
        .value_kind:     global_buffer
      - .address_space:  global
        .offset:         160
        .size:           8
        .value_kind:     global_buffer
    .group_segment_fixed_size: 0
    .kernarg_segment_align: 8
    .kernarg_segment_size: 168
    .language:       OpenCL C
    .language_version:
      - 2
      - 0
    .max_flat_workgroup_size: 1024
    .name:           _ZN9rocsparseL14kernel_freerunILi1024ELi16EfiiEEvT3_S1_T2_PKS2_S4_PKS1_PKT1_21rocsparse_index_base_S4_S4_S6_PS7_SB_SA_S4_S4_S6_SB_SB_SA_SB_SB_
    .private_segment_fixed_size: 0
    .sgpr_count:     76
    .sgpr_spill_count: 0
    .symbol:         _ZN9rocsparseL14kernel_freerunILi1024ELi16EfiiEEvT3_S1_T2_PKS2_S4_PKS1_PKT1_21rocsparse_index_base_S4_S4_S6_PS7_SB_SA_S4_S4_S6_SB_SB_SA_SB_SB_.kd
    .uniform_work_group_size: 1
    .uses_dynamic_stack: false
    .vgpr_count:     36
    .vgpr_spill_count: 0
    .wavefront_size: 64
  - .args:
      - .offset:         0
        .size:           4
        .value_kind:     by_value
      - .offset:         4
        .size:           4
        .value_kind:     by_value
      - .offset:         8
        .size:           4
        .value_kind:     by_value
      - .actual_access:  read_only
        .address_space:  global
        .offset:         16
        .size:           8
        .value_kind:     global_buffer
      - .actual_access:  read_only
        .address_space:  global
        .offset:         24
        .size:           8
        .value_kind:     global_buffer
      - .actual_access:  read_only
        .address_space:  global
        .offset:         32
        .size:           8
        .value_kind:     global_buffer
      - .actual_access:  read_only
        .address_space:  global
        .offset:         40
        .size:           8
        .value_kind:     global_buffer
      - .offset:         48
        .size:           4
        .value_kind:     by_value
      - .actual_access:  read_only
        .address_space:  global
        .offset:         56
        .size:           8
        .value_kind:     global_buffer
      - .actual_access:  read_only
        .address_space:  global
        .offset:         64
        .size:           8
        .value_kind:     global_buffer
      - .actual_access:  read_only
        .address_space:  global
        .offset:         72
        .size:           8
        .value_kind:     global_buffer
      - .address_space:  global
        .offset:         80
        .size:           8
        .value_kind:     global_buffer
      - .address_space:  global
        .offset:         88
        .size:           8
        .value_kind:     global_buffer
      - .offset:         96
        .size:           4
        .value_kind:     by_value
      - .actual_access:  read_only
        .address_space:  global
        .offset:         104
        .size:           8
        .value_kind:     global_buffer
      - .actual_access:  read_only
        .address_space:  global
        .offset:         112
        .size:           8
        .value_kind:     global_buffer
      - .actual_access:  read_only
        .address_space:  global
        .offset:         120
        .size:           8
        .value_kind:     global_buffer
      - .address_space:  global
        .offset:         128
        .size:           8
        .value_kind:     global_buffer
      - .address_space:  global
        .offset:         136
        .size:           8
        .value_kind:     global_buffer
      - .offset:         144
        .size:           4
        .value_kind:     by_value
      - .address_space:  global
        .offset:         152
        .size:           8
        .value_kind:     global_buffer
      - .address_space:  global
        .offset:         160
        .size:           8
        .value_kind:     global_buffer
    .group_segment_fixed_size: 0
    .kernarg_segment_align: 8
    .kernarg_segment_size: 168
    .language:       OpenCL C
    .language_version:
      - 2
      - 0
    .max_flat_workgroup_size: 1024
    .name:           _ZN9rocsparseL14kernel_freerunILi1024ELi32EfiiEEvT3_S1_T2_PKS2_S4_PKS1_PKT1_21rocsparse_index_base_S4_S4_S6_PS7_SB_SA_S4_S4_S6_SB_SB_SA_SB_SB_
    .private_segment_fixed_size: 0
    .sgpr_count:     76
    .sgpr_spill_count: 0
    .symbol:         _ZN9rocsparseL14kernel_freerunILi1024ELi32EfiiEEvT3_S1_T2_PKS2_S4_PKS1_PKT1_21rocsparse_index_base_S4_S4_S6_PS7_SB_SA_S4_S4_S6_SB_SB_SA_SB_SB_.kd
    .uniform_work_group_size: 1
    .uses_dynamic_stack: false
    .vgpr_count:     36
    .vgpr_spill_count: 0
    .wavefront_size: 64
  - .args:
      - .offset:         0
        .size:           4
        .value_kind:     by_value
      - .offset:         4
        .size:           4
        .value_kind:     by_value
      - .offset:         8
        .size:           4
        .value_kind:     by_value
      - .actual_access:  read_only
        .address_space:  global
        .offset:         16
        .size:           8
        .value_kind:     global_buffer
      - .actual_access:  read_only
        .address_space:  global
        .offset:         24
        .size:           8
        .value_kind:     global_buffer
      - .actual_access:  read_only
        .address_space:  global
        .offset:         32
        .size:           8
        .value_kind:     global_buffer
      - .actual_access:  read_only
        .address_space:  global
        .offset:         40
        .size:           8
        .value_kind:     global_buffer
      - .offset:         48
        .size:           4
        .value_kind:     by_value
      - .actual_access:  read_only
        .address_space:  global
        .offset:         56
        .size:           8
        .value_kind:     global_buffer
      - .actual_access:  read_only
        .address_space:  global
        .offset:         64
        .size:           8
        .value_kind:     global_buffer
      - .actual_access:  read_only
        .address_space:  global
        .offset:         72
        .size:           8
        .value_kind:     global_buffer
      - .address_space:  global
        .offset:         80
        .size:           8
        .value_kind:     global_buffer
      - .address_space:  global
        .offset:         88
        .size:           8
        .value_kind:     global_buffer
      - .offset:         96
        .size:           4
        .value_kind:     by_value
      - .actual_access:  read_only
        .address_space:  global
        .offset:         104
        .size:           8
        .value_kind:     global_buffer
      - .actual_access:  read_only
        .address_space:  global
        .offset:         112
        .size:           8
        .value_kind:     global_buffer
      - .actual_access:  read_only
        .address_space:  global
        .offset:         120
        .size:           8
        .value_kind:     global_buffer
      - .address_space:  global
        .offset:         128
        .size:           8
        .value_kind:     global_buffer
      - .address_space:  global
        .offset:         136
        .size:           8
        .value_kind:     global_buffer
      - .offset:         144
        .size:           4
        .value_kind:     by_value
      - .address_space:  global
        .offset:         152
        .size:           8
        .value_kind:     global_buffer
      - .address_space:  global
        .offset:         160
        .size:           8
        .value_kind:     global_buffer
    .group_segment_fixed_size: 0
    .kernarg_segment_align: 8
    .kernarg_segment_size: 168
    .language:       OpenCL C
    .language_version:
      - 2
      - 0
    .max_flat_workgroup_size: 1024
    .name:           _ZN9rocsparseL14kernel_freerunILi1024ELi64EfiiEEvT3_S1_T2_PKS2_S4_PKS1_PKT1_21rocsparse_index_base_S4_S4_S6_PS7_SB_SA_S4_S4_S6_SB_SB_SA_SB_SB_
    .private_segment_fixed_size: 0
    .sgpr_count:     76
    .sgpr_spill_count: 0
    .symbol:         _ZN9rocsparseL14kernel_freerunILi1024ELi64EfiiEEvT3_S1_T2_PKS2_S4_PKS1_PKT1_21rocsparse_index_base_S4_S4_S6_PS7_SB_SA_S4_S4_S6_SB_SB_SA_SB_SB_.kd
    .uniform_work_group_size: 1
    .uses_dynamic_stack: false
    .vgpr_count:     36
    .vgpr_spill_count: 0
    .wavefront_size: 64
  - .args:
      - .offset:         0
        .size:           1
        .value_kind:     by_value
      - .offset:         1
        .size:           1
        .value_kind:     by_value
      - .offset:         2
        .size:           1
        .value_kind:     by_value
      - .offset:         4
        .size:           4
        .value_kind:     by_value
      - .address_space:  global
        .offset:         8
        .size:           8
        .value_kind:     global_buffer
      - .offset:         16
        .size:           4
        .value_kind:     by_value
      - .offset:         20
        .size:           4
        .value_kind:     by_value
      - .offset:         24
        .size:           4
        .value_kind:     by_value
      - .actual_access:  read_only
        .address_space:  global
        .offset:         32
        .size:           8
        .value_kind:     global_buffer
      - .actual_access:  read_only
        .address_space:  global
        .offset:         40
        .size:           8
        .value_kind:     global_buffer
      - .actual_access:  read_only
        .address_space:  global
        .offset:         48
        .size:           8
        .value_kind:     global_buffer
      - .actual_access:  read_only
        .address_space:  global
        .offset:         56
        .size:           8
        .value_kind:     global_buffer
      - .offset:         64
        .size:           4
        .value_kind:     by_value
      - .actual_access:  read_only
        .address_space:  global
        .offset:         72
        .size:           8
        .value_kind:     global_buffer
      - .actual_access:  read_only
        .address_space:  global
        .offset:         80
        .size:           8
        .value_kind:     global_buffer
      - .actual_access:  read_only
        .address_space:  global
        .offset:         88
        .size:           8
        .value_kind:     global_buffer
      - .address_space:  global
        .offset:         96
        .size:           8
        .value_kind:     global_buffer
      - .address_space:  global
        .offset:         104
        .size:           8
        .value_kind:     global_buffer
      - .offset:         112
        .size:           4
        .value_kind:     by_value
      - .actual_access:  read_only
        .address_space:  global
        .offset:         120
        .size:           8
        .value_kind:     global_buffer
      - .actual_access:  read_only
        .address_space:  global
        .offset:         128
        .size:           8
        .value_kind:     global_buffer
      - .actual_access:  read_only
        .address_space:  global
        .offset:         136
        .size:           8
        .value_kind:     global_buffer
      - .address_space:  global
        .offset:         144
        .size:           8
        .value_kind:     global_buffer
      - .address_space:  global
        .offset:         152
        .size:           8
        .value_kind:     global_buffer
      - .offset:         160
        .size:           4
        .value_kind:     by_value
      - .address_space:  global
        .offset:         168
        .size:           8
        .value_kind:     global_buffer
      - .address_space:  global
        .offset:         176
        .size:           8
        .value_kind:     global_buffer
      - .address_space:  global
        .offset:         184
        .size:           8
        .value_kind:     global_buffer
      - .address_space:  global
        .offset:         192
        .size:           8
        .value_kind:     global_buffer
      - .actual_access:  read_only
        .address_space:  global
        .offset:         200
        .size:           8
        .value_kind:     global_buffer
    .group_segment_fixed_size: 8192
    .kernarg_segment_align: 8
    .kernarg_segment_size: 208
    .language:       OpenCL C
    .language_version:
      - 2
      - 0
    .max_flat_workgroup_size: 1024
    .name:           _ZN9rocsparseL6kernelILi1024ELi1EfiiEEvbbbT3_PS1_NS_15floating_traitsIT1_E6data_tES1_T2_PKS7_S9_PKS1_PKS4_21rocsparse_index_base_S9_S9_SB_PS4_SF_SE_S9_S9_SB_SF_SF_SE_SF_SF_PS6_SG_PKS6_
    .private_segment_fixed_size: 0
    .sgpr_count:     100
    .sgpr_spill_count: 10
    .symbol:         _ZN9rocsparseL6kernelILi1024ELi1EfiiEEvbbbT3_PS1_NS_15floating_traitsIT1_E6data_tES1_T2_PKS7_S9_PKS1_PKS4_21rocsparse_index_base_S9_S9_SB_PS4_SF_SE_S9_S9_SB_SF_SF_SE_SF_SF_PS6_SG_PKS6_.kd
    .uniform_work_group_size: 1
    .uses_dynamic_stack: false
    .vgpr_count:     38
    .vgpr_spill_count: 0
    .wavefront_size: 64
  - .args:
      - .offset:         0
        .size:           1
        .value_kind:     by_value
      - .offset:         1
        .size:           1
        .value_kind:     by_value
      - .offset:         2
        .size:           1
        .value_kind:     by_value
      - .offset:         4
        .size:           4
        .value_kind:     by_value
      - .address_space:  global
        .offset:         8
        .size:           8
        .value_kind:     global_buffer
      - .offset:         16
        .size:           4
        .value_kind:     by_value
      - .offset:         20
        .size:           4
        .value_kind:     by_value
      - .offset:         24
        .size:           4
        .value_kind:     by_value
      - .actual_access:  read_only
        .address_space:  global
        .offset:         32
        .size:           8
        .value_kind:     global_buffer
      - .actual_access:  read_only
        .address_space:  global
        .offset:         40
        .size:           8
        .value_kind:     global_buffer
      - .actual_access:  read_only
        .address_space:  global
        .offset:         48
        .size:           8
        .value_kind:     global_buffer
      - .actual_access:  read_only
        .address_space:  global
        .offset:         56
        .size:           8
        .value_kind:     global_buffer
      - .offset:         64
        .size:           4
        .value_kind:     by_value
      - .actual_access:  read_only
        .address_space:  global
        .offset:         72
        .size:           8
        .value_kind:     global_buffer
      - .actual_access:  read_only
        .address_space:  global
        .offset:         80
        .size:           8
        .value_kind:     global_buffer
      - .actual_access:  read_only
        .address_space:  global
        .offset:         88
        .size:           8
        .value_kind:     global_buffer
      - .address_space:  global
        .offset:         96
        .size:           8
        .value_kind:     global_buffer
      - .address_space:  global
        .offset:         104
        .size:           8
        .value_kind:     global_buffer
      - .offset:         112
        .size:           4
        .value_kind:     by_value
      - .actual_access:  read_only
        .address_space:  global
        .offset:         120
        .size:           8
        .value_kind:     global_buffer
      - .actual_access:  read_only
        .address_space:  global
        .offset:         128
        .size:           8
        .value_kind:     global_buffer
      - .actual_access:  read_only
        .address_space:  global
        .offset:         136
        .size:           8
        .value_kind:     global_buffer
      - .address_space:  global
        .offset:         144
        .size:           8
        .value_kind:     global_buffer
      - .address_space:  global
        .offset:         152
        .size:           8
        .value_kind:     global_buffer
      - .offset:         160
        .size:           4
        .value_kind:     by_value
      - .address_space:  global
        .offset:         168
        .size:           8
        .value_kind:     global_buffer
      - .address_space:  global
        .offset:         176
        .size:           8
        .value_kind:     global_buffer
      - .address_space:  global
        .offset:         184
        .size:           8
        .value_kind:     global_buffer
      - .address_space:  global
        .offset:         192
        .size:           8
        .value_kind:     global_buffer
      - .actual_access:  read_only
        .address_space:  global
        .offset:         200
        .size:           8
        .value_kind:     global_buffer
    .group_segment_fixed_size: 4096
    .kernarg_segment_align: 8
    .kernarg_segment_size: 208
    .language:       OpenCL C
    .language_version:
      - 2
      - 0
    .max_flat_workgroup_size: 1024
    .name:           _ZN9rocsparseL6kernelILi1024ELi2EfiiEEvbbbT3_PS1_NS_15floating_traitsIT1_E6data_tES1_T2_PKS7_S9_PKS1_PKS4_21rocsparse_index_base_S9_S9_SB_PS4_SF_SE_S9_S9_SB_SF_SF_SE_SF_SF_PS6_SG_PKS6_
    .private_segment_fixed_size: 0
    .sgpr_count:     100
    .sgpr_spill_count: 18
    .symbol:         _ZN9rocsparseL6kernelILi1024ELi2EfiiEEvbbbT3_PS1_NS_15floating_traitsIT1_E6data_tES1_T2_PKS7_S9_PKS1_PKS4_21rocsparse_index_base_S9_S9_SB_PS4_SF_SE_S9_S9_SB_SF_SF_SE_SF_SF_PS6_SG_PKS6_.kd
    .uniform_work_group_size: 1
    .uses_dynamic_stack: false
    .vgpr_count:     44
    .vgpr_spill_count: 0
    .wavefront_size: 64
  - .args:
      - .offset:         0
        .size:           1
        .value_kind:     by_value
      - .offset:         1
        .size:           1
        .value_kind:     by_value
      - .offset:         2
        .size:           1
        .value_kind:     by_value
      - .offset:         4
        .size:           4
        .value_kind:     by_value
      - .address_space:  global
        .offset:         8
        .size:           8
        .value_kind:     global_buffer
      - .offset:         16
        .size:           4
        .value_kind:     by_value
      - .offset:         20
        .size:           4
        .value_kind:     by_value
      - .offset:         24
        .size:           4
        .value_kind:     by_value
      - .actual_access:  read_only
        .address_space:  global
        .offset:         32
        .size:           8
        .value_kind:     global_buffer
      - .actual_access:  read_only
        .address_space:  global
        .offset:         40
        .size:           8
        .value_kind:     global_buffer
      - .actual_access:  read_only
        .address_space:  global
        .offset:         48
        .size:           8
        .value_kind:     global_buffer
      - .actual_access:  read_only
        .address_space:  global
        .offset:         56
        .size:           8
        .value_kind:     global_buffer
      - .offset:         64
        .size:           4
        .value_kind:     by_value
      - .actual_access:  read_only
        .address_space:  global
        .offset:         72
        .size:           8
        .value_kind:     global_buffer
      - .actual_access:  read_only
        .address_space:  global
        .offset:         80
        .size:           8
        .value_kind:     global_buffer
      - .actual_access:  read_only
        .address_space:  global
        .offset:         88
        .size:           8
        .value_kind:     global_buffer
      - .address_space:  global
        .offset:         96
        .size:           8
        .value_kind:     global_buffer
      - .address_space:  global
        .offset:         104
        .size:           8
        .value_kind:     global_buffer
      - .offset:         112
        .size:           4
        .value_kind:     by_value
      - .actual_access:  read_only
        .address_space:  global
        .offset:         120
        .size:           8
        .value_kind:     global_buffer
      - .actual_access:  read_only
        .address_space:  global
        .offset:         128
        .size:           8
        .value_kind:     global_buffer
      - .actual_access:  read_only
        .address_space:  global
        .offset:         136
        .size:           8
        .value_kind:     global_buffer
      - .address_space:  global
        .offset:         144
        .size:           8
        .value_kind:     global_buffer
      - .address_space:  global
        .offset:         152
        .size:           8
        .value_kind:     global_buffer
      - .offset:         160
        .size:           4
        .value_kind:     by_value
      - .address_space:  global
        .offset:         168
        .size:           8
        .value_kind:     global_buffer
      - .address_space:  global
        .offset:         176
        .size:           8
        .value_kind:     global_buffer
      - .address_space:  global
        .offset:         184
        .size:           8
        .value_kind:     global_buffer
      - .address_space:  global
        .offset:         192
        .size:           8
        .value_kind:     global_buffer
      - .actual_access:  read_only
        .address_space:  global
        .offset:         200
        .size:           8
        .value_kind:     global_buffer
    .group_segment_fixed_size: 2048
    .kernarg_segment_align: 8
    .kernarg_segment_size: 208
    .language:       OpenCL C
    .language_version:
      - 2
      - 0
    .max_flat_workgroup_size: 1024
    .name:           _ZN9rocsparseL6kernelILi1024ELi4EfiiEEvbbbT3_PS1_NS_15floating_traitsIT1_E6data_tES1_T2_PKS7_S9_PKS1_PKS4_21rocsparse_index_base_S9_S9_SB_PS4_SF_SE_S9_S9_SB_SF_SF_SE_SF_SF_PS6_SG_PKS6_
    .private_segment_fixed_size: 0
    .sgpr_count:     100
    .sgpr_spill_count: 16
    .symbol:         _ZN9rocsparseL6kernelILi1024ELi4EfiiEEvbbbT3_PS1_NS_15floating_traitsIT1_E6data_tES1_T2_PKS7_S9_PKS1_PKS4_21rocsparse_index_base_S9_S9_SB_PS4_SF_SE_S9_S9_SB_SF_SF_SE_SF_SF_PS6_SG_PKS6_.kd
    .uniform_work_group_size: 1
    .uses_dynamic_stack: false
    .vgpr_count:     44
    .vgpr_spill_count: 0
    .wavefront_size: 64
  - .args:
      - .offset:         0
        .size:           1
        .value_kind:     by_value
      - .offset:         1
        .size:           1
        .value_kind:     by_value
      - .offset:         2
        .size:           1
        .value_kind:     by_value
      - .offset:         4
        .size:           4
        .value_kind:     by_value
      - .address_space:  global
        .offset:         8
        .size:           8
        .value_kind:     global_buffer
      - .offset:         16
        .size:           4
        .value_kind:     by_value
      - .offset:         20
        .size:           4
        .value_kind:     by_value
      - .offset:         24
        .size:           4
        .value_kind:     by_value
      - .actual_access:  read_only
        .address_space:  global
        .offset:         32
        .size:           8
        .value_kind:     global_buffer
      - .actual_access:  read_only
        .address_space:  global
        .offset:         40
        .size:           8
        .value_kind:     global_buffer
      - .actual_access:  read_only
        .address_space:  global
        .offset:         48
        .size:           8
        .value_kind:     global_buffer
      - .actual_access:  read_only
        .address_space:  global
        .offset:         56
        .size:           8
        .value_kind:     global_buffer
      - .offset:         64
        .size:           4
        .value_kind:     by_value
      - .actual_access:  read_only
        .address_space:  global
        .offset:         72
        .size:           8
        .value_kind:     global_buffer
      - .actual_access:  read_only
        .address_space:  global
        .offset:         80
        .size:           8
        .value_kind:     global_buffer
      - .actual_access:  read_only
        .address_space:  global
        .offset:         88
        .size:           8
        .value_kind:     global_buffer
      - .address_space:  global
        .offset:         96
        .size:           8
        .value_kind:     global_buffer
      - .address_space:  global
        .offset:         104
        .size:           8
        .value_kind:     global_buffer
      - .offset:         112
        .size:           4
        .value_kind:     by_value
      - .actual_access:  read_only
        .address_space:  global
        .offset:         120
        .size:           8
        .value_kind:     global_buffer
      - .actual_access:  read_only
        .address_space:  global
        .offset:         128
        .size:           8
        .value_kind:     global_buffer
      - .actual_access:  read_only
        .address_space:  global
        .offset:         136
        .size:           8
        .value_kind:     global_buffer
      - .address_space:  global
        .offset:         144
        .size:           8
        .value_kind:     global_buffer
      - .address_space:  global
        .offset:         152
        .size:           8
        .value_kind:     global_buffer
      - .offset:         160
        .size:           4
        .value_kind:     by_value
      - .address_space:  global
        .offset:         168
        .size:           8
        .value_kind:     global_buffer
      - .address_space:  global
        .offset:         176
        .size:           8
        .value_kind:     global_buffer
      - .address_space:  global
        .offset:         184
        .size:           8
        .value_kind:     global_buffer
      - .address_space:  global
        .offset:         192
        .size:           8
        .value_kind:     global_buffer
      - .actual_access:  read_only
        .address_space:  global
        .offset:         200
        .size:           8
        .value_kind:     global_buffer
    .group_segment_fixed_size: 1024
    .kernarg_segment_align: 8
    .kernarg_segment_size: 208
    .language:       OpenCL C
    .language_version:
      - 2
      - 0
    .max_flat_workgroup_size: 1024
    .name:           _ZN9rocsparseL6kernelILi1024ELi8EfiiEEvbbbT3_PS1_NS_15floating_traitsIT1_E6data_tES1_T2_PKS7_S9_PKS1_PKS4_21rocsparse_index_base_S9_S9_SB_PS4_SF_SE_S9_S9_SB_SF_SF_SE_SF_SF_PS6_SG_PKS6_
    .private_segment_fixed_size: 0
    .sgpr_count:     100
    .sgpr_spill_count: 14
    .symbol:         _ZN9rocsparseL6kernelILi1024ELi8EfiiEEvbbbT3_PS1_NS_15floating_traitsIT1_E6data_tES1_T2_PKS7_S9_PKS1_PKS4_21rocsparse_index_base_S9_S9_SB_PS4_SF_SE_S9_S9_SB_SF_SF_SE_SF_SF_PS6_SG_PKS6_.kd
    .uniform_work_group_size: 1
    .uses_dynamic_stack: false
    .vgpr_count:     44
    .vgpr_spill_count: 0
    .wavefront_size: 64
  - .args:
      - .offset:         0
        .size:           1
        .value_kind:     by_value
      - .offset:         1
        .size:           1
        .value_kind:     by_value
      - .offset:         2
        .size:           1
        .value_kind:     by_value
      - .offset:         4
        .size:           4
        .value_kind:     by_value
      - .address_space:  global
        .offset:         8
        .size:           8
        .value_kind:     global_buffer
      - .offset:         16
        .size:           4
        .value_kind:     by_value
      - .offset:         20
        .size:           4
        .value_kind:     by_value
      - .offset:         24
        .size:           4
        .value_kind:     by_value
      - .actual_access:  read_only
        .address_space:  global
        .offset:         32
        .size:           8
        .value_kind:     global_buffer
      - .actual_access:  read_only
        .address_space:  global
        .offset:         40
        .size:           8
        .value_kind:     global_buffer
      - .actual_access:  read_only
        .address_space:  global
        .offset:         48
        .size:           8
        .value_kind:     global_buffer
      - .actual_access:  read_only
        .address_space:  global
        .offset:         56
        .size:           8
        .value_kind:     global_buffer
      - .offset:         64
        .size:           4
        .value_kind:     by_value
      - .actual_access:  read_only
        .address_space:  global
        .offset:         72
        .size:           8
        .value_kind:     global_buffer
      - .actual_access:  read_only
        .address_space:  global
        .offset:         80
        .size:           8
        .value_kind:     global_buffer
      - .actual_access:  read_only
        .address_space:  global
        .offset:         88
        .size:           8
        .value_kind:     global_buffer
      - .address_space:  global
        .offset:         96
        .size:           8
        .value_kind:     global_buffer
      - .address_space:  global
        .offset:         104
        .size:           8
        .value_kind:     global_buffer
      - .offset:         112
        .size:           4
        .value_kind:     by_value
      - .actual_access:  read_only
        .address_space:  global
        .offset:         120
        .size:           8
        .value_kind:     global_buffer
      - .actual_access:  read_only
        .address_space:  global
        .offset:         128
        .size:           8
        .value_kind:     global_buffer
      - .actual_access:  read_only
        .address_space:  global
        .offset:         136
        .size:           8
        .value_kind:     global_buffer
      - .address_space:  global
        .offset:         144
        .size:           8
        .value_kind:     global_buffer
      - .address_space:  global
        .offset:         152
        .size:           8
        .value_kind:     global_buffer
      - .offset:         160
        .size:           4
        .value_kind:     by_value
      - .address_space:  global
        .offset:         168
        .size:           8
        .value_kind:     global_buffer
      - .address_space:  global
        .offset:         176
        .size:           8
        .value_kind:     global_buffer
      - .address_space:  global
        .offset:         184
        .size:           8
        .value_kind:     global_buffer
      - .address_space:  global
        .offset:         192
        .size:           8
        .value_kind:     global_buffer
      - .actual_access:  read_only
        .address_space:  global
        .offset:         200
        .size:           8
        .value_kind:     global_buffer
    .group_segment_fixed_size: 512
    .kernarg_segment_align: 8
    .kernarg_segment_size: 208
    .language:       OpenCL C
    .language_version:
      - 2
      - 0
    .max_flat_workgroup_size: 1024
    .name:           _ZN9rocsparseL6kernelILi1024ELi16EfiiEEvbbbT3_PS1_NS_15floating_traitsIT1_E6data_tES1_T2_PKS7_S9_PKS1_PKS4_21rocsparse_index_base_S9_S9_SB_PS4_SF_SE_S9_S9_SB_SF_SF_SE_SF_SF_PS6_SG_PKS6_
    .private_segment_fixed_size: 0
    .sgpr_count:     100
    .sgpr_spill_count: 12
    .symbol:         _ZN9rocsparseL6kernelILi1024ELi16EfiiEEvbbbT3_PS1_NS_15floating_traitsIT1_E6data_tES1_T2_PKS7_S9_PKS1_PKS4_21rocsparse_index_base_S9_S9_SB_PS4_SF_SE_S9_S9_SB_SF_SF_SE_SF_SF_PS6_SG_PKS6_.kd
    .uniform_work_group_size: 1
    .uses_dynamic_stack: false
    .vgpr_count:     44
    .vgpr_spill_count: 0
    .wavefront_size: 64
  - .args:
      - .offset:         0
        .size:           1
        .value_kind:     by_value
      - .offset:         1
        .size:           1
        .value_kind:     by_value
      - .offset:         2
        .size:           1
        .value_kind:     by_value
      - .offset:         4
        .size:           4
        .value_kind:     by_value
      - .address_space:  global
        .offset:         8
        .size:           8
        .value_kind:     global_buffer
      - .offset:         16
        .size:           4
        .value_kind:     by_value
      - .offset:         20
        .size:           4
        .value_kind:     by_value
      - .offset:         24
        .size:           4
        .value_kind:     by_value
      - .actual_access:  read_only
        .address_space:  global
        .offset:         32
        .size:           8
        .value_kind:     global_buffer
      - .actual_access:  read_only
        .address_space:  global
        .offset:         40
        .size:           8
        .value_kind:     global_buffer
      - .actual_access:  read_only
        .address_space:  global
        .offset:         48
        .size:           8
        .value_kind:     global_buffer
      - .actual_access:  read_only
        .address_space:  global
        .offset:         56
        .size:           8
        .value_kind:     global_buffer
      - .offset:         64
        .size:           4
        .value_kind:     by_value
      - .actual_access:  read_only
        .address_space:  global
        .offset:         72
        .size:           8
        .value_kind:     global_buffer
      - .actual_access:  read_only
        .address_space:  global
        .offset:         80
        .size:           8
        .value_kind:     global_buffer
      - .actual_access:  read_only
        .address_space:  global
        .offset:         88
        .size:           8
        .value_kind:     global_buffer
      - .address_space:  global
        .offset:         96
        .size:           8
        .value_kind:     global_buffer
      - .address_space:  global
        .offset:         104
        .size:           8
        .value_kind:     global_buffer
      - .offset:         112
        .size:           4
        .value_kind:     by_value
      - .actual_access:  read_only
        .address_space:  global
        .offset:         120
        .size:           8
        .value_kind:     global_buffer
      - .actual_access:  read_only
        .address_space:  global
        .offset:         128
        .size:           8
        .value_kind:     global_buffer
      - .actual_access:  read_only
        .address_space:  global
        .offset:         136
        .size:           8
        .value_kind:     global_buffer
      - .address_space:  global
        .offset:         144
        .size:           8
        .value_kind:     global_buffer
      - .address_space:  global
        .offset:         152
        .size:           8
        .value_kind:     global_buffer
      - .offset:         160
        .size:           4
        .value_kind:     by_value
      - .address_space:  global
        .offset:         168
        .size:           8
        .value_kind:     global_buffer
      - .address_space:  global
        .offset:         176
        .size:           8
        .value_kind:     global_buffer
      - .address_space:  global
        .offset:         184
        .size:           8
        .value_kind:     global_buffer
      - .address_space:  global
        .offset:         192
        .size:           8
        .value_kind:     global_buffer
      - .actual_access:  read_only
        .address_space:  global
        .offset:         200
        .size:           8
        .value_kind:     global_buffer
    .group_segment_fixed_size: 256
    .kernarg_segment_align: 8
    .kernarg_segment_size: 208
    .language:       OpenCL C
    .language_version:
      - 2
      - 0
    .max_flat_workgroup_size: 1024
    .name:           _ZN9rocsparseL6kernelILi1024ELi32EfiiEEvbbbT3_PS1_NS_15floating_traitsIT1_E6data_tES1_T2_PKS7_S9_PKS1_PKS4_21rocsparse_index_base_S9_S9_SB_PS4_SF_SE_S9_S9_SB_SF_SF_SE_SF_SF_PS6_SG_PKS6_
    .private_segment_fixed_size: 0
    .sgpr_count:     100
    .sgpr_spill_count: 12
    .symbol:         _ZN9rocsparseL6kernelILi1024ELi32EfiiEEvbbbT3_PS1_NS_15floating_traitsIT1_E6data_tES1_T2_PKS7_S9_PKS1_PKS4_21rocsparse_index_base_S9_S9_SB_PS4_SF_SE_S9_S9_SB_SF_SF_SE_SF_SF_PS6_SG_PKS6_.kd
    .uniform_work_group_size: 1
    .uses_dynamic_stack: false
    .vgpr_count:     44
    .vgpr_spill_count: 0
    .wavefront_size: 64
  - .args:
      - .offset:         0
        .size:           1
        .value_kind:     by_value
      - .offset:         1
        .size:           1
        .value_kind:     by_value
      - .offset:         2
        .size:           1
        .value_kind:     by_value
      - .offset:         4
        .size:           4
        .value_kind:     by_value
      - .address_space:  global
        .offset:         8
        .size:           8
        .value_kind:     global_buffer
      - .offset:         16
        .size:           4
        .value_kind:     by_value
      - .offset:         20
        .size:           4
        .value_kind:     by_value
      - .offset:         24
        .size:           4
        .value_kind:     by_value
      - .actual_access:  read_only
        .address_space:  global
        .offset:         32
        .size:           8
        .value_kind:     global_buffer
      - .actual_access:  read_only
        .address_space:  global
        .offset:         40
        .size:           8
        .value_kind:     global_buffer
      - .actual_access:  read_only
        .address_space:  global
        .offset:         48
        .size:           8
        .value_kind:     global_buffer
      - .actual_access:  read_only
        .address_space:  global
        .offset:         56
        .size:           8
        .value_kind:     global_buffer
      - .offset:         64
        .size:           4
        .value_kind:     by_value
      - .actual_access:  read_only
        .address_space:  global
        .offset:         72
        .size:           8
        .value_kind:     global_buffer
      - .actual_access:  read_only
        .address_space:  global
        .offset:         80
        .size:           8
        .value_kind:     global_buffer
      - .actual_access:  read_only
        .address_space:  global
        .offset:         88
        .size:           8
        .value_kind:     global_buffer
      - .address_space:  global
        .offset:         96
        .size:           8
        .value_kind:     global_buffer
      - .address_space:  global
        .offset:         104
        .size:           8
        .value_kind:     global_buffer
      - .offset:         112
        .size:           4
        .value_kind:     by_value
      - .actual_access:  read_only
        .address_space:  global
        .offset:         120
        .size:           8
        .value_kind:     global_buffer
      - .actual_access:  read_only
        .address_space:  global
        .offset:         128
        .size:           8
        .value_kind:     global_buffer
      - .actual_access:  read_only
        .address_space:  global
        .offset:         136
        .size:           8
        .value_kind:     global_buffer
      - .address_space:  global
        .offset:         144
        .size:           8
        .value_kind:     global_buffer
      - .address_space:  global
        .offset:         152
        .size:           8
        .value_kind:     global_buffer
      - .offset:         160
        .size:           4
        .value_kind:     by_value
      - .address_space:  global
        .offset:         168
        .size:           8
        .value_kind:     global_buffer
      - .address_space:  global
        .offset:         176
        .size:           8
        .value_kind:     global_buffer
      - .address_space:  global
        .offset:         184
        .size:           8
        .value_kind:     global_buffer
      - .address_space:  global
        .offset:         192
        .size:           8
        .value_kind:     global_buffer
      - .actual_access:  read_only
        .address_space:  global
        .offset:         200
        .size:           8
        .value_kind:     global_buffer
    .group_segment_fixed_size: 128
    .kernarg_segment_align: 8
    .kernarg_segment_size: 208
    .language:       OpenCL C
    .language_version:
      - 2
      - 0
    .max_flat_workgroup_size: 1024
    .name:           _ZN9rocsparseL6kernelILi1024ELi64EfiiEEvbbbT3_PS1_NS_15floating_traitsIT1_E6data_tES1_T2_PKS7_S9_PKS1_PKS4_21rocsparse_index_base_S9_S9_SB_PS4_SF_SE_S9_S9_SB_SF_SF_SE_SF_SF_PS6_SG_PKS6_
    .private_segment_fixed_size: 0
    .sgpr_count:     100
    .sgpr_spill_count: 6
    .symbol:         _ZN9rocsparseL6kernelILi1024ELi64EfiiEEvbbbT3_PS1_NS_15floating_traitsIT1_E6data_tES1_T2_PKS7_S9_PKS1_PKS4_21rocsparse_index_base_S9_S9_SB_PS4_SF_SE_S9_S9_SB_SF_SF_SE_SF_SF_PS6_SG_PKS6_.kd
    .uniform_work_group_size: 1
    .uses_dynamic_stack: false
    .vgpr_count:     44
    .vgpr_spill_count: 0
    .wavefront_size: 64
  - .args:
      - .offset:         0
        .size:           4
        .value_kind:     by_value
      - .offset:         4
        .size:           4
        .value_kind:     by_value
      - .offset:         8
        .size:           4
        .value_kind:     by_value
      - .actual_access:  read_only
        .address_space:  global
        .offset:         16
        .size:           8
        .value_kind:     global_buffer
      - .actual_access:  read_only
        .address_space:  global
        .offset:         24
        .size:           8
        .value_kind:     global_buffer
      - .actual_access:  read_only
        .address_space:  global
        .offset:         32
        .size:           8
        .value_kind:     global_buffer
      - .actual_access:  read_only
        .address_space:  global
        .offset:         40
        .size:           8
        .value_kind:     global_buffer
      - .offset:         48
        .size:           4
        .value_kind:     by_value
      - .actual_access:  read_only
        .address_space:  global
        .offset:         56
        .size:           8
        .value_kind:     global_buffer
      - .actual_access:  read_only
        .address_space:  global
        .offset:         64
        .size:           8
        .value_kind:     global_buffer
      - .actual_access:  read_only
        .address_space:  global
        .offset:         72
        .size:           8
        .value_kind:     global_buffer
      - .address_space:  global
        .offset:         80
        .size:           8
        .value_kind:     global_buffer
      - .address_space:  global
        .offset:         88
        .size:           8
        .value_kind:     global_buffer
      - .offset:         96
        .size:           4
        .value_kind:     by_value
      - .actual_access:  read_only
        .address_space:  global
        .offset:         104
        .size:           8
        .value_kind:     global_buffer
      - .actual_access:  read_only
        .address_space:  global
        .offset:         112
        .size:           8
        .value_kind:     global_buffer
      - .actual_access:  read_only
        .address_space:  global
        .offset:         120
        .size:           8
        .value_kind:     global_buffer
      - .address_space:  global
        .offset:         128
        .size:           8
        .value_kind:     global_buffer
      - .address_space:  global
        .offset:         136
        .size:           8
        .value_kind:     global_buffer
      - .offset:         144
        .size:           4
        .value_kind:     by_value
      - .address_space:  global
        .offset:         152
        .size:           8
        .value_kind:     global_buffer
      - .address_space:  global
        .offset:         160
        .size:           8
        .value_kind:     global_buffer
    .group_segment_fixed_size: 0
    .kernarg_segment_align: 8
    .kernarg_segment_size: 168
    .language:       OpenCL C
    .language_version:
      - 2
      - 0
    .max_flat_workgroup_size: 1024
    .name:           _ZN9rocsparseL14kernel_freerunILi1024ELi1EdiiEEvT3_S1_T2_PKS2_S4_PKS1_PKT1_21rocsparse_index_base_S4_S4_S6_PS7_SB_SA_S4_S4_S6_SB_SB_SA_SB_SB_
    .private_segment_fixed_size: 0
    .sgpr_count:     72
    .sgpr_spill_count: 0
    .symbol:         _ZN9rocsparseL14kernel_freerunILi1024ELi1EdiiEEvT3_S1_T2_PKS2_S4_PKS1_PKT1_21rocsparse_index_base_S4_S4_S6_PS7_SB_SA_S4_S4_S6_SB_SB_SA_SB_SB_.kd
    .uniform_work_group_size: 1
    .uses_dynamic_stack: false
    .vgpr_count:     31
    .vgpr_spill_count: 0
    .wavefront_size: 64
  - .args:
      - .offset:         0
        .size:           4
        .value_kind:     by_value
      - .offset:         4
        .size:           4
        .value_kind:     by_value
      - .offset:         8
        .size:           4
        .value_kind:     by_value
      - .actual_access:  read_only
        .address_space:  global
        .offset:         16
        .size:           8
        .value_kind:     global_buffer
      - .actual_access:  read_only
        .address_space:  global
        .offset:         24
        .size:           8
        .value_kind:     global_buffer
      - .actual_access:  read_only
        .address_space:  global
        .offset:         32
        .size:           8
        .value_kind:     global_buffer
      - .actual_access:  read_only
        .address_space:  global
        .offset:         40
        .size:           8
        .value_kind:     global_buffer
      - .offset:         48
        .size:           4
        .value_kind:     by_value
      - .actual_access:  read_only
        .address_space:  global
        .offset:         56
        .size:           8
        .value_kind:     global_buffer
      - .actual_access:  read_only
        .address_space:  global
        .offset:         64
        .size:           8
        .value_kind:     global_buffer
      - .actual_access:  read_only
        .address_space:  global
        .offset:         72
        .size:           8
        .value_kind:     global_buffer
      - .address_space:  global
        .offset:         80
        .size:           8
        .value_kind:     global_buffer
      - .address_space:  global
        .offset:         88
        .size:           8
        .value_kind:     global_buffer
      - .offset:         96
        .size:           4
        .value_kind:     by_value
      - .actual_access:  read_only
        .address_space:  global
        .offset:         104
        .size:           8
        .value_kind:     global_buffer
      - .actual_access:  read_only
        .address_space:  global
        .offset:         112
        .size:           8
        .value_kind:     global_buffer
      - .actual_access:  read_only
        .address_space:  global
        .offset:         120
        .size:           8
        .value_kind:     global_buffer
      - .address_space:  global
        .offset:         128
        .size:           8
        .value_kind:     global_buffer
      - .address_space:  global
        .offset:         136
        .size:           8
        .value_kind:     global_buffer
      - .offset:         144
        .size:           4
        .value_kind:     by_value
      - .address_space:  global
        .offset:         152
        .size:           8
        .value_kind:     global_buffer
      - .address_space:  global
        .offset:         160
        .size:           8
        .value_kind:     global_buffer
    .group_segment_fixed_size: 0
    .kernarg_segment_align: 8
    .kernarg_segment_size: 168
    .language:       OpenCL C
    .language_version:
      - 2
      - 0
    .max_flat_workgroup_size: 1024
    .name:           _ZN9rocsparseL14kernel_freerunILi1024ELi2EdiiEEvT3_S1_T2_PKS2_S4_PKS1_PKT1_21rocsparse_index_base_S4_S4_S6_PS7_SB_SA_S4_S4_S6_SB_SB_SA_SB_SB_
    .private_segment_fixed_size: 0
    .sgpr_count:     78
    .sgpr_spill_count: 0
    .symbol:         _ZN9rocsparseL14kernel_freerunILi1024ELi2EdiiEEvT3_S1_T2_PKS2_S4_PKS1_PKT1_21rocsparse_index_base_S4_S4_S6_PS7_SB_SA_S4_S4_S6_SB_SB_SA_SB_SB_.kd
    .uniform_work_group_size: 1
    .uses_dynamic_stack: false
    .vgpr_count:     50
    .vgpr_spill_count: 0
    .wavefront_size: 64
  - .args:
      - .offset:         0
        .size:           4
        .value_kind:     by_value
      - .offset:         4
        .size:           4
        .value_kind:     by_value
      - .offset:         8
        .size:           4
        .value_kind:     by_value
      - .actual_access:  read_only
        .address_space:  global
        .offset:         16
        .size:           8
        .value_kind:     global_buffer
      - .actual_access:  read_only
        .address_space:  global
        .offset:         24
        .size:           8
        .value_kind:     global_buffer
      - .actual_access:  read_only
        .address_space:  global
        .offset:         32
        .size:           8
        .value_kind:     global_buffer
      - .actual_access:  read_only
        .address_space:  global
        .offset:         40
        .size:           8
        .value_kind:     global_buffer
      - .offset:         48
        .size:           4
        .value_kind:     by_value
      - .actual_access:  read_only
        .address_space:  global
        .offset:         56
        .size:           8
        .value_kind:     global_buffer
      - .actual_access:  read_only
        .address_space:  global
        .offset:         64
        .size:           8
        .value_kind:     global_buffer
      - .actual_access:  read_only
        .address_space:  global
        .offset:         72
        .size:           8
        .value_kind:     global_buffer
      - .address_space:  global
        .offset:         80
        .size:           8
        .value_kind:     global_buffer
      - .address_space:  global
        .offset:         88
        .size:           8
        .value_kind:     global_buffer
      - .offset:         96
        .size:           4
        .value_kind:     by_value
      - .actual_access:  read_only
        .address_space:  global
        .offset:         104
        .size:           8
        .value_kind:     global_buffer
      - .actual_access:  read_only
        .address_space:  global
        .offset:         112
        .size:           8
        .value_kind:     global_buffer
      - .actual_access:  read_only
        .address_space:  global
        .offset:         120
        .size:           8
        .value_kind:     global_buffer
      - .address_space:  global
        .offset:         128
        .size:           8
        .value_kind:     global_buffer
      - .address_space:  global
        .offset:         136
        .size:           8
        .value_kind:     global_buffer
      - .offset:         144
        .size:           4
        .value_kind:     by_value
      - .address_space:  global
        .offset:         152
        .size:           8
        .value_kind:     global_buffer
      - .address_space:  global
        .offset:         160
        .size:           8
        .value_kind:     global_buffer
    .group_segment_fixed_size: 0
    .kernarg_segment_align: 8
    .kernarg_segment_size: 168
    .language:       OpenCL C
    .language_version:
      - 2
      - 0
    .max_flat_workgroup_size: 1024
    .name:           _ZN9rocsparseL14kernel_freerunILi1024ELi4EdiiEEvT3_S1_T2_PKS2_S4_PKS1_PKT1_21rocsparse_index_base_S4_S4_S6_PS7_SB_SA_S4_S4_S6_SB_SB_SA_SB_SB_
    .private_segment_fixed_size: 0
    .sgpr_count:     76
    .sgpr_spill_count: 0
    .symbol:         _ZN9rocsparseL14kernel_freerunILi1024ELi4EdiiEEvT3_S1_T2_PKS2_S4_PKS1_PKT1_21rocsparse_index_base_S4_S4_S6_PS7_SB_SA_S4_S4_S6_SB_SB_SA_SB_SB_.kd
    .uniform_work_group_size: 1
    .uses_dynamic_stack: false
    .vgpr_count:     34
    .vgpr_spill_count: 0
    .wavefront_size: 64
  - .args:
      - .offset:         0
        .size:           4
        .value_kind:     by_value
      - .offset:         4
        .size:           4
        .value_kind:     by_value
      - .offset:         8
        .size:           4
        .value_kind:     by_value
      - .actual_access:  read_only
        .address_space:  global
        .offset:         16
        .size:           8
        .value_kind:     global_buffer
      - .actual_access:  read_only
        .address_space:  global
        .offset:         24
        .size:           8
        .value_kind:     global_buffer
      - .actual_access:  read_only
        .address_space:  global
        .offset:         32
        .size:           8
        .value_kind:     global_buffer
      - .actual_access:  read_only
        .address_space:  global
        .offset:         40
        .size:           8
        .value_kind:     global_buffer
      - .offset:         48
        .size:           4
        .value_kind:     by_value
      - .actual_access:  read_only
        .address_space:  global
        .offset:         56
        .size:           8
        .value_kind:     global_buffer
      - .actual_access:  read_only
        .address_space:  global
        .offset:         64
        .size:           8
        .value_kind:     global_buffer
      - .actual_access:  read_only
        .address_space:  global
        .offset:         72
        .size:           8
        .value_kind:     global_buffer
      - .address_space:  global
        .offset:         80
        .size:           8
        .value_kind:     global_buffer
      - .address_space:  global
        .offset:         88
        .size:           8
        .value_kind:     global_buffer
      - .offset:         96
        .size:           4
        .value_kind:     by_value
      - .actual_access:  read_only
        .address_space:  global
        .offset:         104
        .size:           8
        .value_kind:     global_buffer
      - .actual_access:  read_only
        .address_space:  global
        .offset:         112
        .size:           8
        .value_kind:     global_buffer
      - .actual_access:  read_only
        .address_space:  global
        .offset:         120
        .size:           8
        .value_kind:     global_buffer
      - .address_space:  global
        .offset:         128
        .size:           8
        .value_kind:     global_buffer
      - .address_space:  global
        .offset:         136
        .size:           8
        .value_kind:     global_buffer
      - .offset:         144
        .size:           4
        .value_kind:     by_value
      - .address_space:  global
        .offset:         152
        .size:           8
        .value_kind:     global_buffer
      - .address_space:  global
        .offset:         160
        .size:           8
        .value_kind:     global_buffer
    .group_segment_fixed_size: 0
    .kernarg_segment_align: 8
    .kernarg_segment_size: 168
    .language:       OpenCL C
    .language_version:
      - 2
      - 0
    .max_flat_workgroup_size: 1024
    .name:           _ZN9rocsparseL14kernel_freerunILi1024ELi8EdiiEEvT3_S1_T2_PKS2_S4_PKS1_PKT1_21rocsparse_index_base_S4_S4_S6_PS7_SB_SA_S4_S4_S6_SB_SB_SA_SB_SB_
    .private_segment_fixed_size: 0
    .sgpr_count:     76
    .sgpr_spill_count: 0
    .symbol:         _ZN9rocsparseL14kernel_freerunILi1024ELi8EdiiEEvT3_S1_T2_PKS2_S4_PKS1_PKT1_21rocsparse_index_base_S4_S4_S6_PS7_SB_SA_S4_S4_S6_SB_SB_SA_SB_SB_.kd
    .uniform_work_group_size: 1
    .uses_dynamic_stack: false
    .vgpr_count:     34
    .vgpr_spill_count: 0
    .wavefront_size: 64
  - .args:
      - .offset:         0
        .size:           4
        .value_kind:     by_value
      - .offset:         4
        .size:           4
        .value_kind:     by_value
      - .offset:         8
        .size:           4
        .value_kind:     by_value
      - .actual_access:  read_only
        .address_space:  global
        .offset:         16
        .size:           8
        .value_kind:     global_buffer
      - .actual_access:  read_only
        .address_space:  global
        .offset:         24
        .size:           8
        .value_kind:     global_buffer
      - .actual_access:  read_only
        .address_space:  global
        .offset:         32
        .size:           8
        .value_kind:     global_buffer
      - .actual_access:  read_only
        .address_space:  global
        .offset:         40
        .size:           8
        .value_kind:     global_buffer
      - .offset:         48
        .size:           4
        .value_kind:     by_value
      - .actual_access:  read_only
        .address_space:  global
        .offset:         56
        .size:           8
        .value_kind:     global_buffer
      - .actual_access:  read_only
        .address_space:  global
        .offset:         64
        .size:           8
        .value_kind:     global_buffer
      - .actual_access:  read_only
        .address_space:  global
        .offset:         72
        .size:           8
        .value_kind:     global_buffer
      - .address_space:  global
        .offset:         80
        .size:           8
        .value_kind:     global_buffer
      - .address_space:  global
        .offset:         88
        .size:           8
        .value_kind:     global_buffer
      - .offset:         96
        .size:           4
        .value_kind:     by_value
      - .actual_access:  read_only
        .address_space:  global
        .offset:         104
        .size:           8
        .value_kind:     global_buffer
      - .actual_access:  read_only
        .address_space:  global
        .offset:         112
        .size:           8
        .value_kind:     global_buffer
      - .actual_access:  read_only
        .address_space:  global
        .offset:         120
        .size:           8
        .value_kind:     global_buffer
      - .address_space:  global
        .offset:         128
        .size:           8
        .value_kind:     global_buffer
      - .address_space:  global
        .offset:         136
        .size:           8
        .value_kind:     global_buffer
      - .offset:         144
        .size:           4
        .value_kind:     by_value
      - .address_space:  global
        .offset:         152
        .size:           8
        .value_kind:     global_buffer
      - .address_space:  global
        .offset:         160
        .size:           8
        .value_kind:     global_buffer
    .group_segment_fixed_size: 0
    .kernarg_segment_align: 8
    .kernarg_segment_size: 168
    .language:       OpenCL C
    .language_version:
      - 2
      - 0
    .max_flat_workgroup_size: 1024
    .name:           _ZN9rocsparseL14kernel_freerunILi1024ELi16EdiiEEvT3_S1_T2_PKS2_S4_PKS1_PKT1_21rocsparse_index_base_S4_S4_S6_PS7_SB_SA_S4_S4_S6_SB_SB_SA_SB_SB_
    .private_segment_fixed_size: 0
    .sgpr_count:     76
    .sgpr_spill_count: 0
    .symbol:         _ZN9rocsparseL14kernel_freerunILi1024ELi16EdiiEEvT3_S1_T2_PKS2_S4_PKS1_PKT1_21rocsparse_index_base_S4_S4_S6_PS7_SB_SA_S4_S4_S6_SB_SB_SA_SB_SB_.kd
    .uniform_work_group_size: 1
    .uses_dynamic_stack: false
    .vgpr_count:     34
    .vgpr_spill_count: 0
    .wavefront_size: 64
  - .args:
      - .offset:         0
        .size:           4
        .value_kind:     by_value
      - .offset:         4
        .size:           4
        .value_kind:     by_value
      - .offset:         8
        .size:           4
        .value_kind:     by_value
      - .actual_access:  read_only
        .address_space:  global
        .offset:         16
        .size:           8
        .value_kind:     global_buffer
      - .actual_access:  read_only
        .address_space:  global
        .offset:         24
        .size:           8
        .value_kind:     global_buffer
      - .actual_access:  read_only
        .address_space:  global
        .offset:         32
        .size:           8
        .value_kind:     global_buffer
      - .actual_access:  read_only
        .address_space:  global
        .offset:         40
        .size:           8
        .value_kind:     global_buffer
      - .offset:         48
        .size:           4
        .value_kind:     by_value
      - .actual_access:  read_only
        .address_space:  global
        .offset:         56
        .size:           8
        .value_kind:     global_buffer
      - .actual_access:  read_only
        .address_space:  global
        .offset:         64
        .size:           8
        .value_kind:     global_buffer
      - .actual_access:  read_only
        .address_space:  global
        .offset:         72
        .size:           8
        .value_kind:     global_buffer
      - .address_space:  global
        .offset:         80
        .size:           8
        .value_kind:     global_buffer
      - .address_space:  global
        .offset:         88
        .size:           8
        .value_kind:     global_buffer
      - .offset:         96
        .size:           4
        .value_kind:     by_value
      - .actual_access:  read_only
        .address_space:  global
        .offset:         104
        .size:           8
        .value_kind:     global_buffer
      - .actual_access:  read_only
        .address_space:  global
        .offset:         112
        .size:           8
        .value_kind:     global_buffer
      - .actual_access:  read_only
        .address_space:  global
        .offset:         120
        .size:           8
        .value_kind:     global_buffer
      - .address_space:  global
        .offset:         128
        .size:           8
        .value_kind:     global_buffer
      - .address_space:  global
        .offset:         136
        .size:           8
        .value_kind:     global_buffer
      - .offset:         144
        .size:           4
        .value_kind:     by_value
      - .address_space:  global
        .offset:         152
        .size:           8
        .value_kind:     global_buffer
      - .address_space:  global
        .offset:         160
        .size:           8
        .value_kind:     global_buffer
    .group_segment_fixed_size: 0
    .kernarg_segment_align: 8
    .kernarg_segment_size: 168
    .language:       OpenCL C
    .language_version:
      - 2
      - 0
    .max_flat_workgroup_size: 1024
    .name:           _ZN9rocsparseL14kernel_freerunILi1024ELi32EdiiEEvT3_S1_T2_PKS2_S4_PKS1_PKT1_21rocsparse_index_base_S4_S4_S6_PS7_SB_SA_S4_S4_S6_SB_SB_SA_SB_SB_
    .private_segment_fixed_size: 0
    .sgpr_count:     76
    .sgpr_spill_count: 0
    .symbol:         _ZN9rocsparseL14kernel_freerunILi1024ELi32EdiiEEvT3_S1_T2_PKS2_S4_PKS1_PKT1_21rocsparse_index_base_S4_S4_S6_PS7_SB_SA_S4_S4_S6_SB_SB_SA_SB_SB_.kd
    .uniform_work_group_size: 1
    .uses_dynamic_stack: false
    .vgpr_count:     34
    .vgpr_spill_count: 0
    .wavefront_size: 64
  - .args:
      - .offset:         0
        .size:           4
        .value_kind:     by_value
      - .offset:         4
        .size:           4
        .value_kind:     by_value
      - .offset:         8
        .size:           4
        .value_kind:     by_value
      - .actual_access:  read_only
        .address_space:  global
        .offset:         16
        .size:           8
        .value_kind:     global_buffer
      - .actual_access:  read_only
        .address_space:  global
        .offset:         24
        .size:           8
        .value_kind:     global_buffer
      - .actual_access:  read_only
        .address_space:  global
        .offset:         32
        .size:           8
        .value_kind:     global_buffer
      - .actual_access:  read_only
        .address_space:  global
        .offset:         40
        .size:           8
        .value_kind:     global_buffer
      - .offset:         48
        .size:           4
        .value_kind:     by_value
      - .actual_access:  read_only
        .address_space:  global
        .offset:         56
        .size:           8
        .value_kind:     global_buffer
      - .actual_access:  read_only
        .address_space:  global
        .offset:         64
        .size:           8
        .value_kind:     global_buffer
      - .actual_access:  read_only
        .address_space:  global
        .offset:         72
        .size:           8
        .value_kind:     global_buffer
      - .address_space:  global
        .offset:         80
        .size:           8
        .value_kind:     global_buffer
      - .address_space:  global
        .offset:         88
        .size:           8
        .value_kind:     global_buffer
      - .offset:         96
        .size:           4
        .value_kind:     by_value
      - .actual_access:  read_only
        .address_space:  global
        .offset:         104
        .size:           8
        .value_kind:     global_buffer
      - .actual_access:  read_only
        .address_space:  global
        .offset:         112
        .size:           8
        .value_kind:     global_buffer
      - .actual_access:  read_only
        .address_space:  global
        .offset:         120
        .size:           8
        .value_kind:     global_buffer
      - .address_space:  global
        .offset:         128
        .size:           8
        .value_kind:     global_buffer
      - .address_space:  global
        .offset:         136
        .size:           8
        .value_kind:     global_buffer
      - .offset:         144
        .size:           4
        .value_kind:     by_value
      - .address_space:  global
        .offset:         152
        .size:           8
        .value_kind:     global_buffer
      - .address_space:  global
        .offset:         160
        .size:           8
        .value_kind:     global_buffer
    .group_segment_fixed_size: 0
    .kernarg_segment_align: 8
    .kernarg_segment_size: 168
    .language:       OpenCL C
    .language_version:
      - 2
      - 0
    .max_flat_workgroup_size: 1024
    .name:           _ZN9rocsparseL14kernel_freerunILi1024ELi64EdiiEEvT3_S1_T2_PKS2_S4_PKS1_PKT1_21rocsparse_index_base_S4_S4_S6_PS7_SB_SA_S4_S4_S6_SB_SB_SA_SB_SB_
    .private_segment_fixed_size: 0
    .sgpr_count:     76
    .sgpr_spill_count: 0
    .symbol:         _ZN9rocsparseL14kernel_freerunILi1024ELi64EdiiEEvT3_S1_T2_PKS2_S4_PKS1_PKT1_21rocsparse_index_base_S4_S4_S6_PS7_SB_SA_S4_S4_S6_SB_SB_SA_SB_SB_.kd
    .uniform_work_group_size: 1
    .uses_dynamic_stack: false
    .vgpr_count:     34
    .vgpr_spill_count: 0
    .wavefront_size: 64
  - .args:
      - .offset:         0
        .size:           1
        .value_kind:     by_value
      - .offset:         1
        .size:           1
        .value_kind:     by_value
      - .offset:         2
        .size:           1
        .value_kind:     by_value
      - .offset:         4
        .size:           4
        .value_kind:     by_value
      - .address_space:  global
        .offset:         8
        .size:           8
        .value_kind:     global_buffer
      - .offset:         16
        .size:           8
        .value_kind:     by_value
      - .offset:         24
        .size:           4
        .value_kind:     by_value
      - .offset:         28
        .size:           4
        .value_kind:     by_value
      - .actual_access:  read_only
        .address_space:  global
        .offset:         32
        .size:           8
        .value_kind:     global_buffer
      - .actual_access:  read_only
        .address_space:  global
        .offset:         40
        .size:           8
        .value_kind:     global_buffer
      - .actual_access:  read_only
        .address_space:  global
        .offset:         48
        .size:           8
        .value_kind:     global_buffer
      - .actual_access:  read_only
        .address_space:  global
        .offset:         56
        .size:           8
        .value_kind:     global_buffer
      - .offset:         64
        .size:           4
        .value_kind:     by_value
      - .actual_access:  read_only
        .address_space:  global
        .offset:         72
        .size:           8
        .value_kind:     global_buffer
      - .actual_access:  read_only
        .address_space:  global
        .offset:         80
        .size:           8
        .value_kind:     global_buffer
      - .actual_access:  read_only
        .address_space:  global
        .offset:         88
        .size:           8
        .value_kind:     global_buffer
      - .address_space:  global
        .offset:         96
        .size:           8
        .value_kind:     global_buffer
      - .address_space:  global
        .offset:         104
        .size:           8
        .value_kind:     global_buffer
      - .offset:         112
        .size:           4
        .value_kind:     by_value
      - .actual_access:  read_only
        .address_space:  global
        .offset:         120
        .size:           8
        .value_kind:     global_buffer
      - .actual_access:  read_only
        .address_space:  global
        .offset:         128
        .size:           8
        .value_kind:     global_buffer
      - .actual_access:  read_only
        .address_space:  global
        .offset:         136
        .size:           8
        .value_kind:     global_buffer
      - .address_space:  global
        .offset:         144
        .size:           8
        .value_kind:     global_buffer
      - .address_space:  global
        .offset:         152
        .size:           8
        .value_kind:     global_buffer
      - .offset:         160
        .size:           4
        .value_kind:     by_value
      - .address_space:  global
        .offset:         168
        .size:           8
        .value_kind:     global_buffer
      - .address_space:  global
        .offset:         176
        .size:           8
        .value_kind:     global_buffer
      - .address_space:  global
        .offset:         184
        .size:           8
        .value_kind:     global_buffer
      - .address_space:  global
        .offset:         192
        .size:           8
        .value_kind:     global_buffer
      - .actual_access:  read_only
        .address_space:  global
        .offset:         200
        .size:           8
        .value_kind:     global_buffer
    .group_segment_fixed_size: 12288
    .kernarg_segment_align: 8
    .kernarg_segment_size: 208
    .language:       OpenCL C
    .language_version:
      - 2
      - 0
    .max_flat_workgroup_size: 1024
    .name:           _ZN9rocsparseL6kernelILi1024ELi1EdiiEEvbbbT3_PS1_NS_15floating_traitsIT1_E6data_tES1_T2_PKS7_S9_PKS1_PKS4_21rocsparse_index_base_S9_S9_SB_PS4_SF_SE_S9_S9_SB_SF_SF_SE_SF_SF_PS6_SG_PKS6_
    .private_segment_fixed_size: 0
    .sgpr_count:     100
    .sgpr_spill_count: 16
    .symbol:         _ZN9rocsparseL6kernelILi1024ELi1EdiiEEvbbbT3_PS1_NS_15floating_traitsIT1_E6data_tES1_T2_PKS7_S9_PKS1_PKS4_21rocsparse_index_base_S9_S9_SB_PS4_SF_SE_S9_S9_SB_SF_SF_SE_SF_SF_PS6_SG_PKS6_.kd
    .uniform_work_group_size: 1
    .uses_dynamic_stack: false
    .vgpr_count:     41
    .vgpr_spill_count: 0
    .wavefront_size: 64
  - .args:
      - .offset:         0
        .size:           1
        .value_kind:     by_value
      - .offset:         1
        .size:           1
        .value_kind:     by_value
      - .offset:         2
        .size:           1
        .value_kind:     by_value
      - .offset:         4
        .size:           4
        .value_kind:     by_value
      - .address_space:  global
        .offset:         8
        .size:           8
        .value_kind:     global_buffer
      - .offset:         16
        .size:           8
        .value_kind:     by_value
      - .offset:         24
        .size:           4
        .value_kind:     by_value
      - .offset:         28
        .size:           4
        .value_kind:     by_value
      - .actual_access:  read_only
        .address_space:  global
        .offset:         32
        .size:           8
        .value_kind:     global_buffer
      - .actual_access:  read_only
        .address_space:  global
        .offset:         40
        .size:           8
        .value_kind:     global_buffer
      - .actual_access:  read_only
        .address_space:  global
        .offset:         48
        .size:           8
        .value_kind:     global_buffer
      - .actual_access:  read_only
        .address_space:  global
        .offset:         56
        .size:           8
        .value_kind:     global_buffer
      - .offset:         64
        .size:           4
        .value_kind:     by_value
      - .actual_access:  read_only
        .address_space:  global
        .offset:         72
        .size:           8
        .value_kind:     global_buffer
      - .actual_access:  read_only
        .address_space:  global
        .offset:         80
        .size:           8
        .value_kind:     global_buffer
      - .actual_access:  read_only
        .address_space:  global
        .offset:         88
        .size:           8
        .value_kind:     global_buffer
      - .address_space:  global
        .offset:         96
        .size:           8
        .value_kind:     global_buffer
      - .address_space:  global
        .offset:         104
        .size:           8
        .value_kind:     global_buffer
      - .offset:         112
        .size:           4
        .value_kind:     by_value
      - .actual_access:  read_only
        .address_space:  global
        .offset:         120
        .size:           8
        .value_kind:     global_buffer
      - .actual_access:  read_only
        .address_space:  global
        .offset:         128
        .size:           8
        .value_kind:     global_buffer
      - .actual_access:  read_only
        .address_space:  global
        .offset:         136
        .size:           8
        .value_kind:     global_buffer
      - .address_space:  global
        .offset:         144
        .size:           8
        .value_kind:     global_buffer
      - .address_space:  global
        .offset:         152
        .size:           8
        .value_kind:     global_buffer
      - .offset:         160
        .size:           4
        .value_kind:     by_value
      - .address_space:  global
        .offset:         168
        .size:           8
        .value_kind:     global_buffer
      - .address_space:  global
        .offset:         176
        .size:           8
        .value_kind:     global_buffer
      - .address_space:  global
        .offset:         184
        .size:           8
        .value_kind:     global_buffer
      - .address_space:  global
        .offset:         192
        .size:           8
        .value_kind:     global_buffer
      - .actual_access:  read_only
        .address_space:  global
        .offset:         200
        .size:           8
        .value_kind:     global_buffer
    .group_segment_fixed_size: 6144
    .kernarg_segment_align: 8
    .kernarg_segment_size: 208
    .language:       OpenCL C
    .language_version:
      - 2
      - 0
    .max_flat_workgroup_size: 1024
    .name:           _ZN9rocsparseL6kernelILi1024ELi2EdiiEEvbbbT3_PS1_NS_15floating_traitsIT1_E6data_tES1_T2_PKS7_S9_PKS1_PKS4_21rocsparse_index_base_S9_S9_SB_PS4_SF_SE_S9_S9_SB_SF_SF_SE_SF_SF_PS6_SG_PKS6_
    .private_segment_fixed_size: 0
    .sgpr_count:     100
    .sgpr_spill_count: 24
    .symbol:         _ZN9rocsparseL6kernelILi1024ELi2EdiiEEvbbbT3_PS1_NS_15floating_traitsIT1_E6data_tES1_T2_PKS7_S9_PKS1_PKS4_21rocsparse_index_base_S9_S9_SB_PS4_SF_SE_S9_S9_SB_SF_SF_SE_SF_SF_PS6_SG_PKS6_.kd
    .uniform_work_group_size: 1
    .uses_dynamic_stack: false
    .vgpr_count:     47
    .vgpr_spill_count: 0
    .wavefront_size: 64
  - .args:
      - .offset:         0
        .size:           1
        .value_kind:     by_value
      - .offset:         1
        .size:           1
        .value_kind:     by_value
      - .offset:         2
        .size:           1
        .value_kind:     by_value
      - .offset:         4
        .size:           4
        .value_kind:     by_value
      - .address_space:  global
        .offset:         8
        .size:           8
        .value_kind:     global_buffer
      - .offset:         16
        .size:           8
        .value_kind:     by_value
      - .offset:         24
        .size:           4
        .value_kind:     by_value
      - .offset:         28
        .size:           4
        .value_kind:     by_value
      - .actual_access:  read_only
        .address_space:  global
        .offset:         32
        .size:           8
        .value_kind:     global_buffer
      - .actual_access:  read_only
        .address_space:  global
        .offset:         40
        .size:           8
        .value_kind:     global_buffer
      - .actual_access:  read_only
        .address_space:  global
        .offset:         48
        .size:           8
        .value_kind:     global_buffer
      - .actual_access:  read_only
        .address_space:  global
        .offset:         56
        .size:           8
        .value_kind:     global_buffer
      - .offset:         64
        .size:           4
        .value_kind:     by_value
      - .actual_access:  read_only
        .address_space:  global
        .offset:         72
        .size:           8
        .value_kind:     global_buffer
      - .actual_access:  read_only
        .address_space:  global
        .offset:         80
        .size:           8
        .value_kind:     global_buffer
      - .actual_access:  read_only
        .address_space:  global
        .offset:         88
        .size:           8
        .value_kind:     global_buffer
      - .address_space:  global
        .offset:         96
        .size:           8
        .value_kind:     global_buffer
      - .address_space:  global
        .offset:         104
        .size:           8
        .value_kind:     global_buffer
      - .offset:         112
        .size:           4
        .value_kind:     by_value
      - .actual_access:  read_only
        .address_space:  global
        .offset:         120
        .size:           8
        .value_kind:     global_buffer
      - .actual_access:  read_only
        .address_space:  global
        .offset:         128
        .size:           8
        .value_kind:     global_buffer
      - .actual_access:  read_only
        .address_space:  global
        .offset:         136
        .size:           8
        .value_kind:     global_buffer
      - .address_space:  global
        .offset:         144
        .size:           8
        .value_kind:     global_buffer
      - .address_space:  global
        .offset:         152
        .size:           8
        .value_kind:     global_buffer
      - .offset:         160
        .size:           4
        .value_kind:     by_value
      - .address_space:  global
        .offset:         168
        .size:           8
        .value_kind:     global_buffer
      - .address_space:  global
        .offset:         176
        .size:           8
        .value_kind:     global_buffer
      - .address_space:  global
        .offset:         184
        .size:           8
        .value_kind:     global_buffer
      - .address_space:  global
        .offset:         192
        .size:           8
        .value_kind:     global_buffer
      - .actual_access:  read_only
        .address_space:  global
        .offset:         200
        .size:           8
        .value_kind:     global_buffer
    .group_segment_fixed_size: 3072
    .kernarg_segment_align: 8
    .kernarg_segment_size: 208
    .language:       OpenCL C
    .language_version:
      - 2
      - 0
    .max_flat_workgroup_size: 1024
    .name:           _ZN9rocsparseL6kernelILi1024ELi4EdiiEEvbbbT3_PS1_NS_15floating_traitsIT1_E6data_tES1_T2_PKS7_S9_PKS1_PKS4_21rocsparse_index_base_S9_S9_SB_PS4_SF_SE_S9_S9_SB_SF_SF_SE_SF_SF_PS6_SG_PKS6_
    .private_segment_fixed_size: 0
    .sgpr_count:     100
    .sgpr_spill_count: 20
    .symbol:         _ZN9rocsparseL6kernelILi1024ELi4EdiiEEvbbbT3_PS1_NS_15floating_traitsIT1_E6data_tES1_T2_PKS7_S9_PKS1_PKS4_21rocsparse_index_base_S9_S9_SB_PS4_SF_SE_S9_S9_SB_SF_SF_SE_SF_SF_PS6_SG_PKS6_.kd
    .uniform_work_group_size: 1
    .uses_dynamic_stack: false
    .vgpr_count:     47
    .vgpr_spill_count: 0
    .wavefront_size: 64
  - .args:
      - .offset:         0
        .size:           1
        .value_kind:     by_value
      - .offset:         1
        .size:           1
        .value_kind:     by_value
      - .offset:         2
        .size:           1
        .value_kind:     by_value
      - .offset:         4
        .size:           4
        .value_kind:     by_value
      - .address_space:  global
        .offset:         8
        .size:           8
        .value_kind:     global_buffer
      - .offset:         16
        .size:           8
        .value_kind:     by_value
      - .offset:         24
        .size:           4
        .value_kind:     by_value
      - .offset:         28
        .size:           4
        .value_kind:     by_value
      - .actual_access:  read_only
        .address_space:  global
        .offset:         32
        .size:           8
        .value_kind:     global_buffer
      - .actual_access:  read_only
        .address_space:  global
        .offset:         40
        .size:           8
        .value_kind:     global_buffer
      - .actual_access:  read_only
        .address_space:  global
        .offset:         48
        .size:           8
        .value_kind:     global_buffer
      - .actual_access:  read_only
        .address_space:  global
        .offset:         56
        .size:           8
        .value_kind:     global_buffer
      - .offset:         64
        .size:           4
        .value_kind:     by_value
      - .actual_access:  read_only
        .address_space:  global
        .offset:         72
        .size:           8
        .value_kind:     global_buffer
      - .actual_access:  read_only
        .address_space:  global
        .offset:         80
        .size:           8
        .value_kind:     global_buffer
      - .actual_access:  read_only
        .address_space:  global
        .offset:         88
        .size:           8
        .value_kind:     global_buffer
      - .address_space:  global
        .offset:         96
        .size:           8
        .value_kind:     global_buffer
      - .address_space:  global
        .offset:         104
        .size:           8
        .value_kind:     global_buffer
      - .offset:         112
        .size:           4
        .value_kind:     by_value
      - .actual_access:  read_only
        .address_space:  global
        .offset:         120
        .size:           8
        .value_kind:     global_buffer
      - .actual_access:  read_only
        .address_space:  global
        .offset:         128
        .size:           8
        .value_kind:     global_buffer
      - .actual_access:  read_only
        .address_space:  global
        .offset:         136
        .size:           8
        .value_kind:     global_buffer
      - .address_space:  global
        .offset:         144
        .size:           8
        .value_kind:     global_buffer
      - .address_space:  global
        .offset:         152
        .size:           8
        .value_kind:     global_buffer
      - .offset:         160
        .size:           4
        .value_kind:     by_value
      - .address_space:  global
        .offset:         168
        .size:           8
        .value_kind:     global_buffer
      - .address_space:  global
        .offset:         176
        .size:           8
        .value_kind:     global_buffer
      - .address_space:  global
        .offset:         184
        .size:           8
        .value_kind:     global_buffer
      - .address_space:  global
        .offset:         192
        .size:           8
        .value_kind:     global_buffer
      - .actual_access:  read_only
        .address_space:  global
        .offset:         200
        .size:           8
        .value_kind:     global_buffer
    .group_segment_fixed_size: 1536
    .kernarg_segment_align: 8
    .kernarg_segment_size: 208
    .language:       OpenCL C
    .language_version:
      - 2
      - 0
    .max_flat_workgroup_size: 1024
    .name:           _ZN9rocsparseL6kernelILi1024ELi8EdiiEEvbbbT3_PS1_NS_15floating_traitsIT1_E6data_tES1_T2_PKS7_S9_PKS1_PKS4_21rocsparse_index_base_S9_S9_SB_PS4_SF_SE_S9_S9_SB_SF_SF_SE_SF_SF_PS6_SG_PKS6_
    .private_segment_fixed_size: 0
    .sgpr_count:     100
    .sgpr_spill_count: 18
    .symbol:         _ZN9rocsparseL6kernelILi1024ELi8EdiiEEvbbbT3_PS1_NS_15floating_traitsIT1_E6data_tES1_T2_PKS7_S9_PKS1_PKS4_21rocsparse_index_base_S9_S9_SB_PS4_SF_SE_S9_S9_SB_SF_SF_SE_SF_SF_PS6_SG_PKS6_.kd
    .uniform_work_group_size: 1
    .uses_dynamic_stack: false
    .vgpr_count:     47
    .vgpr_spill_count: 0
    .wavefront_size: 64
  - .args:
      - .offset:         0
        .size:           1
        .value_kind:     by_value
      - .offset:         1
        .size:           1
        .value_kind:     by_value
      - .offset:         2
        .size:           1
        .value_kind:     by_value
      - .offset:         4
        .size:           4
        .value_kind:     by_value
      - .address_space:  global
        .offset:         8
        .size:           8
        .value_kind:     global_buffer
      - .offset:         16
        .size:           8
        .value_kind:     by_value
      - .offset:         24
        .size:           4
        .value_kind:     by_value
      - .offset:         28
        .size:           4
        .value_kind:     by_value
      - .actual_access:  read_only
        .address_space:  global
        .offset:         32
        .size:           8
        .value_kind:     global_buffer
      - .actual_access:  read_only
        .address_space:  global
        .offset:         40
        .size:           8
        .value_kind:     global_buffer
      - .actual_access:  read_only
        .address_space:  global
        .offset:         48
        .size:           8
        .value_kind:     global_buffer
      - .actual_access:  read_only
        .address_space:  global
        .offset:         56
        .size:           8
        .value_kind:     global_buffer
      - .offset:         64
        .size:           4
        .value_kind:     by_value
      - .actual_access:  read_only
        .address_space:  global
        .offset:         72
        .size:           8
        .value_kind:     global_buffer
      - .actual_access:  read_only
        .address_space:  global
        .offset:         80
        .size:           8
        .value_kind:     global_buffer
      - .actual_access:  read_only
        .address_space:  global
        .offset:         88
        .size:           8
        .value_kind:     global_buffer
      - .address_space:  global
        .offset:         96
        .size:           8
        .value_kind:     global_buffer
      - .address_space:  global
        .offset:         104
        .size:           8
        .value_kind:     global_buffer
      - .offset:         112
        .size:           4
        .value_kind:     by_value
      - .actual_access:  read_only
        .address_space:  global
        .offset:         120
        .size:           8
        .value_kind:     global_buffer
      - .actual_access:  read_only
        .address_space:  global
        .offset:         128
        .size:           8
        .value_kind:     global_buffer
      - .actual_access:  read_only
        .address_space:  global
        .offset:         136
        .size:           8
        .value_kind:     global_buffer
      - .address_space:  global
        .offset:         144
        .size:           8
        .value_kind:     global_buffer
      - .address_space:  global
        .offset:         152
        .size:           8
        .value_kind:     global_buffer
      - .offset:         160
        .size:           4
        .value_kind:     by_value
      - .address_space:  global
        .offset:         168
        .size:           8
        .value_kind:     global_buffer
      - .address_space:  global
        .offset:         176
        .size:           8
        .value_kind:     global_buffer
      - .address_space:  global
        .offset:         184
        .size:           8
        .value_kind:     global_buffer
      - .address_space:  global
        .offset:         192
        .size:           8
        .value_kind:     global_buffer
      - .actual_access:  read_only
        .address_space:  global
        .offset:         200
        .size:           8
        .value_kind:     global_buffer
    .group_segment_fixed_size: 768
    .kernarg_segment_align: 8
    .kernarg_segment_size: 208
    .language:       OpenCL C
    .language_version:
      - 2
      - 0
    .max_flat_workgroup_size: 1024
    .name:           _ZN9rocsparseL6kernelILi1024ELi16EdiiEEvbbbT3_PS1_NS_15floating_traitsIT1_E6data_tES1_T2_PKS7_S9_PKS1_PKS4_21rocsparse_index_base_S9_S9_SB_PS4_SF_SE_S9_S9_SB_SF_SF_SE_SF_SF_PS6_SG_PKS6_
    .private_segment_fixed_size: 0
    .sgpr_count:     100
    .sgpr_spill_count: 16
    .symbol:         _ZN9rocsparseL6kernelILi1024ELi16EdiiEEvbbbT3_PS1_NS_15floating_traitsIT1_E6data_tES1_T2_PKS7_S9_PKS1_PKS4_21rocsparse_index_base_S9_S9_SB_PS4_SF_SE_S9_S9_SB_SF_SF_SE_SF_SF_PS6_SG_PKS6_.kd
    .uniform_work_group_size: 1
    .uses_dynamic_stack: false
    .vgpr_count:     47
    .vgpr_spill_count: 0
    .wavefront_size: 64
  - .args:
      - .offset:         0
        .size:           1
        .value_kind:     by_value
      - .offset:         1
        .size:           1
        .value_kind:     by_value
      - .offset:         2
        .size:           1
        .value_kind:     by_value
      - .offset:         4
        .size:           4
        .value_kind:     by_value
      - .address_space:  global
        .offset:         8
        .size:           8
        .value_kind:     global_buffer
      - .offset:         16
        .size:           8
        .value_kind:     by_value
      - .offset:         24
        .size:           4
        .value_kind:     by_value
      - .offset:         28
        .size:           4
        .value_kind:     by_value
      - .actual_access:  read_only
        .address_space:  global
        .offset:         32
        .size:           8
        .value_kind:     global_buffer
      - .actual_access:  read_only
        .address_space:  global
        .offset:         40
        .size:           8
        .value_kind:     global_buffer
      - .actual_access:  read_only
        .address_space:  global
        .offset:         48
        .size:           8
        .value_kind:     global_buffer
      - .actual_access:  read_only
        .address_space:  global
        .offset:         56
        .size:           8
        .value_kind:     global_buffer
      - .offset:         64
        .size:           4
        .value_kind:     by_value
      - .actual_access:  read_only
        .address_space:  global
        .offset:         72
        .size:           8
        .value_kind:     global_buffer
      - .actual_access:  read_only
        .address_space:  global
        .offset:         80
        .size:           8
        .value_kind:     global_buffer
      - .actual_access:  read_only
        .address_space:  global
        .offset:         88
        .size:           8
        .value_kind:     global_buffer
      - .address_space:  global
        .offset:         96
        .size:           8
        .value_kind:     global_buffer
      - .address_space:  global
        .offset:         104
        .size:           8
        .value_kind:     global_buffer
      - .offset:         112
        .size:           4
        .value_kind:     by_value
      - .actual_access:  read_only
        .address_space:  global
        .offset:         120
        .size:           8
        .value_kind:     global_buffer
      - .actual_access:  read_only
        .address_space:  global
        .offset:         128
        .size:           8
        .value_kind:     global_buffer
      - .actual_access:  read_only
        .address_space:  global
        .offset:         136
        .size:           8
        .value_kind:     global_buffer
      - .address_space:  global
        .offset:         144
        .size:           8
        .value_kind:     global_buffer
      - .address_space:  global
        .offset:         152
        .size:           8
        .value_kind:     global_buffer
      - .offset:         160
        .size:           4
        .value_kind:     by_value
      - .address_space:  global
        .offset:         168
        .size:           8
        .value_kind:     global_buffer
      - .address_space:  global
        .offset:         176
        .size:           8
        .value_kind:     global_buffer
      - .address_space:  global
        .offset:         184
        .size:           8
        .value_kind:     global_buffer
      - .address_space:  global
        .offset:         192
        .size:           8
        .value_kind:     global_buffer
      - .actual_access:  read_only
        .address_space:  global
        .offset:         200
        .size:           8
        .value_kind:     global_buffer
    .group_segment_fixed_size: 384
    .kernarg_segment_align: 8
    .kernarg_segment_size: 208
    .language:       OpenCL C
    .language_version:
      - 2
      - 0
    .max_flat_workgroup_size: 1024
    .name:           _ZN9rocsparseL6kernelILi1024ELi32EdiiEEvbbbT3_PS1_NS_15floating_traitsIT1_E6data_tES1_T2_PKS7_S9_PKS1_PKS4_21rocsparse_index_base_S9_S9_SB_PS4_SF_SE_S9_S9_SB_SF_SF_SE_SF_SF_PS6_SG_PKS6_
    .private_segment_fixed_size: 0
    .sgpr_count:     100
    .sgpr_spill_count: 14
    .symbol:         _ZN9rocsparseL6kernelILi1024ELi32EdiiEEvbbbT3_PS1_NS_15floating_traitsIT1_E6data_tES1_T2_PKS7_S9_PKS1_PKS4_21rocsparse_index_base_S9_S9_SB_PS4_SF_SE_S9_S9_SB_SF_SF_SE_SF_SF_PS6_SG_PKS6_.kd
    .uniform_work_group_size: 1
    .uses_dynamic_stack: false
    .vgpr_count:     47
    .vgpr_spill_count: 0
    .wavefront_size: 64
  - .args:
      - .offset:         0
        .size:           1
        .value_kind:     by_value
      - .offset:         1
        .size:           1
        .value_kind:     by_value
      - .offset:         2
        .size:           1
        .value_kind:     by_value
      - .offset:         4
        .size:           4
        .value_kind:     by_value
      - .address_space:  global
        .offset:         8
        .size:           8
        .value_kind:     global_buffer
      - .offset:         16
        .size:           8
        .value_kind:     by_value
      - .offset:         24
        .size:           4
        .value_kind:     by_value
      - .offset:         28
        .size:           4
        .value_kind:     by_value
      - .actual_access:  read_only
        .address_space:  global
        .offset:         32
        .size:           8
        .value_kind:     global_buffer
      - .actual_access:  read_only
        .address_space:  global
        .offset:         40
        .size:           8
        .value_kind:     global_buffer
      - .actual_access:  read_only
        .address_space:  global
        .offset:         48
        .size:           8
        .value_kind:     global_buffer
      - .actual_access:  read_only
        .address_space:  global
        .offset:         56
        .size:           8
        .value_kind:     global_buffer
      - .offset:         64
        .size:           4
        .value_kind:     by_value
      - .actual_access:  read_only
        .address_space:  global
        .offset:         72
        .size:           8
        .value_kind:     global_buffer
      - .actual_access:  read_only
        .address_space:  global
        .offset:         80
        .size:           8
        .value_kind:     global_buffer
      - .actual_access:  read_only
        .address_space:  global
        .offset:         88
        .size:           8
        .value_kind:     global_buffer
      - .address_space:  global
        .offset:         96
        .size:           8
        .value_kind:     global_buffer
      - .address_space:  global
        .offset:         104
        .size:           8
        .value_kind:     global_buffer
      - .offset:         112
        .size:           4
        .value_kind:     by_value
      - .actual_access:  read_only
        .address_space:  global
        .offset:         120
        .size:           8
        .value_kind:     global_buffer
      - .actual_access:  read_only
        .address_space:  global
        .offset:         128
        .size:           8
        .value_kind:     global_buffer
      - .actual_access:  read_only
        .address_space:  global
        .offset:         136
        .size:           8
        .value_kind:     global_buffer
      - .address_space:  global
        .offset:         144
        .size:           8
        .value_kind:     global_buffer
      - .address_space:  global
        .offset:         152
        .size:           8
        .value_kind:     global_buffer
      - .offset:         160
        .size:           4
        .value_kind:     by_value
      - .address_space:  global
        .offset:         168
        .size:           8
        .value_kind:     global_buffer
      - .address_space:  global
        .offset:         176
        .size:           8
        .value_kind:     global_buffer
      - .address_space:  global
        .offset:         184
        .size:           8
        .value_kind:     global_buffer
      - .address_space:  global
        .offset:         192
        .size:           8
        .value_kind:     global_buffer
      - .actual_access:  read_only
        .address_space:  global
        .offset:         200
        .size:           8
        .value_kind:     global_buffer
    .group_segment_fixed_size: 192
    .kernarg_segment_align: 8
    .kernarg_segment_size: 208
    .language:       OpenCL C
    .language_version:
      - 2
      - 0
    .max_flat_workgroup_size: 1024
    .name:           _ZN9rocsparseL6kernelILi1024ELi64EdiiEEvbbbT3_PS1_NS_15floating_traitsIT1_E6data_tES1_T2_PKS7_S9_PKS1_PKS4_21rocsparse_index_base_S9_S9_SB_PS4_SF_SE_S9_S9_SB_SF_SF_SE_SF_SF_PS6_SG_PKS6_
    .private_segment_fixed_size: 0
    .sgpr_count:     100
    .sgpr_spill_count: 14
    .symbol:         _ZN9rocsparseL6kernelILi1024ELi64EdiiEEvbbbT3_PS1_NS_15floating_traitsIT1_E6data_tES1_T2_PKS7_S9_PKS1_PKS4_21rocsparse_index_base_S9_S9_SB_PS4_SF_SE_S9_S9_SB_SF_SF_SE_SF_SF_PS6_SG_PKS6_.kd
    .uniform_work_group_size: 1
    .uses_dynamic_stack: false
    .vgpr_count:     47
    .vgpr_spill_count: 0
    .wavefront_size: 64
  - .args:
      - .offset:         0
        .size:           4
        .value_kind:     by_value
      - .offset:         4
        .size:           4
        .value_kind:     by_value
      - .offset:         8
        .size:           4
        .value_kind:     by_value
      - .actual_access:  read_only
        .address_space:  global
        .offset:         16
        .size:           8
        .value_kind:     global_buffer
      - .actual_access:  read_only
        .address_space:  global
        .offset:         24
        .size:           8
        .value_kind:     global_buffer
      - .actual_access:  read_only
        .address_space:  global
        .offset:         32
        .size:           8
        .value_kind:     global_buffer
      - .actual_access:  read_only
        .address_space:  global
        .offset:         40
        .size:           8
        .value_kind:     global_buffer
      - .offset:         48
        .size:           4
        .value_kind:     by_value
      - .actual_access:  read_only
        .address_space:  global
        .offset:         56
        .size:           8
        .value_kind:     global_buffer
      - .actual_access:  read_only
        .address_space:  global
        .offset:         64
        .size:           8
        .value_kind:     global_buffer
      - .actual_access:  read_only
        .address_space:  global
        .offset:         72
        .size:           8
        .value_kind:     global_buffer
      - .address_space:  global
        .offset:         80
        .size:           8
        .value_kind:     global_buffer
      - .address_space:  global
        .offset:         88
        .size:           8
        .value_kind:     global_buffer
      - .offset:         96
        .size:           4
        .value_kind:     by_value
      - .actual_access:  read_only
        .address_space:  global
        .offset:         104
        .size:           8
        .value_kind:     global_buffer
      - .actual_access:  read_only
        .address_space:  global
        .offset:         112
        .size:           8
        .value_kind:     global_buffer
      - .actual_access:  read_only
        .address_space:  global
        .offset:         120
        .size:           8
        .value_kind:     global_buffer
      - .address_space:  global
        .offset:         128
        .size:           8
        .value_kind:     global_buffer
      - .address_space:  global
        .offset:         136
        .size:           8
        .value_kind:     global_buffer
      - .offset:         144
        .size:           4
        .value_kind:     by_value
      - .address_space:  global
        .offset:         152
        .size:           8
        .value_kind:     global_buffer
      - .address_space:  global
        .offset:         160
        .size:           8
        .value_kind:     global_buffer
    .group_segment_fixed_size: 0
    .kernarg_segment_align: 8
    .kernarg_segment_size: 168
    .language:       OpenCL C
    .language_version:
      - 2
      - 0
    .max_flat_workgroup_size: 1024
    .name:           _ZN9rocsparseL14kernel_freerunILi1024ELi1E21rocsparse_complex_numIfEiiEEvT3_S3_T2_PKS4_S6_PKS3_PKT1_21rocsparse_index_base_S6_S6_S8_PS9_SD_SC_S6_S6_S8_SD_SD_SC_SD_SD_
    .private_segment_fixed_size: 0
    .sgpr_count:     74
    .sgpr_spill_count: 0
    .symbol:         _ZN9rocsparseL14kernel_freerunILi1024ELi1E21rocsparse_complex_numIfEiiEEvT3_S3_T2_PKS4_S6_PKS3_PKT1_21rocsparse_index_base_S6_S6_S8_PS9_SD_SC_S6_S6_S8_SD_SD_SC_SD_SD_.kd
    .uniform_work_group_size: 1
    .uses_dynamic_stack: false
    .vgpr_count:     32
    .vgpr_spill_count: 0
    .wavefront_size: 64
  - .args:
      - .offset:         0
        .size:           4
        .value_kind:     by_value
      - .offset:         4
        .size:           4
        .value_kind:     by_value
      - .offset:         8
        .size:           4
        .value_kind:     by_value
      - .actual_access:  read_only
        .address_space:  global
        .offset:         16
        .size:           8
        .value_kind:     global_buffer
      - .actual_access:  read_only
        .address_space:  global
        .offset:         24
        .size:           8
        .value_kind:     global_buffer
      - .actual_access:  read_only
        .address_space:  global
        .offset:         32
        .size:           8
        .value_kind:     global_buffer
      - .actual_access:  read_only
        .address_space:  global
        .offset:         40
        .size:           8
        .value_kind:     global_buffer
      - .offset:         48
        .size:           4
        .value_kind:     by_value
      - .actual_access:  read_only
        .address_space:  global
        .offset:         56
        .size:           8
        .value_kind:     global_buffer
      - .actual_access:  read_only
        .address_space:  global
        .offset:         64
        .size:           8
        .value_kind:     global_buffer
      - .actual_access:  read_only
        .address_space:  global
        .offset:         72
        .size:           8
        .value_kind:     global_buffer
      - .address_space:  global
        .offset:         80
        .size:           8
        .value_kind:     global_buffer
      - .address_space:  global
        .offset:         88
        .size:           8
        .value_kind:     global_buffer
      - .offset:         96
        .size:           4
        .value_kind:     by_value
      - .actual_access:  read_only
        .address_space:  global
        .offset:         104
        .size:           8
        .value_kind:     global_buffer
      - .actual_access:  read_only
        .address_space:  global
        .offset:         112
        .size:           8
        .value_kind:     global_buffer
      - .actual_access:  read_only
        .address_space:  global
        .offset:         120
        .size:           8
        .value_kind:     global_buffer
      - .address_space:  global
        .offset:         128
        .size:           8
        .value_kind:     global_buffer
      - .address_space:  global
        .offset:         136
        .size:           8
        .value_kind:     global_buffer
      - .offset:         144
        .size:           4
        .value_kind:     by_value
      - .address_space:  global
        .offset:         152
        .size:           8
        .value_kind:     global_buffer
      - .address_space:  global
        .offset:         160
        .size:           8
        .value_kind:     global_buffer
    .group_segment_fixed_size: 0
    .kernarg_segment_align: 8
    .kernarg_segment_size: 168
    .language:       OpenCL C
    .language_version:
      - 2
      - 0
    .max_flat_workgroup_size: 1024
    .name:           _ZN9rocsparseL14kernel_freerunILi1024ELi2E21rocsparse_complex_numIfEiiEEvT3_S3_T2_PKS4_S6_PKS3_PKT1_21rocsparse_index_base_S6_S6_S8_PS9_SD_SC_S6_S6_S8_SD_SD_SC_SD_SD_
    .private_segment_fixed_size: 0
    .sgpr_count:     80
    .sgpr_spill_count: 0
    .symbol:         _ZN9rocsparseL14kernel_freerunILi1024ELi2E21rocsparse_complex_numIfEiiEEvT3_S3_T2_PKS4_S6_PKS3_PKT1_21rocsparse_index_base_S6_S6_S8_PS9_SD_SC_S6_S6_S8_SD_SD_SC_SD_SD_.kd
    .uniform_work_group_size: 1
    .uses_dynamic_stack: false
    .vgpr_count:     35
    .vgpr_spill_count: 0
    .wavefront_size: 64
  - .args:
      - .offset:         0
        .size:           4
        .value_kind:     by_value
      - .offset:         4
        .size:           4
        .value_kind:     by_value
      - .offset:         8
        .size:           4
        .value_kind:     by_value
      - .actual_access:  read_only
        .address_space:  global
        .offset:         16
        .size:           8
        .value_kind:     global_buffer
      - .actual_access:  read_only
        .address_space:  global
        .offset:         24
        .size:           8
        .value_kind:     global_buffer
      - .actual_access:  read_only
        .address_space:  global
        .offset:         32
        .size:           8
        .value_kind:     global_buffer
      - .actual_access:  read_only
        .address_space:  global
        .offset:         40
        .size:           8
        .value_kind:     global_buffer
      - .offset:         48
        .size:           4
        .value_kind:     by_value
      - .actual_access:  read_only
        .address_space:  global
        .offset:         56
        .size:           8
        .value_kind:     global_buffer
      - .actual_access:  read_only
        .address_space:  global
        .offset:         64
        .size:           8
        .value_kind:     global_buffer
      - .actual_access:  read_only
        .address_space:  global
        .offset:         72
        .size:           8
        .value_kind:     global_buffer
      - .address_space:  global
        .offset:         80
        .size:           8
        .value_kind:     global_buffer
      - .address_space:  global
        .offset:         88
        .size:           8
        .value_kind:     global_buffer
      - .offset:         96
        .size:           4
        .value_kind:     by_value
      - .actual_access:  read_only
        .address_space:  global
        .offset:         104
        .size:           8
        .value_kind:     global_buffer
      - .actual_access:  read_only
        .address_space:  global
        .offset:         112
        .size:           8
        .value_kind:     global_buffer
      - .actual_access:  read_only
        .address_space:  global
        .offset:         120
        .size:           8
        .value_kind:     global_buffer
      - .address_space:  global
        .offset:         128
        .size:           8
        .value_kind:     global_buffer
      - .address_space:  global
        .offset:         136
        .size:           8
        .value_kind:     global_buffer
      - .offset:         144
        .size:           4
        .value_kind:     by_value
      - .address_space:  global
        .offset:         152
        .size:           8
        .value_kind:     global_buffer
      - .address_space:  global
        .offset:         160
        .size:           8
        .value_kind:     global_buffer
    .group_segment_fixed_size: 0
    .kernarg_segment_align: 8
    .kernarg_segment_size: 168
    .language:       OpenCL C
    .language_version:
      - 2
      - 0
    .max_flat_workgroup_size: 1024
    .name:           _ZN9rocsparseL14kernel_freerunILi1024ELi4E21rocsparse_complex_numIfEiiEEvT3_S3_T2_PKS4_S6_PKS3_PKT1_21rocsparse_index_base_S6_S6_S8_PS9_SD_SC_S6_S6_S8_SD_SD_SC_SD_SD_
    .private_segment_fixed_size: 0
    .sgpr_count:     80
    .sgpr_spill_count: 0
    .symbol:         _ZN9rocsparseL14kernel_freerunILi1024ELi4E21rocsparse_complex_numIfEiiEEvT3_S3_T2_PKS4_S6_PKS3_PKT1_21rocsparse_index_base_S6_S6_S8_PS9_SD_SC_S6_S6_S8_SD_SD_SC_SD_SD_.kd
    .uniform_work_group_size: 1
    .uses_dynamic_stack: false
    .vgpr_count:     35
    .vgpr_spill_count: 0
    .wavefront_size: 64
  - .args:
      - .offset:         0
        .size:           4
        .value_kind:     by_value
      - .offset:         4
        .size:           4
        .value_kind:     by_value
      - .offset:         8
        .size:           4
        .value_kind:     by_value
      - .actual_access:  read_only
        .address_space:  global
        .offset:         16
        .size:           8
        .value_kind:     global_buffer
      - .actual_access:  read_only
        .address_space:  global
        .offset:         24
        .size:           8
        .value_kind:     global_buffer
      - .actual_access:  read_only
        .address_space:  global
        .offset:         32
        .size:           8
        .value_kind:     global_buffer
      - .actual_access:  read_only
        .address_space:  global
        .offset:         40
        .size:           8
        .value_kind:     global_buffer
      - .offset:         48
        .size:           4
        .value_kind:     by_value
      - .actual_access:  read_only
        .address_space:  global
        .offset:         56
        .size:           8
        .value_kind:     global_buffer
      - .actual_access:  read_only
        .address_space:  global
        .offset:         64
        .size:           8
        .value_kind:     global_buffer
      - .actual_access:  read_only
        .address_space:  global
        .offset:         72
        .size:           8
        .value_kind:     global_buffer
      - .address_space:  global
        .offset:         80
        .size:           8
        .value_kind:     global_buffer
      - .address_space:  global
        .offset:         88
        .size:           8
        .value_kind:     global_buffer
      - .offset:         96
        .size:           4
        .value_kind:     by_value
      - .actual_access:  read_only
        .address_space:  global
        .offset:         104
        .size:           8
        .value_kind:     global_buffer
      - .actual_access:  read_only
        .address_space:  global
        .offset:         112
        .size:           8
        .value_kind:     global_buffer
      - .actual_access:  read_only
        .address_space:  global
        .offset:         120
        .size:           8
        .value_kind:     global_buffer
      - .address_space:  global
        .offset:         128
        .size:           8
        .value_kind:     global_buffer
      - .address_space:  global
        .offset:         136
        .size:           8
        .value_kind:     global_buffer
      - .offset:         144
        .size:           4
        .value_kind:     by_value
      - .address_space:  global
        .offset:         152
        .size:           8
        .value_kind:     global_buffer
      - .address_space:  global
        .offset:         160
        .size:           8
        .value_kind:     global_buffer
    .group_segment_fixed_size: 0
    .kernarg_segment_align: 8
    .kernarg_segment_size: 168
    .language:       OpenCL C
    .language_version:
      - 2
      - 0
    .max_flat_workgroup_size: 1024
    .name:           _ZN9rocsparseL14kernel_freerunILi1024ELi8E21rocsparse_complex_numIfEiiEEvT3_S3_T2_PKS4_S6_PKS3_PKT1_21rocsparse_index_base_S6_S6_S8_PS9_SD_SC_S6_S6_S8_SD_SD_SC_SD_SD_
    .private_segment_fixed_size: 0
    .sgpr_count:     80
    .sgpr_spill_count: 0
    .symbol:         _ZN9rocsparseL14kernel_freerunILi1024ELi8E21rocsparse_complex_numIfEiiEEvT3_S3_T2_PKS4_S6_PKS3_PKT1_21rocsparse_index_base_S6_S6_S8_PS9_SD_SC_S6_S6_S8_SD_SD_SC_SD_SD_.kd
    .uniform_work_group_size: 1
    .uses_dynamic_stack: false
    .vgpr_count:     35
    .vgpr_spill_count: 0
    .wavefront_size: 64
  - .args:
      - .offset:         0
        .size:           4
        .value_kind:     by_value
      - .offset:         4
        .size:           4
        .value_kind:     by_value
      - .offset:         8
        .size:           4
        .value_kind:     by_value
      - .actual_access:  read_only
        .address_space:  global
        .offset:         16
        .size:           8
        .value_kind:     global_buffer
      - .actual_access:  read_only
        .address_space:  global
        .offset:         24
        .size:           8
        .value_kind:     global_buffer
      - .actual_access:  read_only
        .address_space:  global
        .offset:         32
        .size:           8
        .value_kind:     global_buffer
      - .actual_access:  read_only
        .address_space:  global
        .offset:         40
        .size:           8
        .value_kind:     global_buffer
      - .offset:         48
        .size:           4
        .value_kind:     by_value
      - .actual_access:  read_only
        .address_space:  global
        .offset:         56
        .size:           8
        .value_kind:     global_buffer
      - .actual_access:  read_only
        .address_space:  global
        .offset:         64
        .size:           8
        .value_kind:     global_buffer
      - .actual_access:  read_only
        .address_space:  global
        .offset:         72
        .size:           8
        .value_kind:     global_buffer
      - .address_space:  global
        .offset:         80
        .size:           8
        .value_kind:     global_buffer
      - .address_space:  global
        .offset:         88
        .size:           8
        .value_kind:     global_buffer
      - .offset:         96
        .size:           4
        .value_kind:     by_value
      - .actual_access:  read_only
        .address_space:  global
        .offset:         104
        .size:           8
        .value_kind:     global_buffer
      - .actual_access:  read_only
        .address_space:  global
        .offset:         112
        .size:           8
        .value_kind:     global_buffer
      - .actual_access:  read_only
        .address_space:  global
        .offset:         120
        .size:           8
        .value_kind:     global_buffer
      - .address_space:  global
        .offset:         128
        .size:           8
        .value_kind:     global_buffer
      - .address_space:  global
        .offset:         136
        .size:           8
        .value_kind:     global_buffer
      - .offset:         144
        .size:           4
        .value_kind:     by_value
      - .address_space:  global
        .offset:         152
        .size:           8
        .value_kind:     global_buffer
      - .address_space:  global
        .offset:         160
        .size:           8
        .value_kind:     global_buffer
    .group_segment_fixed_size: 0
    .kernarg_segment_align: 8
    .kernarg_segment_size: 168
    .language:       OpenCL C
    .language_version:
      - 2
      - 0
    .max_flat_workgroup_size: 1024
    .name:           _ZN9rocsparseL14kernel_freerunILi1024ELi16E21rocsparse_complex_numIfEiiEEvT3_S3_T2_PKS4_S6_PKS3_PKT1_21rocsparse_index_base_S6_S6_S8_PS9_SD_SC_S6_S6_S8_SD_SD_SC_SD_SD_
    .private_segment_fixed_size: 0
    .sgpr_count:     80
    .sgpr_spill_count: 0
    .symbol:         _ZN9rocsparseL14kernel_freerunILi1024ELi16E21rocsparse_complex_numIfEiiEEvT3_S3_T2_PKS4_S6_PKS3_PKT1_21rocsparse_index_base_S6_S6_S8_PS9_SD_SC_S6_S6_S8_SD_SD_SC_SD_SD_.kd
    .uniform_work_group_size: 1
    .uses_dynamic_stack: false
    .vgpr_count:     35
    .vgpr_spill_count: 0
    .wavefront_size: 64
  - .args:
      - .offset:         0
        .size:           4
        .value_kind:     by_value
      - .offset:         4
        .size:           4
        .value_kind:     by_value
      - .offset:         8
        .size:           4
        .value_kind:     by_value
      - .actual_access:  read_only
        .address_space:  global
        .offset:         16
        .size:           8
        .value_kind:     global_buffer
      - .actual_access:  read_only
        .address_space:  global
        .offset:         24
        .size:           8
        .value_kind:     global_buffer
      - .actual_access:  read_only
        .address_space:  global
        .offset:         32
        .size:           8
        .value_kind:     global_buffer
      - .actual_access:  read_only
        .address_space:  global
        .offset:         40
        .size:           8
        .value_kind:     global_buffer
      - .offset:         48
        .size:           4
        .value_kind:     by_value
      - .actual_access:  read_only
        .address_space:  global
        .offset:         56
        .size:           8
        .value_kind:     global_buffer
      - .actual_access:  read_only
        .address_space:  global
        .offset:         64
        .size:           8
        .value_kind:     global_buffer
      - .actual_access:  read_only
        .address_space:  global
        .offset:         72
        .size:           8
        .value_kind:     global_buffer
      - .address_space:  global
        .offset:         80
        .size:           8
        .value_kind:     global_buffer
      - .address_space:  global
        .offset:         88
        .size:           8
        .value_kind:     global_buffer
      - .offset:         96
        .size:           4
        .value_kind:     by_value
      - .actual_access:  read_only
        .address_space:  global
        .offset:         104
        .size:           8
        .value_kind:     global_buffer
      - .actual_access:  read_only
        .address_space:  global
        .offset:         112
        .size:           8
        .value_kind:     global_buffer
      - .actual_access:  read_only
        .address_space:  global
        .offset:         120
        .size:           8
        .value_kind:     global_buffer
      - .address_space:  global
        .offset:         128
        .size:           8
        .value_kind:     global_buffer
      - .address_space:  global
        .offset:         136
        .size:           8
        .value_kind:     global_buffer
      - .offset:         144
        .size:           4
        .value_kind:     by_value
      - .address_space:  global
        .offset:         152
        .size:           8
        .value_kind:     global_buffer
      - .address_space:  global
        .offset:         160
        .size:           8
        .value_kind:     global_buffer
    .group_segment_fixed_size: 0
    .kernarg_segment_align: 8
    .kernarg_segment_size: 168
    .language:       OpenCL C
    .language_version:
      - 2
      - 0
    .max_flat_workgroup_size: 1024
    .name:           _ZN9rocsparseL14kernel_freerunILi1024ELi32E21rocsparse_complex_numIfEiiEEvT3_S3_T2_PKS4_S6_PKS3_PKT1_21rocsparse_index_base_S6_S6_S8_PS9_SD_SC_S6_S6_S8_SD_SD_SC_SD_SD_
    .private_segment_fixed_size: 0
    .sgpr_count:     80
    .sgpr_spill_count: 0
    .symbol:         _ZN9rocsparseL14kernel_freerunILi1024ELi32E21rocsparse_complex_numIfEiiEEvT3_S3_T2_PKS4_S6_PKS3_PKT1_21rocsparse_index_base_S6_S6_S8_PS9_SD_SC_S6_S6_S8_SD_SD_SC_SD_SD_.kd
    .uniform_work_group_size: 1
    .uses_dynamic_stack: false
    .vgpr_count:     35
    .vgpr_spill_count: 0
    .wavefront_size: 64
  - .args:
      - .offset:         0
        .size:           4
        .value_kind:     by_value
      - .offset:         4
        .size:           4
        .value_kind:     by_value
      - .offset:         8
        .size:           4
        .value_kind:     by_value
      - .actual_access:  read_only
        .address_space:  global
        .offset:         16
        .size:           8
        .value_kind:     global_buffer
      - .actual_access:  read_only
        .address_space:  global
        .offset:         24
        .size:           8
        .value_kind:     global_buffer
      - .actual_access:  read_only
        .address_space:  global
        .offset:         32
        .size:           8
        .value_kind:     global_buffer
      - .actual_access:  read_only
        .address_space:  global
        .offset:         40
        .size:           8
        .value_kind:     global_buffer
      - .offset:         48
        .size:           4
        .value_kind:     by_value
      - .actual_access:  read_only
        .address_space:  global
        .offset:         56
        .size:           8
        .value_kind:     global_buffer
      - .actual_access:  read_only
        .address_space:  global
        .offset:         64
        .size:           8
        .value_kind:     global_buffer
      - .actual_access:  read_only
        .address_space:  global
        .offset:         72
        .size:           8
        .value_kind:     global_buffer
      - .address_space:  global
        .offset:         80
        .size:           8
        .value_kind:     global_buffer
      - .address_space:  global
        .offset:         88
        .size:           8
        .value_kind:     global_buffer
      - .offset:         96
        .size:           4
        .value_kind:     by_value
      - .actual_access:  read_only
        .address_space:  global
        .offset:         104
        .size:           8
        .value_kind:     global_buffer
      - .actual_access:  read_only
        .address_space:  global
        .offset:         112
        .size:           8
        .value_kind:     global_buffer
      - .actual_access:  read_only
        .address_space:  global
        .offset:         120
        .size:           8
        .value_kind:     global_buffer
      - .address_space:  global
        .offset:         128
        .size:           8
        .value_kind:     global_buffer
      - .address_space:  global
        .offset:         136
        .size:           8
        .value_kind:     global_buffer
      - .offset:         144
        .size:           4
        .value_kind:     by_value
      - .address_space:  global
        .offset:         152
        .size:           8
        .value_kind:     global_buffer
      - .address_space:  global
        .offset:         160
        .size:           8
        .value_kind:     global_buffer
    .group_segment_fixed_size: 0
    .kernarg_segment_align: 8
    .kernarg_segment_size: 168
    .language:       OpenCL C
    .language_version:
      - 2
      - 0
    .max_flat_workgroup_size: 1024
    .name:           _ZN9rocsparseL14kernel_freerunILi1024ELi64E21rocsparse_complex_numIfEiiEEvT3_S3_T2_PKS4_S6_PKS3_PKT1_21rocsparse_index_base_S6_S6_S8_PS9_SD_SC_S6_S6_S8_SD_SD_SC_SD_SD_
    .private_segment_fixed_size: 0
    .sgpr_count:     80
    .sgpr_spill_count: 0
    .symbol:         _ZN9rocsparseL14kernel_freerunILi1024ELi64E21rocsparse_complex_numIfEiiEEvT3_S3_T2_PKS4_S6_PKS3_PKT1_21rocsparse_index_base_S6_S6_S8_PS9_SD_SC_S6_S6_S8_SD_SD_SC_SD_SD_.kd
    .uniform_work_group_size: 1
    .uses_dynamic_stack: false
    .vgpr_count:     35
    .vgpr_spill_count: 0
    .wavefront_size: 64
  - .args:
      - .offset:         0
        .size:           1
        .value_kind:     by_value
      - .offset:         1
        .size:           1
        .value_kind:     by_value
      - .offset:         2
        .size:           1
        .value_kind:     by_value
      - .offset:         4
        .size:           4
        .value_kind:     by_value
      - .address_space:  global
        .offset:         8
        .size:           8
        .value_kind:     global_buffer
      - .offset:         16
        .size:           4
        .value_kind:     by_value
      - .offset:         20
        .size:           4
        .value_kind:     by_value
      - .offset:         24
        .size:           4
        .value_kind:     by_value
      - .actual_access:  read_only
        .address_space:  global
        .offset:         32
        .size:           8
        .value_kind:     global_buffer
      - .actual_access:  read_only
        .address_space:  global
        .offset:         40
        .size:           8
        .value_kind:     global_buffer
      - .actual_access:  read_only
        .address_space:  global
        .offset:         48
        .size:           8
        .value_kind:     global_buffer
      - .actual_access:  read_only
        .address_space:  global
        .offset:         56
        .size:           8
        .value_kind:     global_buffer
      - .offset:         64
        .size:           4
        .value_kind:     by_value
      - .actual_access:  read_only
        .address_space:  global
        .offset:         72
        .size:           8
        .value_kind:     global_buffer
      - .actual_access:  read_only
        .address_space:  global
        .offset:         80
        .size:           8
        .value_kind:     global_buffer
      - .actual_access:  read_only
        .address_space:  global
        .offset:         88
        .size:           8
        .value_kind:     global_buffer
      - .address_space:  global
        .offset:         96
        .size:           8
        .value_kind:     global_buffer
      - .address_space:  global
        .offset:         104
        .size:           8
        .value_kind:     global_buffer
      - .offset:         112
        .size:           4
        .value_kind:     by_value
      - .actual_access:  read_only
        .address_space:  global
        .offset:         120
        .size:           8
        .value_kind:     global_buffer
      - .actual_access:  read_only
        .address_space:  global
        .offset:         128
        .size:           8
        .value_kind:     global_buffer
      - .actual_access:  read_only
        .address_space:  global
        .offset:         136
        .size:           8
        .value_kind:     global_buffer
      - .address_space:  global
        .offset:         144
        .size:           8
        .value_kind:     global_buffer
      - .address_space:  global
        .offset:         152
        .size:           8
        .value_kind:     global_buffer
      - .offset:         160
        .size:           4
        .value_kind:     by_value
      - .address_space:  global
        .offset:         168
        .size:           8
        .value_kind:     global_buffer
      - .address_space:  global
        .offset:         176
        .size:           8
        .value_kind:     global_buffer
      - .address_space:  global
        .offset:         184
        .size:           8
        .value_kind:     global_buffer
      - .address_space:  global
        .offset:         192
        .size:           8
        .value_kind:     global_buffer
      - .actual_access:  read_only
        .address_space:  global
        .offset:         200
        .size:           8
        .value_kind:     global_buffer
    .group_segment_fixed_size: 8192
    .kernarg_segment_align: 8
    .kernarg_segment_size: 208
    .language:       OpenCL C
    .language_version:
      - 2
      - 0
    .max_flat_workgroup_size: 1024
    .name:           _ZN9rocsparseL6kernelILi1024ELi1E21rocsparse_complex_numIfEiiEEvbbbT3_PS3_NS_15floating_traitsIT1_E6data_tES3_T2_PKS9_SB_PKS3_PKS6_21rocsparse_index_base_SB_SB_SD_PS6_SH_SG_SB_SB_SD_SH_SH_SG_SH_SH_PS8_SI_PKS8_
    .private_segment_fixed_size: 0
    .sgpr_count:     100
    .sgpr_spill_count: 12
    .symbol:         _ZN9rocsparseL6kernelILi1024ELi1E21rocsparse_complex_numIfEiiEEvbbbT3_PS3_NS_15floating_traitsIT1_E6data_tES3_T2_PKS9_SB_PKS3_PKS6_21rocsparse_index_base_SB_SB_SD_PS6_SH_SG_SB_SB_SD_SH_SH_SG_SH_SH_PS8_SI_PKS8_.kd
    .uniform_work_group_size: 1
    .uses_dynamic_stack: false
    .vgpr_count:     38
    .vgpr_spill_count: 0
    .wavefront_size: 64
  - .args:
      - .offset:         0
        .size:           1
        .value_kind:     by_value
      - .offset:         1
        .size:           1
        .value_kind:     by_value
      - .offset:         2
        .size:           1
        .value_kind:     by_value
      - .offset:         4
        .size:           4
        .value_kind:     by_value
      - .address_space:  global
        .offset:         8
        .size:           8
        .value_kind:     global_buffer
      - .offset:         16
        .size:           4
        .value_kind:     by_value
      - .offset:         20
        .size:           4
        .value_kind:     by_value
      - .offset:         24
        .size:           4
        .value_kind:     by_value
      - .actual_access:  read_only
        .address_space:  global
        .offset:         32
        .size:           8
        .value_kind:     global_buffer
      - .actual_access:  read_only
        .address_space:  global
        .offset:         40
        .size:           8
        .value_kind:     global_buffer
      - .actual_access:  read_only
        .address_space:  global
        .offset:         48
        .size:           8
        .value_kind:     global_buffer
      - .actual_access:  read_only
        .address_space:  global
        .offset:         56
        .size:           8
        .value_kind:     global_buffer
      - .offset:         64
        .size:           4
        .value_kind:     by_value
      - .actual_access:  read_only
        .address_space:  global
        .offset:         72
        .size:           8
        .value_kind:     global_buffer
      - .actual_access:  read_only
        .address_space:  global
        .offset:         80
        .size:           8
        .value_kind:     global_buffer
      - .actual_access:  read_only
        .address_space:  global
        .offset:         88
        .size:           8
        .value_kind:     global_buffer
      - .address_space:  global
        .offset:         96
        .size:           8
        .value_kind:     global_buffer
      - .address_space:  global
        .offset:         104
        .size:           8
        .value_kind:     global_buffer
      - .offset:         112
        .size:           4
        .value_kind:     by_value
      - .actual_access:  read_only
        .address_space:  global
        .offset:         120
        .size:           8
        .value_kind:     global_buffer
      - .actual_access:  read_only
        .address_space:  global
        .offset:         128
        .size:           8
        .value_kind:     global_buffer
      - .actual_access:  read_only
        .address_space:  global
        .offset:         136
        .size:           8
        .value_kind:     global_buffer
      - .address_space:  global
        .offset:         144
        .size:           8
        .value_kind:     global_buffer
      - .address_space:  global
        .offset:         152
        .size:           8
        .value_kind:     global_buffer
      - .offset:         160
        .size:           4
        .value_kind:     by_value
      - .address_space:  global
        .offset:         168
        .size:           8
        .value_kind:     global_buffer
      - .address_space:  global
        .offset:         176
        .size:           8
        .value_kind:     global_buffer
      - .address_space:  global
        .offset:         184
        .size:           8
        .value_kind:     global_buffer
      - .address_space:  global
        .offset:         192
        .size:           8
        .value_kind:     global_buffer
      - .actual_access:  read_only
        .address_space:  global
        .offset:         200
        .size:           8
        .value_kind:     global_buffer
    .group_segment_fixed_size: 4096
    .kernarg_segment_align: 8
    .kernarg_segment_size: 208
    .language:       OpenCL C
    .language_version:
      - 2
      - 0
    .max_flat_workgroup_size: 1024
    .name:           _ZN9rocsparseL6kernelILi1024ELi2E21rocsparse_complex_numIfEiiEEvbbbT3_PS3_NS_15floating_traitsIT1_E6data_tES3_T2_PKS9_SB_PKS3_PKS6_21rocsparse_index_base_SB_SB_SD_PS6_SH_SG_SB_SB_SD_SH_SH_SG_SH_SH_PS8_SI_PKS8_
    .private_segment_fixed_size: 0
    .sgpr_count:     100
    .sgpr_spill_count: 20
    .symbol:         _ZN9rocsparseL6kernelILi1024ELi2E21rocsparse_complex_numIfEiiEEvbbbT3_PS3_NS_15floating_traitsIT1_E6data_tES3_T2_PKS9_SB_PKS3_PKS6_21rocsparse_index_base_SB_SB_SD_PS6_SH_SG_SB_SB_SD_SH_SH_SG_SH_SH_PS8_SI_PKS8_.kd
    .uniform_work_group_size: 1
    .uses_dynamic_stack: false
    .vgpr_count:     44
    .vgpr_spill_count: 0
    .wavefront_size: 64
  - .args:
      - .offset:         0
        .size:           1
        .value_kind:     by_value
      - .offset:         1
        .size:           1
        .value_kind:     by_value
      - .offset:         2
        .size:           1
        .value_kind:     by_value
      - .offset:         4
        .size:           4
        .value_kind:     by_value
      - .address_space:  global
        .offset:         8
        .size:           8
        .value_kind:     global_buffer
      - .offset:         16
        .size:           4
        .value_kind:     by_value
      - .offset:         20
        .size:           4
        .value_kind:     by_value
      - .offset:         24
        .size:           4
        .value_kind:     by_value
      - .actual_access:  read_only
        .address_space:  global
        .offset:         32
        .size:           8
        .value_kind:     global_buffer
      - .actual_access:  read_only
        .address_space:  global
        .offset:         40
        .size:           8
        .value_kind:     global_buffer
      - .actual_access:  read_only
        .address_space:  global
        .offset:         48
        .size:           8
        .value_kind:     global_buffer
      - .actual_access:  read_only
        .address_space:  global
        .offset:         56
        .size:           8
        .value_kind:     global_buffer
      - .offset:         64
        .size:           4
        .value_kind:     by_value
      - .actual_access:  read_only
        .address_space:  global
        .offset:         72
        .size:           8
        .value_kind:     global_buffer
      - .actual_access:  read_only
        .address_space:  global
        .offset:         80
        .size:           8
        .value_kind:     global_buffer
      - .actual_access:  read_only
        .address_space:  global
        .offset:         88
        .size:           8
        .value_kind:     global_buffer
      - .address_space:  global
        .offset:         96
        .size:           8
        .value_kind:     global_buffer
      - .address_space:  global
        .offset:         104
        .size:           8
        .value_kind:     global_buffer
      - .offset:         112
        .size:           4
        .value_kind:     by_value
      - .actual_access:  read_only
        .address_space:  global
        .offset:         120
        .size:           8
        .value_kind:     global_buffer
      - .actual_access:  read_only
        .address_space:  global
        .offset:         128
        .size:           8
        .value_kind:     global_buffer
      - .actual_access:  read_only
        .address_space:  global
        .offset:         136
        .size:           8
        .value_kind:     global_buffer
      - .address_space:  global
        .offset:         144
        .size:           8
        .value_kind:     global_buffer
      - .address_space:  global
        .offset:         152
        .size:           8
        .value_kind:     global_buffer
      - .offset:         160
        .size:           4
        .value_kind:     by_value
      - .address_space:  global
        .offset:         168
        .size:           8
        .value_kind:     global_buffer
      - .address_space:  global
        .offset:         176
        .size:           8
        .value_kind:     global_buffer
      - .address_space:  global
        .offset:         184
        .size:           8
        .value_kind:     global_buffer
      - .address_space:  global
        .offset:         192
        .size:           8
        .value_kind:     global_buffer
      - .actual_access:  read_only
        .address_space:  global
        .offset:         200
        .size:           8
        .value_kind:     global_buffer
    .group_segment_fixed_size: 2048
    .kernarg_segment_align: 8
    .kernarg_segment_size: 208
    .language:       OpenCL C
    .language_version:
      - 2
      - 0
    .max_flat_workgroup_size: 1024
    .name:           _ZN9rocsparseL6kernelILi1024ELi4E21rocsparse_complex_numIfEiiEEvbbbT3_PS3_NS_15floating_traitsIT1_E6data_tES3_T2_PKS9_SB_PKS3_PKS6_21rocsparse_index_base_SB_SB_SD_PS6_SH_SG_SB_SB_SD_SH_SH_SG_SH_SH_PS8_SI_PKS8_
    .private_segment_fixed_size: 0
    .sgpr_count:     100
    .sgpr_spill_count: 18
    .symbol:         _ZN9rocsparseL6kernelILi1024ELi4E21rocsparse_complex_numIfEiiEEvbbbT3_PS3_NS_15floating_traitsIT1_E6data_tES3_T2_PKS9_SB_PKS3_PKS6_21rocsparse_index_base_SB_SB_SD_PS6_SH_SG_SB_SB_SD_SH_SH_SG_SH_SH_PS8_SI_PKS8_.kd
    .uniform_work_group_size: 1
    .uses_dynamic_stack: false
    .vgpr_count:     44
    .vgpr_spill_count: 0
    .wavefront_size: 64
  - .args:
      - .offset:         0
        .size:           1
        .value_kind:     by_value
      - .offset:         1
        .size:           1
        .value_kind:     by_value
      - .offset:         2
        .size:           1
        .value_kind:     by_value
      - .offset:         4
        .size:           4
        .value_kind:     by_value
      - .address_space:  global
        .offset:         8
        .size:           8
        .value_kind:     global_buffer
      - .offset:         16
        .size:           4
        .value_kind:     by_value
      - .offset:         20
        .size:           4
        .value_kind:     by_value
      - .offset:         24
        .size:           4
        .value_kind:     by_value
      - .actual_access:  read_only
        .address_space:  global
        .offset:         32
        .size:           8
        .value_kind:     global_buffer
      - .actual_access:  read_only
        .address_space:  global
        .offset:         40
        .size:           8
        .value_kind:     global_buffer
      - .actual_access:  read_only
        .address_space:  global
        .offset:         48
        .size:           8
        .value_kind:     global_buffer
      - .actual_access:  read_only
        .address_space:  global
        .offset:         56
        .size:           8
        .value_kind:     global_buffer
      - .offset:         64
        .size:           4
        .value_kind:     by_value
      - .actual_access:  read_only
        .address_space:  global
        .offset:         72
        .size:           8
        .value_kind:     global_buffer
      - .actual_access:  read_only
        .address_space:  global
        .offset:         80
        .size:           8
        .value_kind:     global_buffer
      - .actual_access:  read_only
        .address_space:  global
        .offset:         88
        .size:           8
        .value_kind:     global_buffer
      - .address_space:  global
        .offset:         96
        .size:           8
        .value_kind:     global_buffer
      - .address_space:  global
        .offset:         104
        .size:           8
        .value_kind:     global_buffer
      - .offset:         112
        .size:           4
        .value_kind:     by_value
      - .actual_access:  read_only
        .address_space:  global
        .offset:         120
        .size:           8
        .value_kind:     global_buffer
      - .actual_access:  read_only
        .address_space:  global
        .offset:         128
        .size:           8
        .value_kind:     global_buffer
      - .actual_access:  read_only
        .address_space:  global
        .offset:         136
        .size:           8
        .value_kind:     global_buffer
      - .address_space:  global
        .offset:         144
        .size:           8
        .value_kind:     global_buffer
      - .address_space:  global
        .offset:         152
        .size:           8
        .value_kind:     global_buffer
      - .offset:         160
        .size:           4
        .value_kind:     by_value
      - .address_space:  global
        .offset:         168
        .size:           8
        .value_kind:     global_buffer
      - .address_space:  global
        .offset:         176
        .size:           8
        .value_kind:     global_buffer
      - .address_space:  global
        .offset:         184
        .size:           8
        .value_kind:     global_buffer
      - .address_space:  global
        .offset:         192
        .size:           8
        .value_kind:     global_buffer
      - .actual_access:  read_only
        .address_space:  global
        .offset:         200
        .size:           8
        .value_kind:     global_buffer
    .group_segment_fixed_size: 1024
    .kernarg_segment_align: 8
    .kernarg_segment_size: 208
    .language:       OpenCL C
    .language_version:
      - 2
      - 0
    .max_flat_workgroup_size: 1024
    .name:           _ZN9rocsparseL6kernelILi1024ELi8E21rocsparse_complex_numIfEiiEEvbbbT3_PS3_NS_15floating_traitsIT1_E6data_tES3_T2_PKS9_SB_PKS3_PKS6_21rocsparse_index_base_SB_SB_SD_PS6_SH_SG_SB_SB_SD_SH_SH_SG_SH_SH_PS8_SI_PKS8_
    .private_segment_fixed_size: 0
    .sgpr_count:     100
    .sgpr_spill_count: 16
    .symbol:         _ZN9rocsparseL6kernelILi1024ELi8E21rocsparse_complex_numIfEiiEEvbbbT3_PS3_NS_15floating_traitsIT1_E6data_tES3_T2_PKS9_SB_PKS3_PKS6_21rocsparse_index_base_SB_SB_SD_PS6_SH_SG_SB_SB_SD_SH_SH_SG_SH_SH_PS8_SI_PKS8_.kd
    .uniform_work_group_size: 1
    .uses_dynamic_stack: false
    .vgpr_count:     44
    .vgpr_spill_count: 0
    .wavefront_size: 64
  - .args:
      - .offset:         0
        .size:           1
        .value_kind:     by_value
      - .offset:         1
        .size:           1
        .value_kind:     by_value
      - .offset:         2
        .size:           1
        .value_kind:     by_value
      - .offset:         4
        .size:           4
        .value_kind:     by_value
      - .address_space:  global
        .offset:         8
        .size:           8
        .value_kind:     global_buffer
      - .offset:         16
        .size:           4
        .value_kind:     by_value
      - .offset:         20
        .size:           4
        .value_kind:     by_value
      - .offset:         24
        .size:           4
        .value_kind:     by_value
      - .actual_access:  read_only
        .address_space:  global
        .offset:         32
        .size:           8
        .value_kind:     global_buffer
      - .actual_access:  read_only
        .address_space:  global
        .offset:         40
        .size:           8
        .value_kind:     global_buffer
      - .actual_access:  read_only
        .address_space:  global
        .offset:         48
        .size:           8
        .value_kind:     global_buffer
      - .actual_access:  read_only
        .address_space:  global
        .offset:         56
        .size:           8
        .value_kind:     global_buffer
      - .offset:         64
        .size:           4
        .value_kind:     by_value
      - .actual_access:  read_only
        .address_space:  global
        .offset:         72
        .size:           8
        .value_kind:     global_buffer
      - .actual_access:  read_only
        .address_space:  global
        .offset:         80
        .size:           8
        .value_kind:     global_buffer
      - .actual_access:  read_only
        .address_space:  global
        .offset:         88
        .size:           8
        .value_kind:     global_buffer
      - .address_space:  global
        .offset:         96
        .size:           8
        .value_kind:     global_buffer
      - .address_space:  global
        .offset:         104
        .size:           8
        .value_kind:     global_buffer
      - .offset:         112
        .size:           4
        .value_kind:     by_value
      - .actual_access:  read_only
        .address_space:  global
        .offset:         120
        .size:           8
        .value_kind:     global_buffer
      - .actual_access:  read_only
        .address_space:  global
        .offset:         128
        .size:           8
        .value_kind:     global_buffer
      - .actual_access:  read_only
        .address_space:  global
        .offset:         136
        .size:           8
        .value_kind:     global_buffer
      - .address_space:  global
        .offset:         144
        .size:           8
        .value_kind:     global_buffer
      - .address_space:  global
        .offset:         152
        .size:           8
        .value_kind:     global_buffer
      - .offset:         160
        .size:           4
        .value_kind:     by_value
      - .address_space:  global
        .offset:         168
        .size:           8
        .value_kind:     global_buffer
      - .address_space:  global
        .offset:         176
        .size:           8
        .value_kind:     global_buffer
      - .address_space:  global
        .offset:         184
        .size:           8
        .value_kind:     global_buffer
      - .address_space:  global
        .offset:         192
        .size:           8
        .value_kind:     global_buffer
      - .actual_access:  read_only
        .address_space:  global
        .offset:         200
        .size:           8
        .value_kind:     global_buffer
    .group_segment_fixed_size: 512
    .kernarg_segment_align: 8
    .kernarg_segment_size: 208
    .language:       OpenCL C
    .language_version:
      - 2
      - 0
    .max_flat_workgroup_size: 1024
    .name:           _ZN9rocsparseL6kernelILi1024ELi16E21rocsparse_complex_numIfEiiEEvbbbT3_PS3_NS_15floating_traitsIT1_E6data_tES3_T2_PKS9_SB_PKS3_PKS6_21rocsparse_index_base_SB_SB_SD_PS6_SH_SG_SB_SB_SD_SH_SH_SG_SH_SH_PS8_SI_PKS8_
    .private_segment_fixed_size: 0
    .sgpr_count:     100
    .sgpr_spill_count: 14
    .symbol:         _ZN9rocsparseL6kernelILi1024ELi16E21rocsparse_complex_numIfEiiEEvbbbT3_PS3_NS_15floating_traitsIT1_E6data_tES3_T2_PKS9_SB_PKS3_PKS6_21rocsparse_index_base_SB_SB_SD_PS6_SH_SG_SB_SB_SD_SH_SH_SG_SH_SH_PS8_SI_PKS8_.kd
    .uniform_work_group_size: 1
    .uses_dynamic_stack: false
    .vgpr_count:     44
    .vgpr_spill_count: 0
    .wavefront_size: 64
  - .args:
      - .offset:         0
        .size:           1
        .value_kind:     by_value
      - .offset:         1
        .size:           1
        .value_kind:     by_value
      - .offset:         2
        .size:           1
        .value_kind:     by_value
      - .offset:         4
        .size:           4
        .value_kind:     by_value
      - .address_space:  global
        .offset:         8
        .size:           8
        .value_kind:     global_buffer
      - .offset:         16
        .size:           4
        .value_kind:     by_value
      - .offset:         20
        .size:           4
        .value_kind:     by_value
      - .offset:         24
        .size:           4
        .value_kind:     by_value
      - .actual_access:  read_only
        .address_space:  global
        .offset:         32
        .size:           8
        .value_kind:     global_buffer
      - .actual_access:  read_only
        .address_space:  global
        .offset:         40
        .size:           8
        .value_kind:     global_buffer
      - .actual_access:  read_only
        .address_space:  global
        .offset:         48
        .size:           8
        .value_kind:     global_buffer
      - .actual_access:  read_only
        .address_space:  global
        .offset:         56
        .size:           8
        .value_kind:     global_buffer
      - .offset:         64
        .size:           4
        .value_kind:     by_value
      - .actual_access:  read_only
        .address_space:  global
        .offset:         72
        .size:           8
        .value_kind:     global_buffer
      - .actual_access:  read_only
        .address_space:  global
        .offset:         80
        .size:           8
        .value_kind:     global_buffer
      - .actual_access:  read_only
        .address_space:  global
        .offset:         88
        .size:           8
        .value_kind:     global_buffer
      - .address_space:  global
        .offset:         96
        .size:           8
        .value_kind:     global_buffer
      - .address_space:  global
        .offset:         104
        .size:           8
        .value_kind:     global_buffer
      - .offset:         112
        .size:           4
        .value_kind:     by_value
      - .actual_access:  read_only
        .address_space:  global
        .offset:         120
        .size:           8
        .value_kind:     global_buffer
      - .actual_access:  read_only
        .address_space:  global
        .offset:         128
        .size:           8
        .value_kind:     global_buffer
      - .actual_access:  read_only
        .address_space:  global
        .offset:         136
        .size:           8
        .value_kind:     global_buffer
      - .address_space:  global
        .offset:         144
        .size:           8
        .value_kind:     global_buffer
      - .address_space:  global
        .offset:         152
        .size:           8
        .value_kind:     global_buffer
      - .offset:         160
        .size:           4
        .value_kind:     by_value
      - .address_space:  global
        .offset:         168
        .size:           8
        .value_kind:     global_buffer
      - .address_space:  global
        .offset:         176
        .size:           8
        .value_kind:     global_buffer
      - .address_space:  global
        .offset:         184
        .size:           8
        .value_kind:     global_buffer
      - .address_space:  global
        .offset:         192
        .size:           8
        .value_kind:     global_buffer
      - .actual_access:  read_only
        .address_space:  global
        .offset:         200
        .size:           8
        .value_kind:     global_buffer
    .group_segment_fixed_size: 256
    .kernarg_segment_align: 8
    .kernarg_segment_size: 208
    .language:       OpenCL C
    .language_version:
      - 2
      - 0
    .max_flat_workgroup_size: 1024
    .name:           _ZN9rocsparseL6kernelILi1024ELi32E21rocsparse_complex_numIfEiiEEvbbbT3_PS3_NS_15floating_traitsIT1_E6data_tES3_T2_PKS9_SB_PKS3_PKS6_21rocsparse_index_base_SB_SB_SD_PS6_SH_SG_SB_SB_SD_SH_SH_SG_SH_SH_PS8_SI_PKS8_
    .private_segment_fixed_size: 0
    .sgpr_count:     100
    .sgpr_spill_count: 12
    .symbol:         _ZN9rocsparseL6kernelILi1024ELi32E21rocsparse_complex_numIfEiiEEvbbbT3_PS3_NS_15floating_traitsIT1_E6data_tES3_T2_PKS9_SB_PKS3_PKS6_21rocsparse_index_base_SB_SB_SD_PS6_SH_SG_SB_SB_SD_SH_SH_SG_SH_SH_PS8_SI_PKS8_.kd
    .uniform_work_group_size: 1
    .uses_dynamic_stack: false
    .vgpr_count:     44
    .vgpr_spill_count: 0
    .wavefront_size: 64
  - .args:
      - .offset:         0
        .size:           1
        .value_kind:     by_value
      - .offset:         1
        .size:           1
        .value_kind:     by_value
      - .offset:         2
        .size:           1
        .value_kind:     by_value
      - .offset:         4
        .size:           4
        .value_kind:     by_value
      - .address_space:  global
        .offset:         8
        .size:           8
        .value_kind:     global_buffer
      - .offset:         16
        .size:           4
        .value_kind:     by_value
      - .offset:         20
        .size:           4
        .value_kind:     by_value
      - .offset:         24
        .size:           4
        .value_kind:     by_value
      - .actual_access:  read_only
        .address_space:  global
        .offset:         32
        .size:           8
        .value_kind:     global_buffer
      - .actual_access:  read_only
        .address_space:  global
        .offset:         40
        .size:           8
        .value_kind:     global_buffer
      - .actual_access:  read_only
        .address_space:  global
        .offset:         48
        .size:           8
        .value_kind:     global_buffer
      - .actual_access:  read_only
        .address_space:  global
        .offset:         56
        .size:           8
        .value_kind:     global_buffer
      - .offset:         64
        .size:           4
        .value_kind:     by_value
      - .actual_access:  read_only
        .address_space:  global
        .offset:         72
        .size:           8
        .value_kind:     global_buffer
      - .actual_access:  read_only
        .address_space:  global
        .offset:         80
        .size:           8
        .value_kind:     global_buffer
      - .actual_access:  read_only
        .address_space:  global
        .offset:         88
        .size:           8
        .value_kind:     global_buffer
      - .address_space:  global
        .offset:         96
        .size:           8
        .value_kind:     global_buffer
      - .address_space:  global
        .offset:         104
        .size:           8
        .value_kind:     global_buffer
      - .offset:         112
        .size:           4
        .value_kind:     by_value
      - .actual_access:  read_only
        .address_space:  global
        .offset:         120
        .size:           8
        .value_kind:     global_buffer
      - .actual_access:  read_only
        .address_space:  global
        .offset:         128
        .size:           8
        .value_kind:     global_buffer
      - .actual_access:  read_only
        .address_space:  global
        .offset:         136
        .size:           8
        .value_kind:     global_buffer
      - .address_space:  global
        .offset:         144
        .size:           8
        .value_kind:     global_buffer
      - .address_space:  global
        .offset:         152
        .size:           8
        .value_kind:     global_buffer
      - .offset:         160
        .size:           4
        .value_kind:     by_value
      - .address_space:  global
        .offset:         168
        .size:           8
        .value_kind:     global_buffer
      - .address_space:  global
        .offset:         176
        .size:           8
        .value_kind:     global_buffer
      - .address_space:  global
        .offset:         184
        .size:           8
        .value_kind:     global_buffer
      - .address_space:  global
        .offset:         192
        .size:           8
        .value_kind:     global_buffer
      - .actual_access:  read_only
        .address_space:  global
        .offset:         200
        .size:           8
        .value_kind:     global_buffer
    .group_segment_fixed_size: 128
    .kernarg_segment_align: 8
    .kernarg_segment_size: 208
    .language:       OpenCL C
    .language_version:
      - 2
      - 0
    .max_flat_workgroup_size: 1024
    .name:           _ZN9rocsparseL6kernelILi1024ELi64E21rocsparse_complex_numIfEiiEEvbbbT3_PS3_NS_15floating_traitsIT1_E6data_tES3_T2_PKS9_SB_PKS3_PKS6_21rocsparse_index_base_SB_SB_SD_PS6_SH_SG_SB_SB_SD_SH_SH_SG_SH_SH_PS8_SI_PKS8_
    .private_segment_fixed_size: 0
    .sgpr_count:     100
    .sgpr_spill_count: 6
    .symbol:         _ZN9rocsparseL6kernelILi1024ELi64E21rocsparse_complex_numIfEiiEEvbbbT3_PS3_NS_15floating_traitsIT1_E6data_tES3_T2_PKS9_SB_PKS3_PKS6_21rocsparse_index_base_SB_SB_SD_PS6_SH_SG_SB_SB_SD_SH_SH_SG_SH_SH_PS8_SI_PKS8_.kd
    .uniform_work_group_size: 1
    .uses_dynamic_stack: false
    .vgpr_count:     44
    .vgpr_spill_count: 0
    .wavefront_size: 64
  - .args:
      - .offset:         0
        .size:           4
        .value_kind:     by_value
      - .offset:         4
        .size:           4
        .value_kind:     by_value
      - .offset:         8
        .size:           4
        .value_kind:     by_value
      - .actual_access:  read_only
        .address_space:  global
        .offset:         16
        .size:           8
        .value_kind:     global_buffer
      - .actual_access:  read_only
        .address_space:  global
        .offset:         24
        .size:           8
        .value_kind:     global_buffer
      - .actual_access:  read_only
        .address_space:  global
        .offset:         32
        .size:           8
        .value_kind:     global_buffer
      - .actual_access:  read_only
        .address_space:  global
        .offset:         40
        .size:           8
        .value_kind:     global_buffer
      - .offset:         48
        .size:           4
        .value_kind:     by_value
      - .actual_access:  read_only
        .address_space:  global
        .offset:         56
        .size:           8
        .value_kind:     global_buffer
      - .actual_access:  read_only
        .address_space:  global
        .offset:         64
        .size:           8
        .value_kind:     global_buffer
      - .actual_access:  read_only
        .address_space:  global
        .offset:         72
        .size:           8
        .value_kind:     global_buffer
      - .address_space:  global
        .offset:         80
        .size:           8
        .value_kind:     global_buffer
      - .address_space:  global
        .offset:         88
        .size:           8
        .value_kind:     global_buffer
      - .offset:         96
        .size:           4
        .value_kind:     by_value
      - .actual_access:  read_only
        .address_space:  global
        .offset:         104
        .size:           8
        .value_kind:     global_buffer
      - .actual_access:  read_only
        .address_space:  global
        .offset:         112
        .size:           8
        .value_kind:     global_buffer
      - .actual_access:  read_only
        .address_space:  global
        .offset:         120
        .size:           8
        .value_kind:     global_buffer
      - .address_space:  global
        .offset:         128
        .size:           8
        .value_kind:     global_buffer
      - .address_space:  global
        .offset:         136
        .size:           8
        .value_kind:     global_buffer
      - .offset:         144
        .size:           4
        .value_kind:     by_value
      - .address_space:  global
        .offset:         152
        .size:           8
        .value_kind:     global_buffer
      - .address_space:  global
        .offset:         160
        .size:           8
        .value_kind:     global_buffer
    .group_segment_fixed_size: 0
    .kernarg_segment_align: 8
    .kernarg_segment_size: 168
    .language:       OpenCL C
    .language_version:
      - 2
      - 0
    .max_flat_workgroup_size: 1024
    .name:           _ZN9rocsparseL14kernel_freerunILi1024ELi1E21rocsparse_complex_numIdEiiEEvT3_S3_T2_PKS4_S6_PKS3_PKT1_21rocsparse_index_base_S6_S6_S8_PS9_SD_SC_S6_S6_S8_SD_SD_SC_SD_SD_
    .private_segment_fixed_size: 0
    .sgpr_count:     76
    .sgpr_spill_count: 0
    .symbol:         _ZN9rocsparseL14kernel_freerunILi1024ELi1E21rocsparse_complex_numIdEiiEEvT3_S3_T2_PKS4_S6_PKS3_PKT1_21rocsparse_index_base_S6_S6_S8_PS9_SD_SC_S6_S6_S8_SD_SD_SC_SD_SD_.kd
    .uniform_work_group_size: 1
    .uses_dynamic_stack: false
    .vgpr_count:     42
    .vgpr_spill_count: 0
    .wavefront_size: 64
  - .args:
      - .offset:         0
        .size:           4
        .value_kind:     by_value
      - .offset:         4
        .size:           4
        .value_kind:     by_value
      - .offset:         8
        .size:           4
        .value_kind:     by_value
      - .actual_access:  read_only
        .address_space:  global
        .offset:         16
        .size:           8
        .value_kind:     global_buffer
      - .actual_access:  read_only
        .address_space:  global
        .offset:         24
        .size:           8
        .value_kind:     global_buffer
      - .actual_access:  read_only
        .address_space:  global
        .offset:         32
        .size:           8
        .value_kind:     global_buffer
      - .actual_access:  read_only
        .address_space:  global
        .offset:         40
        .size:           8
        .value_kind:     global_buffer
      - .offset:         48
        .size:           4
        .value_kind:     by_value
      - .actual_access:  read_only
        .address_space:  global
        .offset:         56
        .size:           8
        .value_kind:     global_buffer
      - .actual_access:  read_only
        .address_space:  global
        .offset:         64
        .size:           8
        .value_kind:     global_buffer
      - .actual_access:  read_only
        .address_space:  global
        .offset:         72
        .size:           8
        .value_kind:     global_buffer
      - .address_space:  global
        .offset:         80
        .size:           8
        .value_kind:     global_buffer
      - .address_space:  global
        .offset:         88
        .size:           8
        .value_kind:     global_buffer
      - .offset:         96
        .size:           4
        .value_kind:     by_value
      - .actual_access:  read_only
        .address_space:  global
        .offset:         104
        .size:           8
        .value_kind:     global_buffer
      - .actual_access:  read_only
        .address_space:  global
        .offset:         112
        .size:           8
        .value_kind:     global_buffer
      - .actual_access:  read_only
        .address_space:  global
        .offset:         120
        .size:           8
        .value_kind:     global_buffer
      - .address_space:  global
        .offset:         128
        .size:           8
        .value_kind:     global_buffer
      - .address_space:  global
        .offset:         136
        .size:           8
        .value_kind:     global_buffer
      - .offset:         144
        .size:           4
        .value_kind:     by_value
      - .address_space:  global
        .offset:         152
        .size:           8
        .value_kind:     global_buffer
      - .address_space:  global
        .offset:         160
        .size:           8
        .value_kind:     global_buffer
    .group_segment_fixed_size: 0
    .kernarg_segment_align: 8
    .kernarg_segment_size: 168
    .language:       OpenCL C
    .language_version:
      - 2
      - 0
    .max_flat_workgroup_size: 1024
    .name:           _ZN9rocsparseL14kernel_freerunILi1024ELi2E21rocsparse_complex_numIdEiiEEvT3_S3_T2_PKS4_S6_PKS3_PKT1_21rocsparse_index_base_S6_S6_S8_PS9_SD_SC_S6_S6_S8_SD_SD_SC_SD_SD_
    .private_segment_fixed_size: 0
    .sgpr_count:     82
    .sgpr_spill_count: 0
    .symbol:         _ZN9rocsparseL14kernel_freerunILi1024ELi2E21rocsparse_complex_numIdEiiEEvT3_S3_T2_PKS4_S6_PKS3_PKT1_21rocsparse_index_base_S6_S6_S8_PS9_SD_SC_S6_S6_S8_SD_SD_SC_SD_SD_.kd
    .uniform_work_group_size: 1
    .uses_dynamic_stack: false
    .vgpr_count:     46
    .vgpr_spill_count: 0
    .wavefront_size: 64
  - .args:
      - .offset:         0
        .size:           4
        .value_kind:     by_value
      - .offset:         4
        .size:           4
        .value_kind:     by_value
      - .offset:         8
        .size:           4
        .value_kind:     by_value
      - .actual_access:  read_only
        .address_space:  global
        .offset:         16
        .size:           8
        .value_kind:     global_buffer
      - .actual_access:  read_only
        .address_space:  global
        .offset:         24
        .size:           8
        .value_kind:     global_buffer
      - .actual_access:  read_only
        .address_space:  global
        .offset:         32
        .size:           8
        .value_kind:     global_buffer
      - .actual_access:  read_only
        .address_space:  global
        .offset:         40
        .size:           8
        .value_kind:     global_buffer
      - .offset:         48
        .size:           4
        .value_kind:     by_value
      - .actual_access:  read_only
        .address_space:  global
        .offset:         56
        .size:           8
        .value_kind:     global_buffer
      - .actual_access:  read_only
        .address_space:  global
        .offset:         64
        .size:           8
        .value_kind:     global_buffer
      - .actual_access:  read_only
        .address_space:  global
        .offset:         72
        .size:           8
        .value_kind:     global_buffer
      - .address_space:  global
        .offset:         80
        .size:           8
        .value_kind:     global_buffer
      - .address_space:  global
        .offset:         88
        .size:           8
        .value_kind:     global_buffer
      - .offset:         96
        .size:           4
        .value_kind:     by_value
      - .actual_access:  read_only
        .address_space:  global
        .offset:         104
        .size:           8
        .value_kind:     global_buffer
      - .actual_access:  read_only
        .address_space:  global
        .offset:         112
        .size:           8
        .value_kind:     global_buffer
      - .actual_access:  read_only
        .address_space:  global
        .offset:         120
        .size:           8
        .value_kind:     global_buffer
      - .address_space:  global
        .offset:         128
        .size:           8
        .value_kind:     global_buffer
      - .address_space:  global
        .offset:         136
        .size:           8
        .value_kind:     global_buffer
      - .offset:         144
        .size:           4
        .value_kind:     by_value
      - .address_space:  global
        .offset:         152
        .size:           8
        .value_kind:     global_buffer
      - .address_space:  global
        .offset:         160
        .size:           8
        .value_kind:     global_buffer
    .group_segment_fixed_size: 0
    .kernarg_segment_align: 8
    .kernarg_segment_size: 168
    .language:       OpenCL C
    .language_version:
      - 2
      - 0
    .max_flat_workgroup_size: 1024
    .name:           _ZN9rocsparseL14kernel_freerunILi1024ELi4E21rocsparse_complex_numIdEiiEEvT3_S3_T2_PKS4_S6_PKS3_PKT1_21rocsparse_index_base_S6_S6_S8_PS9_SD_SC_S6_S6_S8_SD_SD_SC_SD_SD_
    .private_segment_fixed_size: 0
    .sgpr_count:     80
    .sgpr_spill_count: 0
    .symbol:         _ZN9rocsparseL14kernel_freerunILi1024ELi4E21rocsparse_complex_numIdEiiEEvT3_S3_T2_PKS4_S6_PKS3_PKT1_21rocsparse_index_base_S6_S6_S8_PS9_SD_SC_S6_S6_S8_SD_SD_SC_SD_SD_.kd
    .uniform_work_group_size: 1
    .uses_dynamic_stack: false
    .vgpr_count:     46
    .vgpr_spill_count: 0
    .wavefront_size: 64
  - .args:
      - .offset:         0
        .size:           4
        .value_kind:     by_value
      - .offset:         4
        .size:           4
        .value_kind:     by_value
      - .offset:         8
        .size:           4
        .value_kind:     by_value
      - .actual_access:  read_only
        .address_space:  global
        .offset:         16
        .size:           8
        .value_kind:     global_buffer
      - .actual_access:  read_only
        .address_space:  global
        .offset:         24
        .size:           8
        .value_kind:     global_buffer
      - .actual_access:  read_only
        .address_space:  global
        .offset:         32
        .size:           8
        .value_kind:     global_buffer
      - .actual_access:  read_only
        .address_space:  global
        .offset:         40
        .size:           8
        .value_kind:     global_buffer
      - .offset:         48
        .size:           4
        .value_kind:     by_value
      - .actual_access:  read_only
        .address_space:  global
        .offset:         56
        .size:           8
        .value_kind:     global_buffer
      - .actual_access:  read_only
        .address_space:  global
        .offset:         64
        .size:           8
        .value_kind:     global_buffer
      - .actual_access:  read_only
        .address_space:  global
        .offset:         72
        .size:           8
        .value_kind:     global_buffer
      - .address_space:  global
        .offset:         80
        .size:           8
        .value_kind:     global_buffer
      - .address_space:  global
        .offset:         88
        .size:           8
        .value_kind:     global_buffer
      - .offset:         96
        .size:           4
        .value_kind:     by_value
      - .actual_access:  read_only
        .address_space:  global
        .offset:         104
        .size:           8
        .value_kind:     global_buffer
      - .actual_access:  read_only
        .address_space:  global
        .offset:         112
        .size:           8
        .value_kind:     global_buffer
      - .actual_access:  read_only
        .address_space:  global
        .offset:         120
        .size:           8
        .value_kind:     global_buffer
      - .address_space:  global
        .offset:         128
        .size:           8
        .value_kind:     global_buffer
      - .address_space:  global
        .offset:         136
        .size:           8
        .value_kind:     global_buffer
      - .offset:         144
        .size:           4
        .value_kind:     by_value
      - .address_space:  global
        .offset:         152
        .size:           8
        .value_kind:     global_buffer
      - .address_space:  global
        .offset:         160
        .size:           8
        .value_kind:     global_buffer
    .group_segment_fixed_size: 0
    .kernarg_segment_align: 8
    .kernarg_segment_size: 168
    .language:       OpenCL C
    .language_version:
      - 2
      - 0
    .max_flat_workgroup_size: 1024
    .name:           _ZN9rocsparseL14kernel_freerunILi1024ELi8E21rocsparse_complex_numIdEiiEEvT3_S3_T2_PKS4_S6_PKS3_PKT1_21rocsparse_index_base_S6_S6_S8_PS9_SD_SC_S6_S6_S8_SD_SD_SC_SD_SD_
    .private_segment_fixed_size: 0
    .sgpr_count:     80
    .sgpr_spill_count: 0
    .symbol:         _ZN9rocsparseL14kernel_freerunILi1024ELi8E21rocsparse_complex_numIdEiiEEvT3_S3_T2_PKS4_S6_PKS3_PKT1_21rocsparse_index_base_S6_S6_S8_PS9_SD_SC_S6_S6_S8_SD_SD_SC_SD_SD_.kd
    .uniform_work_group_size: 1
    .uses_dynamic_stack: false
    .vgpr_count:     46
    .vgpr_spill_count: 0
    .wavefront_size: 64
  - .args:
      - .offset:         0
        .size:           4
        .value_kind:     by_value
      - .offset:         4
        .size:           4
        .value_kind:     by_value
      - .offset:         8
        .size:           4
        .value_kind:     by_value
      - .actual_access:  read_only
        .address_space:  global
        .offset:         16
        .size:           8
        .value_kind:     global_buffer
      - .actual_access:  read_only
        .address_space:  global
        .offset:         24
        .size:           8
        .value_kind:     global_buffer
      - .actual_access:  read_only
        .address_space:  global
        .offset:         32
        .size:           8
        .value_kind:     global_buffer
      - .actual_access:  read_only
        .address_space:  global
        .offset:         40
        .size:           8
        .value_kind:     global_buffer
      - .offset:         48
        .size:           4
        .value_kind:     by_value
      - .actual_access:  read_only
        .address_space:  global
        .offset:         56
        .size:           8
        .value_kind:     global_buffer
      - .actual_access:  read_only
        .address_space:  global
        .offset:         64
        .size:           8
        .value_kind:     global_buffer
      - .actual_access:  read_only
        .address_space:  global
        .offset:         72
        .size:           8
        .value_kind:     global_buffer
      - .address_space:  global
        .offset:         80
        .size:           8
        .value_kind:     global_buffer
      - .address_space:  global
        .offset:         88
        .size:           8
        .value_kind:     global_buffer
      - .offset:         96
        .size:           4
        .value_kind:     by_value
      - .actual_access:  read_only
        .address_space:  global
        .offset:         104
        .size:           8
        .value_kind:     global_buffer
      - .actual_access:  read_only
        .address_space:  global
        .offset:         112
        .size:           8
        .value_kind:     global_buffer
      - .actual_access:  read_only
        .address_space:  global
        .offset:         120
        .size:           8
        .value_kind:     global_buffer
      - .address_space:  global
        .offset:         128
        .size:           8
        .value_kind:     global_buffer
      - .address_space:  global
        .offset:         136
        .size:           8
        .value_kind:     global_buffer
      - .offset:         144
        .size:           4
        .value_kind:     by_value
      - .address_space:  global
        .offset:         152
        .size:           8
        .value_kind:     global_buffer
      - .address_space:  global
        .offset:         160
        .size:           8
        .value_kind:     global_buffer
    .group_segment_fixed_size: 0
    .kernarg_segment_align: 8
    .kernarg_segment_size: 168
    .language:       OpenCL C
    .language_version:
      - 2
      - 0
    .max_flat_workgroup_size: 1024
    .name:           _ZN9rocsparseL14kernel_freerunILi1024ELi16E21rocsparse_complex_numIdEiiEEvT3_S3_T2_PKS4_S6_PKS3_PKT1_21rocsparse_index_base_S6_S6_S8_PS9_SD_SC_S6_S6_S8_SD_SD_SC_SD_SD_
    .private_segment_fixed_size: 0
    .sgpr_count:     80
    .sgpr_spill_count: 0
    .symbol:         _ZN9rocsparseL14kernel_freerunILi1024ELi16E21rocsparse_complex_numIdEiiEEvT3_S3_T2_PKS4_S6_PKS3_PKT1_21rocsparse_index_base_S6_S6_S8_PS9_SD_SC_S6_S6_S8_SD_SD_SC_SD_SD_.kd
    .uniform_work_group_size: 1
    .uses_dynamic_stack: false
    .vgpr_count:     46
    .vgpr_spill_count: 0
    .wavefront_size: 64
  - .args:
      - .offset:         0
        .size:           4
        .value_kind:     by_value
      - .offset:         4
        .size:           4
        .value_kind:     by_value
      - .offset:         8
        .size:           4
        .value_kind:     by_value
      - .actual_access:  read_only
        .address_space:  global
        .offset:         16
        .size:           8
        .value_kind:     global_buffer
      - .actual_access:  read_only
        .address_space:  global
        .offset:         24
        .size:           8
        .value_kind:     global_buffer
      - .actual_access:  read_only
        .address_space:  global
        .offset:         32
        .size:           8
        .value_kind:     global_buffer
      - .actual_access:  read_only
        .address_space:  global
        .offset:         40
        .size:           8
        .value_kind:     global_buffer
      - .offset:         48
        .size:           4
        .value_kind:     by_value
      - .actual_access:  read_only
        .address_space:  global
        .offset:         56
        .size:           8
        .value_kind:     global_buffer
      - .actual_access:  read_only
        .address_space:  global
        .offset:         64
        .size:           8
        .value_kind:     global_buffer
      - .actual_access:  read_only
        .address_space:  global
        .offset:         72
        .size:           8
        .value_kind:     global_buffer
      - .address_space:  global
        .offset:         80
        .size:           8
        .value_kind:     global_buffer
      - .address_space:  global
        .offset:         88
        .size:           8
        .value_kind:     global_buffer
      - .offset:         96
        .size:           4
        .value_kind:     by_value
      - .actual_access:  read_only
        .address_space:  global
        .offset:         104
        .size:           8
        .value_kind:     global_buffer
      - .actual_access:  read_only
        .address_space:  global
        .offset:         112
        .size:           8
        .value_kind:     global_buffer
      - .actual_access:  read_only
        .address_space:  global
        .offset:         120
        .size:           8
        .value_kind:     global_buffer
      - .address_space:  global
        .offset:         128
        .size:           8
        .value_kind:     global_buffer
      - .address_space:  global
        .offset:         136
        .size:           8
        .value_kind:     global_buffer
      - .offset:         144
        .size:           4
        .value_kind:     by_value
      - .address_space:  global
        .offset:         152
        .size:           8
        .value_kind:     global_buffer
      - .address_space:  global
        .offset:         160
        .size:           8
        .value_kind:     global_buffer
    .group_segment_fixed_size: 0
    .kernarg_segment_align: 8
    .kernarg_segment_size: 168
    .language:       OpenCL C
    .language_version:
      - 2
      - 0
    .max_flat_workgroup_size: 1024
    .name:           _ZN9rocsparseL14kernel_freerunILi1024ELi32E21rocsparse_complex_numIdEiiEEvT3_S3_T2_PKS4_S6_PKS3_PKT1_21rocsparse_index_base_S6_S6_S8_PS9_SD_SC_S6_S6_S8_SD_SD_SC_SD_SD_
    .private_segment_fixed_size: 0
    .sgpr_count:     80
    .sgpr_spill_count: 0
    .symbol:         _ZN9rocsparseL14kernel_freerunILi1024ELi32E21rocsparse_complex_numIdEiiEEvT3_S3_T2_PKS4_S6_PKS3_PKT1_21rocsparse_index_base_S6_S6_S8_PS9_SD_SC_S6_S6_S8_SD_SD_SC_SD_SD_.kd
    .uniform_work_group_size: 1
    .uses_dynamic_stack: false
    .vgpr_count:     46
    .vgpr_spill_count: 0
    .wavefront_size: 64
  - .args:
      - .offset:         0
        .size:           4
        .value_kind:     by_value
      - .offset:         4
        .size:           4
        .value_kind:     by_value
      - .offset:         8
        .size:           4
        .value_kind:     by_value
      - .actual_access:  read_only
        .address_space:  global
        .offset:         16
        .size:           8
        .value_kind:     global_buffer
      - .actual_access:  read_only
        .address_space:  global
        .offset:         24
        .size:           8
        .value_kind:     global_buffer
      - .actual_access:  read_only
        .address_space:  global
        .offset:         32
        .size:           8
        .value_kind:     global_buffer
      - .actual_access:  read_only
        .address_space:  global
        .offset:         40
        .size:           8
        .value_kind:     global_buffer
      - .offset:         48
        .size:           4
        .value_kind:     by_value
      - .actual_access:  read_only
        .address_space:  global
        .offset:         56
        .size:           8
        .value_kind:     global_buffer
      - .actual_access:  read_only
        .address_space:  global
        .offset:         64
        .size:           8
        .value_kind:     global_buffer
      - .actual_access:  read_only
        .address_space:  global
        .offset:         72
        .size:           8
        .value_kind:     global_buffer
      - .address_space:  global
        .offset:         80
        .size:           8
        .value_kind:     global_buffer
      - .address_space:  global
        .offset:         88
        .size:           8
        .value_kind:     global_buffer
      - .offset:         96
        .size:           4
        .value_kind:     by_value
      - .actual_access:  read_only
        .address_space:  global
        .offset:         104
        .size:           8
        .value_kind:     global_buffer
      - .actual_access:  read_only
        .address_space:  global
        .offset:         112
        .size:           8
        .value_kind:     global_buffer
      - .actual_access:  read_only
        .address_space:  global
        .offset:         120
        .size:           8
        .value_kind:     global_buffer
      - .address_space:  global
        .offset:         128
        .size:           8
        .value_kind:     global_buffer
      - .address_space:  global
        .offset:         136
        .size:           8
        .value_kind:     global_buffer
      - .offset:         144
        .size:           4
        .value_kind:     by_value
      - .address_space:  global
        .offset:         152
        .size:           8
        .value_kind:     global_buffer
      - .address_space:  global
        .offset:         160
        .size:           8
        .value_kind:     global_buffer
    .group_segment_fixed_size: 0
    .kernarg_segment_align: 8
    .kernarg_segment_size: 168
    .language:       OpenCL C
    .language_version:
      - 2
      - 0
    .max_flat_workgroup_size: 1024
    .name:           _ZN9rocsparseL14kernel_freerunILi1024ELi64E21rocsparse_complex_numIdEiiEEvT3_S3_T2_PKS4_S6_PKS3_PKT1_21rocsparse_index_base_S6_S6_S8_PS9_SD_SC_S6_S6_S8_SD_SD_SC_SD_SD_
    .private_segment_fixed_size: 0
    .sgpr_count:     80
    .sgpr_spill_count: 0
    .symbol:         _ZN9rocsparseL14kernel_freerunILi1024ELi64E21rocsparse_complex_numIdEiiEEvT3_S3_T2_PKS4_S6_PKS3_PKT1_21rocsparse_index_base_S6_S6_S8_PS9_SD_SC_S6_S6_S8_SD_SD_SC_SD_SD_.kd
    .uniform_work_group_size: 1
    .uses_dynamic_stack: false
    .vgpr_count:     46
    .vgpr_spill_count: 0
    .wavefront_size: 64
  - .args:
      - .offset:         0
        .size:           1
        .value_kind:     by_value
      - .offset:         1
        .size:           1
        .value_kind:     by_value
      - .offset:         2
        .size:           1
        .value_kind:     by_value
      - .offset:         4
        .size:           4
        .value_kind:     by_value
      - .address_space:  global
        .offset:         8
        .size:           8
        .value_kind:     global_buffer
      - .offset:         16
        .size:           8
        .value_kind:     by_value
      - .offset:         24
        .size:           4
        .value_kind:     by_value
      - .offset:         28
        .size:           4
        .value_kind:     by_value
      - .actual_access:  read_only
        .address_space:  global
        .offset:         32
        .size:           8
        .value_kind:     global_buffer
      - .actual_access:  read_only
        .address_space:  global
        .offset:         40
        .size:           8
        .value_kind:     global_buffer
      - .actual_access:  read_only
        .address_space:  global
        .offset:         48
        .size:           8
        .value_kind:     global_buffer
      - .actual_access:  read_only
        .address_space:  global
        .offset:         56
        .size:           8
        .value_kind:     global_buffer
      - .offset:         64
        .size:           4
        .value_kind:     by_value
      - .actual_access:  read_only
        .address_space:  global
        .offset:         72
        .size:           8
        .value_kind:     global_buffer
      - .actual_access:  read_only
        .address_space:  global
        .offset:         80
        .size:           8
        .value_kind:     global_buffer
      - .actual_access:  read_only
        .address_space:  global
        .offset:         88
        .size:           8
        .value_kind:     global_buffer
      - .address_space:  global
        .offset:         96
        .size:           8
        .value_kind:     global_buffer
      - .address_space:  global
        .offset:         104
        .size:           8
        .value_kind:     global_buffer
      - .offset:         112
        .size:           4
        .value_kind:     by_value
      - .actual_access:  read_only
        .address_space:  global
        .offset:         120
        .size:           8
        .value_kind:     global_buffer
      - .actual_access:  read_only
        .address_space:  global
        .offset:         128
        .size:           8
        .value_kind:     global_buffer
      - .actual_access:  read_only
        .address_space:  global
        .offset:         136
        .size:           8
        .value_kind:     global_buffer
      - .address_space:  global
        .offset:         144
        .size:           8
        .value_kind:     global_buffer
      - .address_space:  global
        .offset:         152
        .size:           8
        .value_kind:     global_buffer
      - .offset:         160
        .size:           4
        .value_kind:     by_value
      - .address_space:  global
        .offset:         168
        .size:           8
        .value_kind:     global_buffer
      - .address_space:  global
        .offset:         176
        .size:           8
        .value_kind:     global_buffer
      - .address_space:  global
        .offset:         184
        .size:           8
        .value_kind:     global_buffer
      - .address_space:  global
        .offset:         192
        .size:           8
        .value_kind:     global_buffer
      - .actual_access:  read_only
        .address_space:  global
        .offset:         200
        .size:           8
        .value_kind:     global_buffer
    .group_segment_fixed_size: 12288
    .kernarg_segment_align: 8
    .kernarg_segment_size: 208
    .language:       OpenCL C
    .language_version:
      - 2
      - 0
    .max_flat_workgroup_size: 1024
    .name:           _ZN9rocsparseL6kernelILi1024ELi1E21rocsparse_complex_numIdEiiEEvbbbT3_PS3_NS_15floating_traitsIT1_E6data_tES3_T2_PKS9_SB_PKS3_PKS6_21rocsparse_index_base_SB_SB_SD_PS6_SH_SG_SB_SB_SD_SH_SH_SG_SH_SH_PS8_SI_PKS8_
    .private_segment_fixed_size: 0
    .sgpr_count:     100
    .sgpr_spill_count: 18
    .symbol:         _ZN9rocsparseL6kernelILi1024ELi1E21rocsparse_complex_numIdEiiEEvbbbT3_PS3_NS_15floating_traitsIT1_E6data_tES3_T2_PKS9_SB_PKS3_PKS6_21rocsparse_index_base_SB_SB_SD_PS6_SH_SG_SB_SB_SD_SH_SH_SG_SH_SH_PS8_SI_PKS8_.kd
    .uniform_work_group_size: 1
    .uses_dynamic_stack: false
    .vgpr_count:     56
    .vgpr_spill_count: 0
    .wavefront_size: 64
  - .args:
      - .offset:         0
        .size:           1
        .value_kind:     by_value
      - .offset:         1
        .size:           1
        .value_kind:     by_value
      - .offset:         2
        .size:           1
        .value_kind:     by_value
      - .offset:         4
        .size:           4
        .value_kind:     by_value
      - .address_space:  global
        .offset:         8
        .size:           8
        .value_kind:     global_buffer
      - .offset:         16
        .size:           8
        .value_kind:     by_value
      - .offset:         24
        .size:           4
        .value_kind:     by_value
      - .offset:         28
        .size:           4
        .value_kind:     by_value
      - .actual_access:  read_only
        .address_space:  global
        .offset:         32
        .size:           8
        .value_kind:     global_buffer
      - .actual_access:  read_only
        .address_space:  global
        .offset:         40
        .size:           8
        .value_kind:     global_buffer
      - .actual_access:  read_only
        .address_space:  global
        .offset:         48
        .size:           8
        .value_kind:     global_buffer
      - .actual_access:  read_only
        .address_space:  global
        .offset:         56
        .size:           8
        .value_kind:     global_buffer
      - .offset:         64
        .size:           4
        .value_kind:     by_value
      - .actual_access:  read_only
        .address_space:  global
        .offset:         72
        .size:           8
        .value_kind:     global_buffer
      - .actual_access:  read_only
        .address_space:  global
        .offset:         80
        .size:           8
        .value_kind:     global_buffer
      - .actual_access:  read_only
        .address_space:  global
        .offset:         88
        .size:           8
        .value_kind:     global_buffer
      - .address_space:  global
        .offset:         96
        .size:           8
        .value_kind:     global_buffer
      - .address_space:  global
        .offset:         104
        .size:           8
        .value_kind:     global_buffer
      - .offset:         112
        .size:           4
        .value_kind:     by_value
      - .actual_access:  read_only
        .address_space:  global
        .offset:         120
        .size:           8
        .value_kind:     global_buffer
      - .actual_access:  read_only
        .address_space:  global
        .offset:         128
        .size:           8
        .value_kind:     global_buffer
      - .actual_access:  read_only
        .address_space:  global
        .offset:         136
        .size:           8
        .value_kind:     global_buffer
      - .address_space:  global
        .offset:         144
        .size:           8
        .value_kind:     global_buffer
      - .address_space:  global
        .offset:         152
        .size:           8
        .value_kind:     global_buffer
      - .offset:         160
        .size:           4
        .value_kind:     by_value
      - .address_space:  global
        .offset:         168
        .size:           8
        .value_kind:     global_buffer
      - .address_space:  global
        .offset:         176
        .size:           8
        .value_kind:     global_buffer
      - .address_space:  global
        .offset:         184
        .size:           8
        .value_kind:     global_buffer
      - .address_space:  global
        .offset:         192
        .size:           8
        .value_kind:     global_buffer
      - .actual_access:  read_only
        .address_space:  global
        .offset:         200
        .size:           8
        .value_kind:     global_buffer
    .group_segment_fixed_size: 6144
    .kernarg_segment_align: 8
    .kernarg_segment_size: 208
    .language:       OpenCL C
    .language_version:
      - 2
      - 0
    .max_flat_workgroup_size: 1024
    .name:           _ZN9rocsparseL6kernelILi1024ELi2E21rocsparse_complex_numIdEiiEEvbbbT3_PS3_NS_15floating_traitsIT1_E6data_tES3_T2_PKS9_SB_PKS3_PKS6_21rocsparse_index_base_SB_SB_SD_PS6_SH_SG_SB_SB_SD_SH_SH_SG_SH_SH_PS8_SI_PKS8_
    .private_segment_fixed_size: 0
    .sgpr_count:     100
    .sgpr_spill_count: 26
    .symbol:         _ZN9rocsparseL6kernelILi1024ELi2E21rocsparse_complex_numIdEiiEEvbbbT3_PS3_NS_15floating_traitsIT1_E6data_tES3_T2_PKS9_SB_PKS3_PKS6_21rocsparse_index_base_SB_SB_SD_PS6_SH_SG_SB_SB_SD_SH_SH_SG_SH_SH_PS8_SI_PKS8_.kd
    .uniform_work_group_size: 1
    .uses_dynamic_stack: false
    .vgpr_count:     62
    .vgpr_spill_count: 0
    .wavefront_size: 64
  - .args:
      - .offset:         0
        .size:           1
        .value_kind:     by_value
      - .offset:         1
        .size:           1
        .value_kind:     by_value
      - .offset:         2
        .size:           1
        .value_kind:     by_value
      - .offset:         4
        .size:           4
        .value_kind:     by_value
      - .address_space:  global
        .offset:         8
        .size:           8
        .value_kind:     global_buffer
      - .offset:         16
        .size:           8
        .value_kind:     by_value
      - .offset:         24
        .size:           4
        .value_kind:     by_value
      - .offset:         28
        .size:           4
        .value_kind:     by_value
      - .actual_access:  read_only
        .address_space:  global
        .offset:         32
        .size:           8
        .value_kind:     global_buffer
      - .actual_access:  read_only
        .address_space:  global
        .offset:         40
        .size:           8
        .value_kind:     global_buffer
      - .actual_access:  read_only
        .address_space:  global
        .offset:         48
        .size:           8
        .value_kind:     global_buffer
      - .actual_access:  read_only
        .address_space:  global
        .offset:         56
        .size:           8
        .value_kind:     global_buffer
      - .offset:         64
        .size:           4
        .value_kind:     by_value
      - .actual_access:  read_only
        .address_space:  global
        .offset:         72
        .size:           8
        .value_kind:     global_buffer
      - .actual_access:  read_only
        .address_space:  global
        .offset:         80
        .size:           8
        .value_kind:     global_buffer
      - .actual_access:  read_only
        .address_space:  global
        .offset:         88
        .size:           8
        .value_kind:     global_buffer
      - .address_space:  global
        .offset:         96
        .size:           8
        .value_kind:     global_buffer
      - .address_space:  global
        .offset:         104
        .size:           8
        .value_kind:     global_buffer
      - .offset:         112
        .size:           4
        .value_kind:     by_value
      - .actual_access:  read_only
        .address_space:  global
        .offset:         120
        .size:           8
        .value_kind:     global_buffer
      - .actual_access:  read_only
        .address_space:  global
        .offset:         128
        .size:           8
        .value_kind:     global_buffer
      - .actual_access:  read_only
        .address_space:  global
        .offset:         136
        .size:           8
        .value_kind:     global_buffer
      - .address_space:  global
        .offset:         144
        .size:           8
        .value_kind:     global_buffer
      - .address_space:  global
        .offset:         152
        .size:           8
        .value_kind:     global_buffer
      - .offset:         160
        .size:           4
        .value_kind:     by_value
      - .address_space:  global
        .offset:         168
        .size:           8
        .value_kind:     global_buffer
      - .address_space:  global
        .offset:         176
        .size:           8
        .value_kind:     global_buffer
      - .address_space:  global
        .offset:         184
        .size:           8
        .value_kind:     global_buffer
      - .address_space:  global
        .offset:         192
        .size:           8
        .value_kind:     global_buffer
      - .actual_access:  read_only
        .address_space:  global
        .offset:         200
        .size:           8
        .value_kind:     global_buffer
    .group_segment_fixed_size: 3072
    .kernarg_segment_align: 8
    .kernarg_segment_size: 208
    .language:       OpenCL C
    .language_version:
      - 2
      - 0
    .max_flat_workgroup_size: 1024
    .name:           _ZN9rocsparseL6kernelILi1024ELi4E21rocsparse_complex_numIdEiiEEvbbbT3_PS3_NS_15floating_traitsIT1_E6data_tES3_T2_PKS9_SB_PKS3_PKS6_21rocsparse_index_base_SB_SB_SD_PS6_SH_SG_SB_SB_SD_SH_SH_SG_SH_SH_PS8_SI_PKS8_
    .private_segment_fixed_size: 0
    .sgpr_count:     100
    .sgpr_spill_count: 22
    .symbol:         _ZN9rocsparseL6kernelILi1024ELi4E21rocsparse_complex_numIdEiiEEvbbbT3_PS3_NS_15floating_traitsIT1_E6data_tES3_T2_PKS9_SB_PKS3_PKS6_21rocsparse_index_base_SB_SB_SD_PS6_SH_SG_SB_SB_SD_SH_SH_SG_SH_SH_PS8_SI_PKS8_.kd
    .uniform_work_group_size: 1
    .uses_dynamic_stack: false
    .vgpr_count:     62
    .vgpr_spill_count: 0
    .wavefront_size: 64
  - .args:
      - .offset:         0
        .size:           1
        .value_kind:     by_value
      - .offset:         1
        .size:           1
        .value_kind:     by_value
      - .offset:         2
        .size:           1
        .value_kind:     by_value
      - .offset:         4
        .size:           4
        .value_kind:     by_value
      - .address_space:  global
        .offset:         8
        .size:           8
        .value_kind:     global_buffer
      - .offset:         16
        .size:           8
        .value_kind:     by_value
      - .offset:         24
        .size:           4
        .value_kind:     by_value
      - .offset:         28
        .size:           4
        .value_kind:     by_value
      - .actual_access:  read_only
        .address_space:  global
        .offset:         32
        .size:           8
        .value_kind:     global_buffer
      - .actual_access:  read_only
        .address_space:  global
        .offset:         40
        .size:           8
        .value_kind:     global_buffer
      - .actual_access:  read_only
        .address_space:  global
        .offset:         48
        .size:           8
        .value_kind:     global_buffer
      - .actual_access:  read_only
        .address_space:  global
        .offset:         56
        .size:           8
        .value_kind:     global_buffer
      - .offset:         64
        .size:           4
        .value_kind:     by_value
      - .actual_access:  read_only
        .address_space:  global
        .offset:         72
        .size:           8
        .value_kind:     global_buffer
      - .actual_access:  read_only
        .address_space:  global
        .offset:         80
        .size:           8
        .value_kind:     global_buffer
      - .actual_access:  read_only
        .address_space:  global
        .offset:         88
        .size:           8
        .value_kind:     global_buffer
      - .address_space:  global
        .offset:         96
        .size:           8
        .value_kind:     global_buffer
      - .address_space:  global
        .offset:         104
        .size:           8
        .value_kind:     global_buffer
      - .offset:         112
        .size:           4
        .value_kind:     by_value
      - .actual_access:  read_only
        .address_space:  global
        .offset:         120
        .size:           8
        .value_kind:     global_buffer
      - .actual_access:  read_only
        .address_space:  global
        .offset:         128
        .size:           8
        .value_kind:     global_buffer
      - .actual_access:  read_only
        .address_space:  global
        .offset:         136
        .size:           8
        .value_kind:     global_buffer
      - .address_space:  global
        .offset:         144
        .size:           8
        .value_kind:     global_buffer
      - .address_space:  global
        .offset:         152
        .size:           8
        .value_kind:     global_buffer
      - .offset:         160
        .size:           4
        .value_kind:     by_value
      - .address_space:  global
        .offset:         168
        .size:           8
        .value_kind:     global_buffer
      - .address_space:  global
        .offset:         176
        .size:           8
        .value_kind:     global_buffer
      - .address_space:  global
        .offset:         184
        .size:           8
        .value_kind:     global_buffer
      - .address_space:  global
        .offset:         192
        .size:           8
        .value_kind:     global_buffer
      - .actual_access:  read_only
        .address_space:  global
        .offset:         200
        .size:           8
        .value_kind:     global_buffer
    .group_segment_fixed_size: 1536
    .kernarg_segment_align: 8
    .kernarg_segment_size: 208
    .language:       OpenCL C
    .language_version:
      - 2
      - 0
    .max_flat_workgroup_size: 1024
    .name:           _ZN9rocsparseL6kernelILi1024ELi8E21rocsparse_complex_numIdEiiEEvbbbT3_PS3_NS_15floating_traitsIT1_E6data_tES3_T2_PKS9_SB_PKS3_PKS6_21rocsparse_index_base_SB_SB_SD_PS6_SH_SG_SB_SB_SD_SH_SH_SG_SH_SH_PS8_SI_PKS8_
    .private_segment_fixed_size: 0
    .sgpr_count:     100
    .sgpr_spill_count: 20
    .symbol:         _ZN9rocsparseL6kernelILi1024ELi8E21rocsparse_complex_numIdEiiEEvbbbT3_PS3_NS_15floating_traitsIT1_E6data_tES3_T2_PKS9_SB_PKS3_PKS6_21rocsparse_index_base_SB_SB_SD_PS6_SH_SG_SB_SB_SD_SH_SH_SG_SH_SH_PS8_SI_PKS8_.kd
    .uniform_work_group_size: 1
    .uses_dynamic_stack: false
    .vgpr_count:     62
    .vgpr_spill_count: 0
    .wavefront_size: 64
  - .args:
      - .offset:         0
        .size:           1
        .value_kind:     by_value
      - .offset:         1
        .size:           1
        .value_kind:     by_value
      - .offset:         2
        .size:           1
        .value_kind:     by_value
      - .offset:         4
        .size:           4
        .value_kind:     by_value
      - .address_space:  global
        .offset:         8
        .size:           8
        .value_kind:     global_buffer
      - .offset:         16
        .size:           8
        .value_kind:     by_value
      - .offset:         24
        .size:           4
        .value_kind:     by_value
      - .offset:         28
        .size:           4
        .value_kind:     by_value
      - .actual_access:  read_only
        .address_space:  global
        .offset:         32
        .size:           8
        .value_kind:     global_buffer
      - .actual_access:  read_only
        .address_space:  global
        .offset:         40
        .size:           8
        .value_kind:     global_buffer
      - .actual_access:  read_only
        .address_space:  global
        .offset:         48
        .size:           8
        .value_kind:     global_buffer
      - .actual_access:  read_only
        .address_space:  global
        .offset:         56
        .size:           8
        .value_kind:     global_buffer
      - .offset:         64
        .size:           4
        .value_kind:     by_value
      - .actual_access:  read_only
        .address_space:  global
        .offset:         72
        .size:           8
        .value_kind:     global_buffer
      - .actual_access:  read_only
        .address_space:  global
        .offset:         80
        .size:           8
        .value_kind:     global_buffer
      - .actual_access:  read_only
        .address_space:  global
        .offset:         88
        .size:           8
        .value_kind:     global_buffer
      - .address_space:  global
        .offset:         96
        .size:           8
        .value_kind:     global_buffer
      - .address_space:  global
        .offset:         104
        .size:           8
        .value_kind:     global_buffer
      - .offset:         112
        .size:           4
        .value_kind:     by_value
      - .actual_access:  read_only
        .address_space:  global
        .offset:         120
        .size:           8
        .value_kind:     global_buffer
      - .actual_access:  read_only
        .address_space:  global
        .offset:         128
        .size:           8
        .value_kind:     global_buffer
      - .actual_access:  read_only
        .address_space:  global
        .offset:         136
        .size:           8
        .value_kind:     global_buffer
      - .address_space:  global
        .offset:         144
        .size:           8
        .value_kind:     global_buffer
      - .address_space:  global
        .offset:         152
        .size:           8
        .value_kind:     global_buffer
      - .offset:         160
        .size:           4
        .value_kind:     by_value
      - .address_space:  global
        .offset:         168
        .size:           8
        .value_kind:     global_buffer
      - .address_space:  global
        .offset:         176
        .size:           8
        .value_kind:     global_buffer
      - .address_space:  global
        .offset:         184
        .size:           8
        .value_kind:     global_buffer
      - .address_space:  global
        .offset:         192
        .size:           8
        .value_kind:     global_buffer
      - .actual_access:  read_only
        .address_space:  global
        .offset:         200
        .size:           8
        .value_kind:     global_buffer
    .group_segment_fixed_size: 768
    .kernarg_segment_align: 8
    .kernarg_segment_size: 208
    .language:       OpenCL C
    .language_version:
      - 2
      - 0
    .max_flat_workgroup_size: 1024
    .name:           _ZN9rocsparseL6kernelILi1024ELi16E21rocsparse_complex_numIdEiiEEvbbbT3_PS3_NS_15floating_traitsIT1_E6data_tES3_T2_PKS9_SB_PKS3_PKS6_21rocsparse_index_base_SB_SB_SD_PS6_SH_SG_SB_SB_SD_SH_SH_SG_SH_SH_PS8_SI_PKS8_
    .private_segment_fixed_size: 0
    .sgpr_count:     100
    .sgpr_spill_count: 18
    .symbol:         _ZN9rocsparseL6kernelILi1024ELi16E21rocsparse_complex_numIdEiiEEvbbbT3_PS3_NS_15floating_traitsIT1_E6data_tES3_T2_PKS9_SB_PKS3_PKS6_21rocsparse_index_base_SB_SB_SD_PS6_SH_SG_SB_SB_SD_SH_SH_SG_SH_SH_PS8_SI_PKS8_.kd
    .uniform_work_group_size: 1
    .uses_dynamic_stack: false
    .vgpr_count:     62
    .vgpr_spill_count: 0
    .wavefront_size: 64
  - .args:
      - .offset:         0
        .size:           1
        .value_kind:     by_value
      - .offset:         1
        .size:           1
        .value_kind:     by_value
      - .offset:         2
        .size:           1
        .value_kind:     by_value
      - .offset:         4
        .size:           4
        .value_kind:     by_value
      - .address_space:  global
        .offset:         8
        .size:           8
        .value_kind:     global_buffer
      - .offset:         16
        .size:           8
        .value_kind:     by_value
      - .offset:         24
        .size:           4
        .value_kind:     by_value
      - .offset:         28
        .size:           4
        .value_kind:     by_value
      - .actual_access:  read_only
        .address_space:  global
        .offset:         32
        .size:           8
        .value_kind:     global_buffer
      - .actual_access:  read_only
        .address_space:  global
        .offset:         40
        .size:           8
        .value_kind:     global_buffer
      - .actual_access:  read_only
        .address_space:  global
        .offset:         48
        .size:           8
        .value_kind:     global_buffer
      - .actual_access:  read_only
        .address_space:  global
        .offset:         56
        .size:           8
        .value_kind:     global_buffer
      - .offset:         64
        .size:           4
        .value_kind:     by_value
      - .actual_access:  read_only
        .address_space:  global
        .offset:         72
        .size:           8
        .value_kind:     global_buffer
      - .actual_access:  read_only
        .address_space:  global
        .offset:         80
        .size:           8
        .value_kind:     global_buffer
      - .actual_access:  read_only
        .address_space:  global
        .offset:         88
        .size:           8
        .value_kind:     global_buffer
      - .address_space:  global
        .offset:         96
        .size:           8
        .value_kind:     global_buffer
      - .address_space:  global
        .offset:         104
        .size:           8
        .value_kind:     global_buffer
      - .offset:         112
        .size:           4
        .value_kind:     by_value
      - .actual_access:  read_only
        .address_space:  global
        .offset:         120
        .size:           8
        .value_kind:     global_buffer
      - .actual_access:  read_only
        .address_space:  global
        .offset:         128
        .size:           8
        .value_kind:     global_buffer
      - .actual_access:  read_only
        .address_space:  global
        .offset:         136
        .size:           8
        .value_kind:     global_buffer
      - .address_space:  global
        .offset:         144
        .size:           8
        .value_kind:     global_buffer
      - .address_space:  global
        .offset:         152
        .size:           8
        .value_kind:     global_buffer
      - .offset:         160
        .size:           4
        .value_kind:     by_value
      - .address_space:  global
        .offset:         168
        .size:           8
        .value_kind:     global_buffer
      - .address_space:  global
        .offset:         176
        .size:           8
        .value_kind:     global_buffer
      - .address_space:  global
        .offset:         184
        .size:           8
        .value_kind:     global_buffer
      - .address_space:  global
        .offset:         192
        .size:           8
        .value_kind:     global_buffer
      - .actual_access:  read_only
        .address_space:  global
        .offset:         200
        .size:           8
        .value_kind:     global_buffer
    .group_segment_fixed_size: 384
    .kernarg_segment_align: 8
    .kernarg_segment_size: 208
    .language:       OpenCL C
    .language_version:
      - 2
      - 0
    .max_flat_workgroup_size: 1024
    .name:           _ZN9rocsparseL6kernelILi1024ELi32E21rocsparse_complex_numIdEiiEEvbbbT3_PS3_NS_15floating_traitsIT1_E6data_tES3_T2_PKS9_SB_PKS3_PKS6_21rocsparse_index_base_SB_SB_SD_PS6_SH_SG_SB_SB_SD_SH_SH_SG_SH_SH_PS8_SI_PKS8_
    .private_segment_fixed_size: 0
    .sgpr_count:     100
    .sgpr_spill_count: 16
    .symbol:         _ZN9rocsparseL6kernelILi1024ELi32E21rocsparse_complex_numIdEiiEEvbbbT3_PS3_NS_15floating_traitsIT1_E6data_tES3_T2_PKS9_SB_PKS3_PKS6_21rocsparse_index_base_SB_SB_SD_PS6_SH_SG_SB_SB_SD_SH_SH_SG_SH_SH_PS8_SI_PKS8_.kd
    .uniform_work_group_size: 1
    .uses_dynamic_stack: false
    .vgpr_count:     62
    .vgpr_spill_count: 0
    .wavefront_size: 64
  - .args:
      - .offset:         0
        .size:           1
        .value_kind:     by_value
      - .offset:         1
        .size:           1
        .value_kind:     by_value
      - .offset:         2
        .size:           1
        .value_kind:     by_value
      - .offset:         4
        .size:           4
        .value_kind:     by_value
      - .address_space:  global
        .offset:         8
        .size:           8
        .value_kind:     global_buffer
      - .offset:         16
        .size:           8
        .value_kind:     by_value
      - .offset:         24
        .size:           4
        .value_kind:     by_value
      - .offset:         28
        .size:           4
        .value_kind:     by_value
      - .actual_access:  read_only
        .address_space:  global
        .offset:         32
        .size:           8
        .value_kind:     global_buffer
      - .actual_access:  read_only
        .address_space:  global
        .offset:         40
        .size:           8
        .value_kind:     global_buffer
      - .actual_access:  read_only
        .address_space:  global
        .offset:         48
        .size:           8
        .value_kind:     global_buffer
      - .actual_access:  read_only
        .address_space:  global
        .offset:         56
        .size:           8
        .value_kind:     global_buffer
      - .offset:         64
        .size:           4
        .value_kind:     by_value
      - .actual_access:  read_only
        .address_space:  global
        .offset:         72
        .size:           8
        .value_kind:     global_buffer
      - .actual_access:  read_only
        .address_space:  global
        .offset:         80
        .size:           8
        .value_kind:     global_buffer
      - .actual_access:  read_only
        .address_space:  global
        .offset:         88
        .size:           8
        .value_kind:     global_buffer
      - .address_space:  global
        .offset:         96
        .size:           8
        .value_kind:     global_buffer
      - .address_space:  global
        .offset:         104
        .size:           8
        .value_kind:     global_buffer
      - .offset:         112
        .size:           4
        .value_kind:     by_value
      - .actual_access:  read_only
        .address_space:  global
        .offset:         120
        .size:           8
        .value_kind:     global_buffer
      - .actual_access:  read_only
        .address_space:  global
        .offset:         128
        .size:           8
        .value_kind:     global_buffer
      - .actual_access:  read_only
        .address_space:  global
        .offset:         136
        .size:           8
        .value_kind:     global_buffer
      - .address_space:  global
        .offset:         144
        .size:           8
        .value_kind:     global_buffer
      - .address_space:  global
        .offset:         152
        .size:           8
        .value_kind:     global_buffer
      - .offset:         160
        .size:           4
        .value_kind:     by_value
      - .address_space:  global
        .offset:         168
        .size:           8
        .value_kind:     global_buffer
      - .address_space:  global
        .offset:         176
        .size:           8
        .value_kind:     global_buffer
      - .address_space:  global
        .offset:         184
        .size:           8
        .value_kind:     global_buffer
      - .address_space:  global
        .offset:         192
        .size:           8
        .value_kind:     global_buffer
      - .actual_access:  read_only
        .address_space:  global
        .offset:         200
        .size:           8
        .value_kind:     global_buffer
    .group_segment_fixed_size: 192
    .kernarg_segment_align: 8
    .kernarg_segment_size: 208
    .language:       OpenCL C
    .language_version:
      - 2
      - 0
    .max_flat_workgroup_size: 1024
    .name:           _ZN9rocsparseL6kernelILi1024ELi64E21rocsparse_complex_numIdEiiEEvbbbT3_PS3_NS_15floating_traitsIT1_E6data_tES3_T2_PKS9_SB_PKS3_PKS6_21rocsparse_index_base_SB_SB_SD_PS6_SH_SG_SB_SB_SD_SH_SH_SG_SH_SH_PS8_SI_PKS8_
    .private_segment_fixed_size: 0
    .sgpr_count:     100
    .sgpr_spill_count: 14
    .symbol:         _ZN9rocsparseL6kernelILi1024ELi64E21rocsparse_complex_numIdEiiEEvbbbT3_PS3_NS_15floating_traitsIT1_E6data_tES3_T2_PKS9_SB_PKS3_PKS6_21rocsparse_index_base_SB_SB_SD_PS6_SH_SG_SB_SB_SD_SH_SH_SG_SH_SH_PS8_SI_PKS8_.kd
    .uniform_work_group_size: 1
    .uses_dynamic_stack: false
    .vgpr_count:     62
    .vgpr_spill_count: 0
    .wavefront_size: 64
amdhsa.target:   amdgcn-amd-amdhsa--gfx906
amdhsa.version:
  - 1
  - 2
...

	.end_amdgpu_metadata
